;; amdgpu-corpus repo=ROCm/rocSOLVER kind=compiled arch=gfx90a opt=O3
	.text
	.amdgcn_target "amdgcn-amd-amdhsa--gfx90a"
	.amdhsa_code_object_version 6
	.section	.text._ZN9rocsolver6v33100L18trti2_kernel_smallILi1EdPdEEv13rocblas_fill_17rocblas_diagonal_T1_iil,"axG",@progbits,_ZN9rocsolver6v33100L18trti2_kernel_smallILi1EdPdEEv13rocblas_fill_17rocblas_diagonal_T1_iil,comdat
	.globl	_ZN9rocsolver6v33100L18trti2_kernel_smallILi1EdPdEEv13rocblas_fill_17rocblas_diagonal_T1_iil ; -- Begin function _ZN9rocsolver6v33100L18trti2_kernel_smallILi1EdPdEEv13rocblas_fill_17rocblas_diagonal_T1_iil
	.p2align	8
	.type	_ZN9rocsolver6v33100L18trti2_kernel_smallILi1EdPdEEv13rocblas_fill_17rocblas_diagonal_T1_iil,@function
_ZN9rocsolver6v33100L18trti2_kernel_smallILi1EdPdEEv13rocblas_fill_17rocblas_diagonal_T1_iil: ; @_ZN9rocsolver6v33100L18trti2_kernel_smallILi1EdPdEEv13rocblas_fill_17rocblas_diagonal_T1_iil
; %bb.0:
	v_cmp_eq_u32_e32 vcc, 0, v0
	s_and_saveexec_b64 s[0:1], vcc
	s_cbranch_execz .LBB0_2
; %bb.1:
	s_load_dword s0, s[4:5], 0x10
	s_load_dwordx2 s[2:3], s[4:5], 0x18
	s_load_dwordx2 s[8:9], s[4:5], 0x8
	s_ashr_i32 s7, s6, 31
	v_mov_b32_e32 v8, 0
	s_waitcnt lgkmcnt(0)
	s_ashr_i32 s1, s0, 31
	s_mul_i32 s3, s6, s3
	s_mul_hi_u32 s10, s6, s2
	s_add_i32 s3, s10, s3
	s_mul_i32 s7, s7, s2
	s_add_i32 s3, s3, s7
	s_mul_i32 s2, s6, s2
	s_lshl_b64 s[2:3], s[2:3], 3
	s_add_u32 s2, s8, s2
	s_addc_u32 s3, s9, s3
	s_lshl_b64 s[0:1], s[0:1], 3
	s_add_u32 s0, s2, s0
	s_addc_u32 s1, s3, s1
	s_load_dwordx2 s[2:3], s[0:1], 0x0
	s_load_dword s6, s[4:5], 0x4
	s_waitcnt lgkmcnt(0)
	v_div_scale_f64 v[0:1], s[4:5], s[2:3], s[2:3], 1.0
	v_rcp_f64_e32 v[2:3], v[0:1]
	s_cmpk_eq_i32 s6, 0x84
	v_fma_f64 v[4:5], -v[0:1], v[2:3], 1.0
	v_fmac_f64_e32 v[2:3], v[2:3], v[4:5]
	v_fma_f64 v[4:5], -v[0:1], v[2:3], 1.0
	v_fmac_f64_e32 v[2:3], v[2:3], v[4:5]
	v_div_scale_f64 v[4:5], vcc, 1.0, s[2:3], 1.0
	v_mul_f64 v[6:7], v[4:5], v[2:3]
	v_fma_f64 v[0:1], -v[0:1], v[6:7], v[4:5]
	s_nop 1
	v_div_fmas_f64 v[0:1], v[0:1], v[2:3], v[6:7]
	v_div_fixup_f64 v[0:1], v[0:1], s[2:3], 1.0
	v_mov_b32_e32 v2, s3
	s_cselect_b64 vcc, -1, 0
	v_cndmask_b32_e32 v1, v1, v2, vcc
	v_mov_b32_e32 v2, s2
	v_cndmask_b32_e32 v0, v0, v2, vcc
	global_store_dwordx2 v8, v[0:1], s[0:1]
.LBB0_2:
	s_endpgm
	.section	.rodata,"a",@progbits
	.p2align	6, 0x0
	.amdhsa_kernel _ZN9rocsolver6v33100L18trti2_kernel_smallILi1EdPdEEv13rocblas_fill_17rocblas_diagonal_T1_iil
		.amdhsa_group_segment_fixed_size 0
		.amdhsa_private_segment_fixed_size 0
		.amdhsa_kernarg_size 32
		.amdhsa_user_sgpr_count 6
		.amdhsa_user_sgpr_private_segment_buffer 1
		.amdhsa_user_sgpr_dispatch_ptr 0
		.amdhsa_user_sgpr_queue_ptr 0
		.amdhsa_user_sgpr_kernarg_segment_ptr 1
		.amdhsa_user_sgpr_dispatch_id 0
		.amdhsa_user_sgpr_flat_scratch_init 0
		.amdhsa_user_sgpr_kernarg_preload_length 0
		.amdhsa_user_sgpr_kernarg_preload_offset 0
		.amdhsa_user_sgpr_private_segment_size 0
		.amdhsa_uses_dynamic_stack 0
		.amdhsa_system_sgpr_private_segment_wavefront_offset 0
		.amdhsa_system_sgpr_workgroup_id_x 1
		.amdhsa_system_sgpr_workgroup_id_y 0
		.amdhsa_system_sgpr_workgroup_id_z 0
		.amdhsa_system_sgpr_workgroup_info 0
		.amdhsa_system_vgpr_workitem_id 0
		.amdhsa_next_free_vgpr 9
		.amdhsa_next_free_sgpr 11
		.amdhsa_accum_offset 12
		.amdhsa_reserve_vcc 1
		.amdhsa_reserve_flat_scratch 0
		.amdhsa_float_round_mode_32 0
		.amdhsa_float_round_mode_16_64 0
		.amdhsa_float_denorm_mode_32 3
		.amdhsa_float_denorm_mode_16_64 3
		.amdhsa_dx10_clamp 1
		.amdhsa_ieee_mode 1
		.amdhsa_fp16_overflow 0
		.amdhsa_tg_split 0
		.amdhsa_exception_fp_ieee_invalid_op 0
		.amdhsa_exception_fp_denorm_src 0
		.amdhsa_exception_fp_ieee_div_zero 0
		.amdhsa_exception_fp_ieee_overflow 0
		.amdhsa_exception_fp_ieee_underflow 0
		.amdhsa_exception_fp_ieee_inexact 0
		.amdhsa_exception_int_div_zero 0
	.end_amdhsa_kernel
	.section	.text._ZN9rocsolver6v33100L18trti2_kernel_smallILi1EdPdEEv13rocblas_fill_17rocblas_diagonal_T1_iil,"axG",@progbits,_ZN9rocsolver6v33100L18trti2_kernel_smallILi1EdPdEEv13rocblas_fill_17rocblas_diagonal_T1_iil,comdat
.Lfunc_end0:
	.size	_ZN9rocsolver6v33100L18trti2_kernel_smallILi1EdPdEEv13rocblas_fill_17rocblas_diagonal_T1_iil, .Lfunc_end0-_ZN9rocsolver6v33100L18trti2_kernel_smallILi1EdPdEEv13rocblas_fill_17rocblas_diagonal_T1_iil
                                        ; -- End function
	.section	.AMDGPU.csdata,"",@progbits
; Kernel info:
; codeLenInByte = 236
; NumSgprs: 15
; NumVgprs: 9
; NumAgprs: 0
; TotalNumVgprs: 9
; ScratchSize: 0
; MemoryBound: 0
; FloatMode: 240
; IeeeMode: 1
; LDSByteSize: 0 bytes/workgroup (compile time only)
; SGPRBlocks: 1
; VGPRBlocks: 1
; NumSGPRsForWavesPerEU: 15
; NumVGPRsForWavesPerEU: 9
; AccumOffset: 12
; Occupancy: 8
; WaveLimiterHint : 0
; COMPUTE_PGM_RSRC2:SCRATCH_EN: 0
; COMPUTE_PGM_RSRC2:USER_SGPR: 6
; COMPUTE_PGM_RSRC2:TRAP_HANDLER: 0
; COMPUTE_PGM_RSRC2:TGID_X_EN: 1
; COMPUTE_PGM_RSRC2:TGID_Y_EN: 0
; COMPUTE_PGM_RSRC2:TGID_Z_EN: 0
; COMPUTE_PGM_RSRC2:TIDIG_COMP_CNT: 0
; COMPUTE_PGM_RSRC3_GFX90A:ACCUM_OFFSET: 2
; COMPUTE_PGM_RSRC3_GFX90A:TG_SPLIT: 0
	.section	.text._ZN9rocsolver6v33100L18trti2_kernel_smallILi2EdPdEEv13rocblas_fill_17rocblas_diagonal_T1_iil,"axG",@progbits,_ZN9rocsolver6v33100L18trti2_kernel_smallILi2EdPdEEv13rocblas_fill_17rocblas_diagonal_T1_iil,comdat
	.globl	_ZN9rocsolver6v33100L18trti2_kernel_smallILi2EdPdEEv13rocblas_fill_17rocblas_diagonal_T1_iil ; -- Begin function _ZN9rocsolver6v33100L18trti2_kernel_smallILi2EdPdEEv13rocblas_fill_17rocblas_diagonal_T1_iil
	.p2align	8
	.type	_ZN9rocsolver6v33100L18trti2_kernel_smallILi2EdPdEEv13rocblas_fill_17rocblas_diagonal_T1_iil,@function
_ZN9rocsolver6v33100L18trti2_kernel_smallILi2EdPdEEv13rocblas_fill_17rocblas_diagonal_T1_iil: ; @_ZN9rocsolver6v33100L18trti2_kernel_smallILi2EdPdEEv13rocblas_fill_17rocblas_diagonal_T1_iil
; %bb.0:
	v_cmp_gt_u32_e32 vcc, 2, v0
	s_and_saveexec_b64 s[0:1], vcc
	s_cbranch_execz .LBB1_20
; %bb.1:
	s_load_dwordx8 s[8:15], s[4:5], 0x0
	s_ashr_i32 s2, s6, 31
	v_lshlrev_b32_e32 v1, 3, v0
	v_mov_b32_e32 v6, 0
	v_mov_b32_e32 v7, 0xbff00000
	s_waitcnt lgkmcnt(0)
	s_mul_i32 s3, s6, s15
	s_mul_hi_u32 s4, s6, s14
	s_add_i32 s3, s4, s3
	s_mul_i32 s2, s2, s14
	s_add_i32 s3, s3, s2
	s_mul_i32 s2, s6, s14
	s_ashr_i32 s1, s12, 31
	s_lshl_b64 s[2:3], s[2:3], 3
	s_mov_b32 s0, s12
	s_add_u32 s2, s10, s2
	s_addc_u32 s3, s11, s3
	s_lshl_b64 s[0:1], s[0:1], 3
	s_add_u32 s0, s2, s0
	s_addc_u32 s1, s3, s1
	v_mov_b32_e32 v2, s1
	v_add_co_u32_e32 v10, vcc, s0, v1
	s_ashr_i32 s3, s13, 31
	s_mov_b32 s2, s13
	v_addc_co_u32_e32 v11, vcc, 0, v2, vcc
	s_lshl_b64 s[2:3], s[2:3], 3
	v_mov_b32_e32 v2, s3
	v_add_co_u32_e32 v12, vcc, s2, v10
	v_addc_co_u32_e32 v13, vcc, v11, v2, vcc
	global_load_dwordx2 v[2:3], v1, s[0:1]
	global_load_dwordx2 v[4:5], v[12:13], off
	s_cmpk_lg_i32 s9, 0x84
	s_cselect_b64 s[4:5], -1, 0
	s_cmpk_eq_i32 s9, 0x84
	v_cmp_eq_u32_e64 s[0:1], 0, v0
	s_cbranch_scc1 .LBB1_3
; %bb.2:
	v_cmp_eq_u32_e64 s[2:3], 1, v0
	s_waitcnt vmcnt(0)
	v_cndmask_b32_e64 v7, v3, v5, s[2:3]
	v_cndmask_b32_e64 v6, v2, v4, s[2:3]
	v_div_scale_f64 v[8:9], s[6:7], v[6:7], v[6:7], 1.0
	v_rcp_f64_e32 v[14:15], v[8:9]
	v_fma_f64 v[16:17], -v[8:9], v[14:15], 1.0
	v_fmac_f64_e32 v[14:15], v[14:15], v[16:17]
	v_fma_f64 v[16:17], -v[8:9], v[14:15], 1.0
	v_fmac_f64_e32 v[14:15], v[14:15], v[16:17]
	v_div_scale_f64 v[16:17], vcc, 1.0, v[6:7], 1.0
	v_mul_f64 v[18:19], v[16:17], v[14:15]
	v_fma_f64 v[8:9], -v[8:9], v[18:19], v[16:17]
	s_nop 1
	v_div_fmas_f64 v[8:9], v[8:9], v[14:15], v[18:19]
	v_div_fixup_f64 v[6:7], v[8:9], v[6:7], 1.0
	v_cndmask_b32_e64 v5, v5, v7, s[2:3]
	v_cndmask_b32_e64 v4, v4, v6, s[2:3]
	;; [unrolled: 1-line block ×4, first 2 shown]
	v_xor_b32_e32 v7, 0x80000000, v7
.LBB1_3:
	s_cmpk_lg_i32 s8, 0x79
	v_add_u32_e32 v16, 16, v1
	ds_write_b64 v1, v[6:7]
	s_cbranch_scc0 .LBB1_7
; %bb.4:
	s_waitcnt vmcnt(0)
	v_pk_mov_b32 v[8:9], v[4:5], v[4:5] op_sel:[0,1]
	v_cmp_eq_u32_e32 vcc, 1, v0
	v_pk_mov_b32 v[6:7], v[2:3], v[2:3] op_sel:[0,1]
	ds_write_b64 v16, v[2:3]
	s_waitcnt lgkmcnt(0)
	; wave barrier
	s_waitcnt lgkmcnt(0)
	s_and_saveexec_b64 s[0:1], vcc
	s_cbranch_execz .LBB1_11
; %bb.5:
	s_and_b64 vcc, exec, s[4:5]
	s_cbranch_vccz .LBB1_8
; %bb.6:
	ds_read_b64 v[6:7], v16
	v_cmp_eq_u32_e32 vcc, 1, v0
	v_cndmask_b32_e32 v9, v3, v5, vcc
	v_cndmask_b32_e32 v8, v2, v4, vcc
	s_waitcnt lgkmcnt(0)
	v_mul_f64 v[14:15], v[8:9], v[6:7]
	s_cbranch_execz .LBB1_9
	s_branch .LBB1_10
.LBB1_7:
                                        ; implicit-def: $vgpr6_vgpr7_vgpr8_vgpr9
	s_branch .LBB1_12
.LBB1_8:
                                        ; implicit-def: $vgpr14_vgpr15
.LBB1_9:
	ds_read_b64 v[14:15], v16
.LBB1_10:
	v_mov_b32_e32 v1, 0
	ds_read_b64 v[18:19], v1
	v_pk_mov_b32 v[8:9], v[4:5], v[4:5] op_sel:[0,1]
	v_pk_mov_b32 v[6:7], v[2:3], v[2:3] op_sel:[0,1]
	s_waitcnt lgkmcnt(0)
	v_mul_f64 v[6:7], v[14:15], v[18:19]
.LBB1_11:
	s_or_b64 exec, exec, s[0:1]
	s_cbranch_execnz .LBB1_19
.LBB1_12:
	v_cmp_eq_u32_e32 vcc, 0, v0
	s_waitcnt vmcnt(0)
	ds_write_b64 v16, v[4:5]
	s_waitcnt lgkmcnt(0)
	; wave barrier
	s_waitcnt lgkmcnt(0)
	s_and_saveexec_b64 s[0:1], vcc
	s_cbranch_execz .LBB1_18
; %bb.13:
	s_and_b64 vcc, exec, s[4:5]
	s_cbranch_vccz .LBB1_15
; %bb.14:
	ds_read_b64 v[6:7], v16
	v_cmp_eq_u32_e32 vcc, 1, v0
	v_cndmask_b32_e32 v1, v3, v5, vcc
	v_cndmask_b32_e32 v0, v2, v4, vcc
	s_waitcnt lgkmcnt(0)
	v_mul_f64 v[0:1], v[0:1], v[6:7]
	s_cbranch_execz .LBB1_16
	s_branch .LBB1_17
.LBB1_15:
                                        ; implicit-def: $vgpr0_vgpr1
.LBB1_16:
	ds_read_b64 v[0:1], v16
.LBB1_17:
	v_mov_b32_e32 v4, 0
	ds_read_b64 v[4:5], v4 offset:8
	s_waitcnt lgkmcnt(0)
	v_mul_f64 v[4:5], v[0:1], v[4:5]
.LBB1_18:
	s_or_b64 exec, exec, s[0:1]
	v_pk_mov_b32 v[8:9], v[4:5], v[4:5] op_sel:[0,1]
	v_pk_mov_b32 v[6:7], v[2:3], v[2:3] op_sel:[0,1]
.LBB1_19:
	global_store_dwordx2 v[10:11], v[6:7], off
	global_store_dwordx2 v[12:13], v[8:9], off
.LBB1_20:
	s_endpgm
	.section	.rodata,"a",@progbits
	.p2align	6, 0x0
	.amdhsa_kernel _ZN9rocsolver6v33100L18trti2_kernel_smallILi2EdPdEEv13rocblas_fill_17rocblas_diagonal_T1_iil
		.amdhsa_group_segment_fixed_size 32
		.amdhsa_private_segment_fixed_size 0
		.amdhsa_kernarg_size 32
		.amdhsa_user_sgpr_count 6
		.amdhsa_user_sgpr_private_segment_buffer 1
		.amdhsa_user_sgpr_dispatch_ptr 0
		.amdhsa_user_sgpr_queue_ptr 0
		.amdhsa_user_sgpr_kernarg_segment_ptr 1
		.amdhsa_user_sgpr_dispatch_id 0
		.amdhsa_user_sgpr_flat_scratch_init 0
		.amdhsa_user_sgpr_kernarg_preload_length 0
		.amdhsa_user_sgpr_kernarg_preload_offset 0
		.amdhsa_user_sgpr_private_segment_size 0
		.amdhsa_uses_dynamic_stack 0
		.amdhsa_system_sgpr_private_segment_wavefront_offset 0
		.amdhsa_system_sgpr_workgroup_id_x 1
		.amdhsa_system_sgpr_workgroup_id_y 0
		.amdhsa_system_sgpr_workgroup_id_z 0
		.amdhsa_system_sgpr_workgroup_info 0
		.amdhsa_system_vgpr_workitem_id 0
		.amdhsa_next_free_vgpr 20
		.amdhsa_next_free_sgpr 16
		.amdhsa_accum_offset 20
		.amdhsa_reserve_vcc 1
		.amdhsa_reserve_flat_scratch 0
		.amdhsa_float_round_mode_32 0
		.amdhsa_float_round_mode_16_64 0
		.amdhsa_float_denorm_mode_32 3
		.amdhsa_float_denorm_mode_16_64 3
		.amdhsa_dx10_clamp 1
		.amdhsa_ieee_mode 1
		.amdhsa_fp16_overflow 0
		.amdhsa_tg_split 0
		.amdhsa_exception_fp_ieee_invalid_op 0
		.amdhsa_exception_fp_denorm_src 0
		.amdhsa_exception_fp_ieee_div_zero 0
		.amdhsa_exception_fp_ieee_overflow 0
		.amdhsa_exception_fp_ieee_underflow 0
		.amdhsa_exception_fp_ieee_inexact 0
		.amdhsa_exception_int_div_zero 0
	.end_amdhsa_kernel
	.section	.text._ZN9rocsolver6v33100L18trti2_kernel_smallILi2EdPdEEv13rocblas_fill_17rocblas_diagonal_T1_iil,"axG",@progbits,_ZN9rocsolver6v33100L18trti2_kernel_smallILi2EdPdEEv13rocblas_fill_17rocblas_diagonal_T1_iil,comdat
.Lfunc_end1:
	.size	_ZN9rocsolver6v33100L18trti2_kernel_smallILi2EdPdEEv13rocblas_fill_17rocblas_diagonal_T1_iil, .Lfunc_end1-_ZN9rocsolver6v33100L18trti2_kernel_smallILi2EdPdEEv13rocblas_fill_17rocblas_diagonal_T1_iil
                                        ; -- End function
	.section	.AMDGPU.csdata,"",@progbits
; Kernel info:
; codeLenInByte = 652
; NumSgprs: 20
; NumVgprs: 20
; NumAgprs: 0
; TotalNumVgprs: 20
; ScratchSize: 0
; MemoryBound: 0
; FloatMode: 240
; IeeeMode: 1
; LDSByteSize: 32 bytes/workgroup (compile time only)
; SGPRBlocks: 2
; VGPRBlocks: 2
; NumSGPRsForWavesPerEU: 20
; NumVGPRsForWavesPerEU: 20
; AccumOffset: 20
; Occupancy: 8
; WaveLimiterHint : 0
; COMPUTE_PGM_RSRC2:SCRATCH_EN: 0
; COMPUTE_PGM_RSRC2:USER_SGPR: 6
; COMPUTE_PGM_RSRC2:TRAP_HANDLER: 0
; COMPUTE_PGM_RSRC2:TGID_X_EN: 1
; COMPUTE_PGM_RSRC2:TGID_Y_EN: 0
; COMPUTE_PGM_RSRC2:TGID_Z_EN: 0
; COMPUTE_PGM_RSRC2:TIDIG_COMP_CNT: 0
; COMPUTE_PGM_RSRC3_GFX90A:ACCUM_OFFSET: 4
; COMPUTE_PGM_RSRC3_GFX90A:TG_SPLIT: 0
	.section	.text._ZN9rocsolver6v33100L18trti2_kernel_smallILi3EdPdEEv13rocblas_fill_17rocblas_diagonal_T1_iil,"axG",@progbits,_ZN9rocsolver6v33100L18trti2_kernel_smallILi3EdPdEEv13rocblas_fill_17rocblas_diagonal_T1_iil,comdat
	.globl	_ZN9rocsolver6v33100L18trti2_kernel_smallILi3EdPdEEv13rocblas_fill_17rocblas_diagonal_T1_iil ; -- Begin function _ZN9rocsolver6v33100L18trti2_kernel_smallILi3EdPdEEv13rocblas_fill_17rocblas_diagonal_T1_iil
	.p2align	8
	.type	_ZN9rocsolver6v33100L18trti2_kernel_smallILi3EdPdEEv13rocblas_fill_17rocblas_diagonal_T1_iil,@function
_ZN9rocsolver6v33100L18trti2_kernel_smallILi3EdPdEEv13rocblas_fill_17rocblas_diagonal_T1_iil: ; @_ZN9rocsolver6v33100L18trti2_kernel_smallILi3EdPdEEv13rocblas_fill_17rocblas_diagonal_T1_iil
; %bb.0:
	v_cmp_gt_u32_e32 vcc, 3, v0
	s_and_saveexec_b64 s[0:1], vcc
	s_cbranch_execz .LBB2_34
; %bb.1:
	s_load_dwordx8 s[8:15], s[4:5], 0x0
	s_ashr_i32 s2, s6, 31
	v_lshlrev_b32_e32 v1, 3, v0
	v_mov_b32_e32 v8, 0
	v_mov_b32_e32 v9, 0xbff00000
	s_waitcnt lgkmcnt(0)
	s_mul_i32 s3, s6, s15
	s_mul_hi_u32 s4, s6, s14
	s_add_i32 s3, s4, s3
	s_mul_i32 s2, s2, s14
	s_add_i32 s3, s3, s2
	s_mul_i32 s2, s6, s14
	s_ashr_i32 s1, s12, 31
	s_lshl_b64 s[2:3], s[2:3], 3
	s_mov_b32 s0, s12
	s_add_u32 s2, s10, s2
	s_addc_u32 s3, s11, s3
	s_lshl_b64 s[0:1], s[0:1], 3
	s_add_u32 s0, s2, s0
	s_addc_u32 s1, s3, s1
	v_mov_b32_e32 v2, s1
	v_add_co_u32_e32 v14, vcc, s0, v1
	s_ashr_i32 s3, s13, 31
	s_mov_b32 s2, s13
	v_addc_co_u32_e32 v15, vcc, 0, v2, vcc
	s_lshl_b64 s[2:3], s[2:3], 3
	v_mov_b32_e32 v2, s3
	v_add_co_u32_e32 v16, vcc, s2, v14
	s_add_i32 s2, s13, s13
	v_addc_co_u32_e32 v17, vcc, v15, v2, vcc
	v_add_u32_e32 v2, s2, v0
	v_ashrrev_i32_e32 v3, 31, v2
	v_lshlrev_b64 v[2:3], 3, v[2:3]
	v_mov_b32_e32 v6, s1
	v_add_co_u32_e32 v18, vcc, s0, v2
	global_load_dwordx2 v[4:5], v[16:17], off
	v_addc_co_u32_e32 v19, vcc, v6, v3, vcc
	global_load_dwordx2 v[2:3], v1, s[0:1]
	global_load_dwordx2 v[6:7], v[18:19], off
	s_cmpk_lg_i32 s9, 0x84
	s_cselect_b64 s[6:7], -1, 0
	s_cmpk_eq_i32 s9, 0x84
	v_cmp_eq_u32_e64 s[0:1], 0, v0
	s_cbranch_scc1 .LBB2_3
; %bb.2:
	v_cmp_eq_u32_e64 s[2:3], 1, v0
	s_waitcnt vmcnt(1)
	v_cndmask_b32_e64 v8, v3, v5, s[2:3]
	v_cmp_eq_u32_e64 s[4:5], 2, v0
	s_waitcnt vmcnt(0)
	v_cndmask_b32_e64 v9, v8, v7, s[4:5]
	v_cndmask_b32_e64 v8, v2, v4, s[2:3]
	;; [unrolled: 1-line block ×3, first 2 shown]
	v_div_scale_f64 v[10:11], s[10:11], v[8:9], v[8:9], 1.0
	v_rcp_f64_e32 v[12:13], v[10:11]
	v_fma_f64 v[20:21], -v[10:11], v[12:13], 1.0
	v_fmac_f64_e32 v[12:13], v[12:13], v[20:21]
	v_fma_f64 v[20:21], -v[10:11], v[12:13], 1.0
	v_fmac_f64_e32 v[12:13], v[12:13], v[20:21]
	v_div_scale_f64 v[20:21], vcc, 1.0, v[8:9], 1.0
	v_mul_f64 v[22:23], v[20:21], v[12:13]
	v_fma_f64 v[10:11], -v[10:11], v[22:23], v[20:21]
	s_nop 1
	v_div_fmas_f64 v[10:11], v[10:11], v[12:13], v[22:23]
	v_div_fixup_f64 v[8:9], v[10:11], v[8:9], 1.0
	v_cndmask_b32_e64 v7, v7, v9, s[4:5]
	v_cndmask_b32_e64 v6, v6, v8, s[4:5]
	v_cndmask_b32_e64 v5, v5, v9, s[2:3]
	v_cndmask_b32_e64 v4, v4, v8, s[2:3]
	v_cndmask_b32_e64 v3, v3, v9, s[0:1]
	v_cndmask_b32_e64 v2, v2, v8, s[0:1]
	v_xor_b32_e32 v9, 0x80000000, v9
.LBB2_3:
	ds_write_b64 v1, v[8:9]
	s_cmpk_eq_i32 s8, 0x79
	v_add_u32_e32 v1, 32, v1
	s_cbranch_scc1 .LBB2_7
; %bb.4:
	s_waitcnt vmcnt(0)
	v_pk_mov_b32 v[12:13], v[6:7], v[6:7] op_sel:[0,1]
	v_cmp_eq_u32_e64 s[0:1], 2, v0
	v_pk_mov_b32 v[10:11], v[4:5], v[4:5] op_sel:[0,1]
	v_pk_mov_b32 v[8:9], v[2:3], v[2:3] op_sel:[0,1]
	ds_write_b64 v1, v[4:5]
	s_waitcnt lgkmcnt(0)
	; wave barrier
	s_waitcnt lgkmcnt(0)
	s_and_saveexec_b64 s[4:5], s[0:1]
	s_cbranch_execz .LBB2_11
; %bb.5:
	s_and_b64 vcc, exec, s[6:7]
	s_cbranch_vccz .LBB2_8
; %bb.6:
	ds_read_b64 v[8:9], v1
	v_cmp_eq_u32_e32 vcc, 1, v0
	v_cndmask_b32_e32 v10, v3, v5, vcc
	v_cmp_eq_u32_e64 s[2:3], 2, v0
	v_cndmask_b32_e64 v11, v10, v7, s[2:3]
	v_cndmask_b32_e32 v10, v2, v4, vcc
	v_cndmask_b32_e64 v10, v10, v6, s[2:3]
	s_waitcnt lgkmcnt(0)
	v_mul_f64 v[20:21], v[10:11], v[8:9]
	s_cbranch_execz .LBB2_9
	s_branch .LBB2_10
.LBB2_7:
                                        ; implicit-def: $vgpr8_vgpr9_vgpr10_vgpr11_vgpr12_vgpr13
	s_cbranch_execnz .LBB2_18
	s_branch .LBB2_33
.LBB2_8:
                                        ; implicit-def: $vgpr20_vgpr21
.LBB2_9:
	ds_read_b64 v[20:21], v1
.LBB2_10:
	v_mov_b32_e32 v8, 0
	ds_read_b64 v[22:23], v8 offset:8
	v_pk_mov_b32 v[12:13], v[6:7], v[6:7] op_sel:[0,1]
	v_pk_mov_b32 v[10:11], v[4:5], v[4:5] op_sel:[0,1]
	v_pk_mov_b32 v[8:9], v[2:3], v[2:3] op_sel:[0,1]
	s_waitcnt lgkmcnt(0)
	v_mul_f64 v[10:11], v[20:21], v[22:23]
.LBB2_11:
	s_or_b64 exec, exec, s[4:5]
	v_cmp_ne_u32_e32 vcc, 0, v0
	ds_write_b64 v1, v[8:9]
	s_waitcnt lgkmcnt(0)
	; wave barrier
	s_waitcnt lgkmcnt(0)
	s_and_saveexec_b64 s[4:5], vcc
	s_cbranch_execz .LBB2_17
; %bb.12:
	s_andn2_b64 vcc, exec, s[6:7]
	s_cbranch_vccnz .LBB2_14
; %bb.13:
	ds_read_b64 v[20:21], v1
	v_cmp_eq_u32_e32 vcc, 1, v0
	v_cndmask_b32_e32 v9, v9, v11, vcc
	v_cmp_eq_u32_e64 s[2:3], 2, v0
	v_cndmask_b32_e32 v8, v8, v10, vcc
	v_cndmask_b32_e64 v9, v9, v13, s[2:3]
	v_cndmask_b32_e64 v8, v8, v12, s[2:3]
	s_waitcnt lgkmcnt(0)
	v_mul_f64 v[8:9], v[8:9], v[20:21]
	s_cbranch_execz .LBB2_15
	s_branch .LBB2_16
.LBB2_14:
                                        ; implicit-def: $vgpr8_vgpr9
.LBB2_15:
	ds_read_b64 v[8:9], v1
.LBB2_16:
	v_mov_b32_e32 v20, 0
	ds_read2_b64 v[20:23], v20 offset1:5
	s_waitcnt lgkmcnt(0)
	v_fma_f64 v[22:23], v[10:11], v[22:23], v[8:9]
	v_cndmask_b32_e64 v9, v9, v23, s[0:1]
	v_cndmask_b32_e64 v8, v8, v22, s[0:1]
	v_mul_f64 v[8:9], v[8:9], v[20:21]
.LBB2_17:
	s_or_b64 exec, exec, s[4:5]
	s_branch .LBB2_33
.LBB2_18:
	v_cmp_eq_u32_e64 s[0:1], 0, v0
	s_waitcnt vmcnt(2)
	ds_write_b64 v1, v[4:5]
	s_waitcnt lgkmcnt(0)
	; wave barrier
	s_waitcnt lgkmcnt(0)
	s_and_saveexec_b64 s[4:5], s[0:1]
	s_cbranch_execz .LBB2_24
; %bb.19:
	s_and_b64 vcc, exec, s[6:7]
	s_cbranch_vccz .LBB2_21
; %bb.20:
	ds_read_b64 v[8:9], v1
	v_cmp_eq_u32_e32 vcc, 1, v0
	s_waitcnt vmcnt(1)
	v_cndmask_b32_e32 v5, v3, v5, vcc
	v_cmp_eq_u32_e64 s[2:3], 2, v0
	v_cndmask_b32_e32 v4, v2, v4, vcc
	s_waitcnt vmcnt(0)
	v_cndmask_b32_e64 v5, v5, v7, s[2:3]
	v_cndmask_b32_e64 v4, v4, v6, s[2:3]
	s_waitcnt lgkmcnt(0)
	v_mul_f64 v[4:5], v[4:5], v[8:9]
	s_cbranch_execz .LBB2_22
	s_branch .LBB2_23
.LBB2_21:
                                        ; implicit-def: $vgpr4_vgpr5
.LBB2_22:
	ds_read_b64 v[4:5], v1
.LBB2_23:
	v_mov_b32_e32 v8, 0
	ds_read_b64 v[8:9], v8 offset:8
	s_waitcnt lgkmcnt(0)
	v_mul_f64 v[4:5], v[4:5], v[8:9]
.LBB2_24:
	s_or_b64 exec, exec, s[4:5]
	v_cmp_ne_u32_e32 vcc, 2, v0
	s_waitcnt vmcnt(0)
	ds_write_b64 v1, v[6:7]
	s_waitcnt lgkmcnt(0)
	; wave barrier
	s_waitcnt lgkmcnt(0)
	s_and_saveexec_b64 s[4:5], vcc
	s_cbranch_execz .LBB2_32
; %bb.25:
	s_andn2_b64 vcc, exec, s[6:7]
	s_cbranch_vccnz .LBB2_27
; %bb.26:
	ds_read_b64 v[8:9], v1
	v_cmp_eq_u32_e32 vcc, 1, v0
	v_cndmask_b32_e32 v10, v3, v5, vcc
	v_cmp_eq_u32_e64 s[2:3], 2, v0
	v_cndmask_b32_e64 v11, v10, v7, s[2:3]
	v_cndmask_b32_e32 v10, v2, v4, vcc
	v_cndmask_b32_e64 v10, v10, v6, s[2:3]
	s_waitcnt lgkmcnt(0)
	v_mul_f64 v[8:9], v[10:11], v[8:9]
	s_cbranch_execz .LBB2_28
	s_branch .LBB2_29
.LBB2_27:
                                        ; implicit-def: $vgpr8_vgpr9
.LBB2_28:
	ds_read_b64 v[8:9], v1
.LBB2_29:
	s_and_saveexec_b64 s[2:3], s[0:1]
	s_cbranch_execz .LBB2_31
; %bb.30:
	v_add_u32_e32 v10, 1, v0
	ds_read_b64 v[0:1], v1 offset:8
	v_cmp_eq_u32_e32 vcc, 1, v10
	v_cndmask_b32_e32 v11, v3, v5, vcc
	v_cmp_eq_u32_e64 s[0:1], 2, v10
	v_cndmask_b32_e32 v10, v2, v4, vcc
	v_cndmask_b32_e64 v7, v11, v7, s[0:1]
	v_cndmask_b32_e64 v6, v10, v6, s[0:1]
	s_waitcnt lgkmcnt(0)
	v_fmac_f64_e32 v[8:9], v[6:7], v[0:1]
.LBB2_31:
	s_or_b64 exec, exec, s[2:3]
	v_mov_b32_e32 v0, 0
	ds_read_b64 v[0:1], v0 offset:16
	s_waitcnt lgkmcnt(0)
	v_mul_f64 v[6:7], v[8:9], v[0:1]
.LBB2_32:
	s_or_b64 exec, exec, s[4:5]
	v_pk_mov_b32 v[12:13], v[6:7], v[6:7] op_sel:[0,1]
	v_pk_mov_b32 v[10:11], v[4:5], v[4:5] op_sel:[0,1]
	;; [unrolled: 1-line block ×3, first 2 shown]
.LBB2_33:
	global_store_dwordx2 v[14:15], v[8:9], off
	global_store_dwordx2 v[16:17], v[10:11], off
	global_store_dwordx2 v[18:19], v[12:13], off
.LBB2_34:
	s_endpgm
	.section	.rodata,"a",@progbits
	.p2align	6, 0x0
	.amdhsa_kernel _ZN9rocsolver6v33100L18trti2_kernel_smallILi3EdPdEEv13rocblas_fill_17rocblas_diagonal_T1_iil
		.amdhsa_group_segment_fixed_size 56
		.amdhsa_private_segment_fixed_size 0
		.amdhsa_kernarg_size 32
		.amdhsa_user_sgpr_count 6
		.amdhsa_user_sgpr_private_segment_buffer 1
		.amdhsa_user_sgpr_dispatch_ptr 0
		.amdhsa_user_sgpr_queue_ptr 0
		.amdhsa_user_sgpr_kernarg_segment_ptr 1
		.amdhsa_user_sgpr_dispatch_id 0
		.amdhsa_user_sgpr_flat_scratch_init 0
		.amdhsa_user_sgpr_kernarg_preload_length 0
		.amdhsa_user_sgpr_kernarg_preload_offset 0
		.amdhsa_user_sgpr_private_segment_size 0
		.amdhsa_uses_dynamic_stack 0
		.amdhsa_system_sgpr_private_segment_wavefront_offset 0
		.amdhsa_system_sgpr_workgroup_id_x 1
		.amdhsa_system_sgpr_workgroup_id_y 0
		.amdhsa_system_sgpr_workgroup_id_z 0
		.amdhsa_system_sgpr_workgroup_info 0
		.amdhsa_system_vgpr_workitem_id 0
		.amdhsa_next_free_vgpr 24
		.amdhsa_next_free_sgpr 16
		.amdhsa_accum_offset 24
		.amdhsa_reserve_vcc 1
		.amdhsa_reserve_flat_scratch 0
		.amdhsa_float_round_mode_32 0
		.amdhsa_float_round_mode_16_64 0
		.amdhsa_float_denorm_mode_32 3
		.amdhsa_float_denorm_mode_16_64 3
		.amdhsa_dx10_clamp 1
		.amdhsa_ieee_mode 1
		.amdhsa_fp16_overflow 0
		.amdhsa_tg_split 0
		.amdhsa_exception_fp_ieee_invalid_op 0
		.amdhsa_exception_fp_denorm_src 0
		.amdhsa_exception_fp_ieee_div_zero 0
		.amdhsa_exception_fp_ieee_overflow 0
		.amdhsa_exception_fp_ieee_underflow 0
		.amdhsa_exception_fp_ieee_inexact 0
		.amdhsa_exception_int_div_zero 0
	.end_amdhsa_kernel
	.section	.text._ZN9rocsolver6v33100L18trti2_kernel_smallILi3EdPdEEv13rocblas_fill_17rocblas_diagonal_T1_iil,"axG",@progbits,_ZN9rocsolver6v33100L18trti2_kernel_smallILi3EdPdEEv13rocblas_fill_17rocblas_diagonal_T1_iil,comdat
.Lfunc_end2:
	.size	_ZN9rocsolver6v33100L18trti2_kernel_smallILi3EdPdEEv13rocblas_fill_17rocblas_diagonal_T1_iil, .Lfunc_end2-_ZN9rocsolver6v33100L18trti2_kernel_smallILi3EdPdEEv13rocblas_fill_17rocblas_diagonal_T1_iil
                                        ; -- End function
	.section	.AMDGPU.csdata,"",@progbits
; Kernel info:
; codeLenInByte = 1204
; NumSgprs: 20
; NumVgprs: 24
; NumAgprs: 0
; TotalNumVgprs: 24
; ScratchSize: 0
; MemoryBound: 0
; FloatMode: 240
; IeeeMode: 1
; LDSByteSize: 56 bytes/workgroup (compile time only)
; SGPRBlocks: 2
; VGPRBlocks: 2
; NumSGPRsForWavesPerEU: 20
; NumVGPRsForWavesPerEU: 24
; AccumOffset: 24
; Occupancy: 8
; WaveLimiterHint : 0
; COMPUTE_PGM_RSRC2:SCRATCH_EN: 0
; COMPUTE_PGM_RSRC2:USER_SGPR: 6
; COMPUTE_PGM_RSRC2:TRAP_HANDLER: 0
; COMPUTE_PGM_RSRC2:TGID_X_EN: 1
; COMPUTE_PGM_RSRC2:TGID_Y_EN: 0
; COMPUTE_PGM_RSRC2:TGID_Z_EN: 0
; COMPUTE_PGM_RSRC2:TIDIG_COMP_CNT: 0
; COMPUTE_PGM_RSRC3_GFX90A:ACCUM_OFFSET: 5
; COMPUTE_PGM_RSRC3_GFX90A:TG_SPLIT: 0
	.section	.text._ZN9rocsolver6v33100L18trti2_kernel_smallILi4EdPdEEv13rocblas_fill_17rocblas_diagonal_T1_iil,"axG",@progbits,_ZN9rocsolver6v33100L18trti2_kernel_smallILi4EdPdEEv13rocblas_fill_17rocblas_diagonal_T1_iil,comdat
	.globl	_ZN9rocsolver6v33100L18trti2_kernel_smallILi4EdPdEEv13rocblas_fill_17rocblas_diagonal_T1_iil ; -- Begin function _ZN9rocsolver6v33100L18trti2_kernel_smallILi4EdPdEEv13rocblas_fill_17rocblas_diagonal_T1_iil
	.p2align	8
	.type	_ZN9rocsolver6v33100L18trti2_kernel_smallILi4EdPdEEv13rocblas_fill_17rocblas_diagonal_T1_iil,@function
_ZN9rocsolver6v33100L18trti2_kernel_smallILi4EdPdEEv13rocblas_fill_17rocblas_diagonal_T1_iil: ; @_ZN9rocsolver6v33100L18trti2_kernel_smallILi4EdPdEEv13rocblas_fill_17rocblas_diagonal_T1_iil
; %bb.0:
	v_cmp_gt_u32_e32 vcc, 4, v0
	s_and_saveexec_b64 s[0:1], vcc
	s_cbranch_execz .LBB3_58
; %bb.1:
	s_load_dwordx8 s[8:15], s[4:5], 0x0
	s_ashr_i32 s2, s6, 31
	v_lshlrev_b32_e32 v1, 3, v0
	v_mov_b32_e32 v10, 0
	v_mov_b32_e32 v11, 0xbff00000
	s_waitcnt lgkmcnt(0)
	s_mul_i32 s3, s6, s15
	s_mul_hi_u32 s4, s6, s14
	s_add_i32 s3, s4, s3
	s_mul_i32 s2, s2, s14
	s_add_i32 s3, s3, s2
	s_mul_i32 s2, s6, s14
	s_ashr_i32 s1, s12, 31
	s_lshl_b64 s[2:3], s[2:3], 3
	s_mov_b32 s0, s12
	s_add_u32 s2, s10, s2
	s_addc_u32 s3, s11, s3
	s_lshl_b64 s[0:1], s[0:1], 3
	s_add_u32 s0, s2, s0
	s_addc_u32 s1, s3, s1
	v_mov_b32_e32 v2, s1
	v_add_co_u32_e32 v18, vcc, s0, v1
	s_ashr_i32 s3, s13, 31
	s_mov_b32 s2, s13
	v_addc_co_u32_e32 v19, vcc, 0, v2, vcc
	s_lshl_b64 s[2:3], s[2:3], 3
	v_mov_b32_e32 v2, s3
	v_add_co_u32_e32 v20, vcc, s2, v18
	s_add_i32 s2, s13, s13
	v_addc_co_u32_e32 v21, vcc, v19, v2, vcc
	v_add_u32_e32 v2, s2, v0
	v_ashrrev_i32_e32 v3, 31, v2
	v_lshlrev_b64 v[4:5], 3, v[2:3]
	v_mov_b32_e32 v3, s1
	v_add_co_u32_e32 v22, vcc, s0, v4
	v_add_u32_e32 v2, s13, v2
	v_addc_co_u32_e32 v23, vcc, v3, v5, vcc
	v_ashrrev_i32_e32 v3, 31, v2
	v_lshlrev_b64 v[2:3], 3, v[2:3]
	v_mov_b32_e32 v8, s1
	v_add_co_u32_e32 v24, vcc, s0, v2
	global_load_dwordx2 v[4:5], v[20:21], off
	global_load_dwordx2 v[6:7], v[22:23], off
	v_addc_co_u32_e32 v25, vcc, v8, v3, vcc
	global_load_dwordx2 v[2:3], v1, s[0:1]
	global_load_dwordx2 v[8:9], v[24:25], off
	s_cmpk_lg_i32 s9, 0x84
	s_cselect_b64 s[10:11], -1, 0
	s_cmpk_eq_i32 s9, 0x84
	v_cmp_eq_u32_e64 s[0:1], 0, v0
	s_cbranch_scc1 .LBB3_3
; %bb.2:
	v_cmp_eq_u32_e64 s[2:3], 1, v0
	s_waitcnt vmcnt(1)
	v_cndmask_b32_e64 v10, v3, v5, s[2:3]
	v_cmp_eq_u32_e64 s[4:5], 2, v0
	v_cndmask_b32_e64 v10, v10, v7, s[4:5]
	v_cmp_eq_u32_e64 s[6:7], 3, v0
	s_waitcnt vmcnt(0)
	v_cndmask_b32_e64 v11, v10, v9, s[6:7]
	v_cndmask_b32_e64 v10, v2, v4, s[2:3]
	;; [unrolled: 1-line block ×4, first 2 shown]
	v_div_scale_f64 v[12:13], s[12:13], v[10:11], v[10:11], 1.0
	v_rcp_f64_e32 v[14:15], v[12:13]
	v_fma_f64 v[16:17], -v[12:13], v[14:15], 1.0
	v_fmac_f64_e32 v[14:15], v[14:15], v[16:17]
	v_fma_f64 v[16:17], -v[12:13], v[14:15], 1.0
	v_fmac_f64_e32 v[14:15], v[14:15], v[16:17]
	v_div_scale_f64 v[16:17], vcc, 1.0, v[10:11], 1.0
	v_mul_f64 v[26:27], v[16:17], v[14:15]
	v_fma_f64 v[12:13], -v[12:13], v[26:27], v[16:17]
	s_nop 1
	v_div_fmas_f64 v[12:13], v[12:13], v[14:15], v[26:27]
	v_div_fixup_f64 v[10:11], v[12:13], v[10:11], 1.0
	v_cndmask_b32_e64 v9, v9, v11, s[6:7]
	v_cndmask_b32_e64 v8, v8, v10, s[6:7]
	;; [unrolled: 1-line block ×8, first 2 shown]
	v_xor_b32_e32 v11, 0x80000000, v11
.LBB3_3:
	s_cmpk_eq_i32 s8, 0x79
	v_add_u32_e32 v29, 32, v1
	ds_write_b64 v1, v[10:11]
	s_cbranch_scc1 .LBB3_7
; %bb.4:
	s_waitcnt vmcnt(0)
	v_pk_mov_b32 v[16:17], v[8:9], v[8:9] op_sel:[0,1]
	v_cmp_eq_u32_e64 s[2:3], 3, v0
	v_pk_mov_b32 v[14:15], v[6:7], v[6:7] op_sel:[0,1]
	v_pk_mov_b32 v[12:13], v[4:5], v[4:5] op_sel:[0,1]
	;; [unrolled: 1-line block ×3, first 2 shown]
	ds_write_b64 v29, v[6:7]
	s_waitcnt lgkmcnt(0)
	; wave barrier
	s_waitcnt lgkmcnt(0)
	s_and_saveexec_b64 s[6:7], s[2:3]
	s_cbranch_execz .LBB3_11
; %bb.5:
	s_and_b64 vcc, exec, s[10:11]
	s_cbranch_vccz .LBB3_8
; %bb.6:
	v_cmp_eq_u32_e32 vcc, 1, v0
	v_cndmask_b32_e32 v1, v3, v5, vcc
	v_cmp_eq_u32_e64 s[0:1], 2, v0
	ds_read_b64 v[10:11], v29
	v_cndmask_b32_e64 v1, v1, v7, s[0:1]
	v_cmp_eq_u32_e64 s[4:5], 3, v0
	v_cndmask_b32_e64 v13, v1, v9, s[4:5]
	v_cndmask_b32_e32 v1, v2, v4, vcc
	v_cndmask_b32_e64 v1, v1, v6, s[0:1]
	v_cndmask_b32_e64 v12, v1, v8, s[4:5]
	s_waitcnt lgkmcnt(0)
	v_mul_f64 v[26:27], v[12:13], v[10:11]
	s_cbranch_execz .LBB3_9
	s_branch .LBB3_10
.LBB3_7:
                                        ; implicit-def: $vgpr10_vgpr11_vgpr12_vgpr13_vgpr14_vgpr15_vgpr16_vgpr17
	s_cbranch_execnz .LBB3_34
	s_branch .LBB3_57
.LBB3_8:
                                        ; implicit-def: $vgpr26_vgpr27
.LBB3_9:
	ds_read_b64 v[26:27], v29
.LBB3_10:
	v_mov_b32_e32 v1, 0
	ds_read_b64 v[30:31], v1 offset:16
	v_pk_mov_b32 v[16:17], v[8:9], v[8:9] op_sel:[0,1]
	v_pk_mov_b32 v[14:15], v[6:7], v[6:7] op_sel:[0,1]
	;; [unrolled: 1-line block ×4, first 2 shown]
	s_waitcnt lgkmcnt(0)
	v_mul_f64 v[14:15], v[26:27], v[30:31]
.LBB3_11:
	s_or_b64 exec, exec, s[6:7]
	v_cmp_lt_u32_e64 s[0:1], 1, v0
	ds_write_b64 v29, v[12:13]
	s_waitcnt lgkmcnt(0)
	; wave barrier
	s_waitcnt lgkmcnt(0)
	s_and_saveexec_b64 s[8:9], s[0:1]
	s_cbranch_execz .LBB3_17
; %bb.12:
	s_andn2_b64 vcc, exec, s[10:11]
	s_cbranch_vccnz .LBB3_14
; %bb.13:
	v_cmp_eq_u32_e32 vcc, 1, v0
	v_cndmask_b32_e32 v1, v11, v13, vcc
	v_cmp_eq_u32_e64 s[4:5], 2, v0
	ds_read_b64 v[26:27], v29
	v_cndmask_b32_e64 v1, v1, v15, s[4:5]
	v_cmp_eq_u32_e64 s[6:7], 3, v0
	v_cndmask_b32_e64 v13, v1, v17, s[6:7]
	v_cndmask_b32_e32 v1, v10, v12, vcc
	v_cndmask_b32_e64 v1, v1, v14, s[4:5]
	v_cndmask_b32_e64 v12, v1, v16, s[6:7]
	s_waitcnt lgkmcnt(0)
	v_mul_f64 v[12:13], v[12:13], v[26:27]
	s_cbranch_execz .LBB3_15
	s_branch .LBB3_16
.LBB3_14:
                                        ; implicit-def: $vgpr12_vgpr13
.LBB3_15:
	ds_read_b64 v[12:13], v29
.LBB3_16:
	v_mov_b32_e32 v1, 0
	ds_read2_b64 v[30:33], v1 offset0:1 offset1:6
	s_waitcnt lgkmcnt(0)
	v_fma_f64 v[26:27], v[14:15], v[32:33], v[12:13]
	v_cndmask_b32_e64 v13, v13, v27, s[2:3]
	v_cndmask_b32_e64 v12, v12, v26, s[2:3]
	v_mul_f64 v[12:13], v[12:13], v[30:31]
.LBB3_17:
	s_or_b64 exec, exec, s[8:9]
	v_cmp_ne_u32_e32 vcc, 0, v0
	ds_write_b64 v29, v[10:11]
	s_waitcnt lgkmcnt(0)
	; wave barrier
	s_waitcnt lgkmcnt(0)
	s_and_saveexec_b64 s[6:7], vcc
	s_cbranch_execz .LBB3_33
; %bb.18:
	s_andn2_b64 vcc, exec, s[10:11]
	s_cbranch_vccnz .LBB3_20
; %bb.19:
	v_cmp_eq_u32_e32 vcc, 1, v0
	v_cndmask_b32_e32 v1, v11, v13, vcc
	v_cmp_eq_u32_e64 s[2:3], 2, v0
	ds_read_b64 v[26:27], v29
	v_cndmask_b32_e64 v1, v1, v15, s[2:3]
	v_cmp_eq_u32_e64 s[4:5], 3, v0
	v_cndmask_b32_e64 v31, v1, v17, s[4:5]
	v_cndmask_b32_e32 v1, v10, v12, vcc
	v_cndmask_b32_e64 v1, v1, v14, s[2:3]
	v_cndmask_b32_e64 v30, v1, v16, s[4:5]
	s_waitcnt lgkmcnt(0)
	v_mul_f64 v[26:27], v[30:31], v[26:27]
	s_cbranch_execz .LBB3_21
	s_branch .LBB3_22
.LBB3_20:
                                        ; implicit-def: $vgpr26_vgpr27
.LBB3_21:
	ds_read_b64 v[26:27], v29
.LBB3_22:
	s_and_saveexec_b64 s[4:5], s[0:1]
	s_cbranch_execz .LBB3_32
; %bb.23:
	v_add_u32_e32 v28, -2, v0
	v_add_u32_e32 v1, -1, v0
	v_cmp_lt_u32_e32 vcc, 6, v28
	v_mov_b32_e32 v30, 1
	s_and_saveexec_b64 s[2:3], vcc
	s_cbranch_execz .LBB3_27
; %bb.24:
	v_and_b32_e32 v28, -8, v1
	v_sub_u32_e32 v28, 0, v28
	s_mov_b64 s[8:9], 8
	s_mov_b32 s14, 40
	s_mov_b64 s[12:13], 0
.LBB3_25:                               ; =>This Inner Loop Header: Depth=1
	s_add_i32 s15, s8, -7
	s_cmp_eq_u32 s15, 1
	s_cselect_b64 vcc, -1, 0
	s_cmp_eq_u32 s15, 2
	v_cndmask_b32_e32 v46, v11, v13, vcc
	s_cselect_b64 s[0:1], -1, 0
	s_cmp_eq_u32 s15, 3
	v_mov_b32_e32 v42, s14
	v_cndmask_b32_e64 v46, v46, v15, s[0:1]
	v_cndmask_b32_e32 v48, v10, v12, vcc
	s_cselect_b64 vcc, -1, 0
	s_add_i32 s15, s8, -6
	ds_read2_b64 v[30:33], v42 offset1:1
	ds_read2_b64 v[34:37], v42 offset0:2 offset1:3
	ds_read2_b64 v[38:41], v42 offset0:4 offset1:5
	;; [unrolled: 1-line block ×3, first 2 shown]
	v_cndmask_b32_e32 v47, v46, v17, vcc
	v_cndmask_b32_e64 v46, v48, v14, s[0:1]
	s_cmp_eq_u32 s15, 1
	v_cndmask_b32_e32 v46, v46, v16, vcc
	s_cselect_b64 vcc, -1, 0
	s_cmp_eq_u32 s15, 2
	s_waitcnt lgkmcnt(3)
	v_fmac_f64_e32 v[26:27], v[46:47], v[30:31]
	v_cndmask_b32_e32 v30, v11, v13, vcc
	s_cselect_b64 s[0:1], -1, 0
	s_cmp_eq_u32 s15, 3
	v_cndmask_b32_e64 v30, v30, v15, s[0:1]
	v_cndmask_b32_e32 v46, v10, v12, vcc
	s_cselect_b64 vcc, -1, 0
	s_add_i32 s15, s8, -5
	v_cndmask_b32_e32 v31, v30, v17, vcc
	v_cndmask_b32_e64 v30, v46, v14, s[0:1]
	s_cmp_eq_u32 s15, 1
	v_cndmask_b32_e32 v30, v30, v16, vcc
	s_cselect_b64 vcc, -1, 0
	s_cmp_eq_u32 s15, 2
	v_fmac_f64_e32 v[26:27], v[30:31], v[32:33]
	v_cndmask_b32_e32 v30, v11, v13, vcc
	s_cselect_b64 s[0:1], -1, 0
	s_cmp_eq_u32 s15, 3
	v_cndmask_b32_e64 v30, v30, v15, s[0:1]
	v_cndmask_b32_e32 v32, v10, v12, vcc
	s_cselect_b64 vcc, -1, 0
	s_add_i32 s15, s8, -4
	v_cndmask_b32_e32 v31, v30, v17, vcc
	v_cndmask_b32_e64 v30, v32, v14, s[0:1]
	s_cmp_eq_u32 s15, 1
	v_cndmask_b32_e32 v30, v30, v16, vcc
	s_cselect_b64 vcc, -1, 0
	s_cmp_eq_u32 s15, 2
	s_waitcnt lgkmcnt(2)
	v_fmac_f64_e32 v[26:27], v[30:31], v[34:35]
	v_cndmask_b32_e32 v30, v11, v13, vcc
	s_cselect_b64 s[0:1], -1, 0
	s_cmp_eq_u32 s15, 3
	v_cndmask_b32_e64 v30, v30, v15, s[0:1]
	v_cndmask_b32_e32 v32, v10, v12, vcc
	s_cselect_b64 vcc, -1, 0
	s_add_i32 s15, s8, -3
	v_cndmask_b32_e32 v31, v30, v17, vcc
	v_cndmask_b32_e64 v30, v32, v14, s[0:1]
	s_cmp_eq_u32 s15, 1
	v_cndmask_b32_e32 v30, v30, v16, vcc
	s_cselect_b64 vcc, -1, 0
	s_cmp_eq_u32 s15, 2
	v_fmac_f64_e32 v[26:27], v[30:31], v[36:37]
	v_cndmask_b32_e32 v30, v11, v13, vcc
	s_cselect_b64 s[0:1], -1, 0
	s_cmp_eq_u32 s15, 3
	v_cndmask_b32_e64 v30, v30, v15, s[0:1]
	v_cndmask_b32_e32 v32, v10, v12, vcc
	s_cselect_b64 vcc, -1, 0
	s_add_i32 s15, s8, -2
	v_cndmask_b32_e32 v31, v30, v17, vcc
	v_cndmask_b32_e64 v30, v32, v14, s[0:1]
	s_cmp_eq_u32 s15, 1
	v_cndmask_b32_e32 v30, v30, v16, vcc
	s_cselect_b64 vcc, -1, 0
	s_cmp_eq_u32 s15, 2
	s_waitcnt lgkmcnt(1)
	v_fmac_f64_e32 v[26:27], v[30:31], v[38:39]
	v_cndmask_b32_e32 v30, v11, v13, vcc
	s_cselect_b64 s[0:1], -1, 0
	s_cmp_eq_u32 s15, 3
	v_cndmask_b32_e64 v30, v30, v15, s[0:1]
	v_cndmask_b32_e32 v32, v10, v12, vcc
	s_cselect_b64 vcc, -1, 0
	s_add_i32 s15, s8, -1
	v_cndmask_b32_e32 v31, v30, v17, vcc
	v_cndmask_b32_e64 v30, v32, v14, s[0:1]
	s_cmp_eq_u32 s15, 1
	v_cndmask_b32_e32 v30, v30, v16, vcc
	s_cselect_b64 vcc, -1, 0
	s_cmp_eq_u32 s15, 2
	v_fmac_f64_e32 v[26:27], v[30:31], v[40:41]
	v_cndmask_b32_e32 v30, v11, v13, vcc
	s_cselect_b64 s[0:1], -1, 0
	s_cmp_eq_u32 s15, 3
	v_cndmask_b32_e64 v30, v30, v15, s[0:1]
	v_cndmask_b32_e32 v32, v10, v12, vcc
	s_cselect_b64 vcc, -1, 0
	v_cndmask_b32_e32 v31, v30, v17, vcc
	v_cndmask_b32_e64 v30, v32, v14, s[0:1]
	s_cmp_eq_u32 s8, 1
	v_cndmask_b32_e32 v30, v30, v16, vcc
	s_cselect_b64 vcc, -1, 0
	s_cmp_eq_u32 s8, 2
	v_cndmask_b32_e32 v32, v11, v13, vcc
	s_cselect_b64 s[0:1], -1, 0
	s_cmp_eq_u32 s8, 3
	s_waitcnt lgkmcnt(0)
	v_fmac_f64_e32 v[26:27], v[30:31], v[42:43]
	v_cndmask_b32_e64 v30, v32, v15, s[0:1]
	v_cndmask_b32_e32 v32, v10, v12, vcc
	s_cselect_b64 vcc, -1, 0
	s_add_u32 s8, s8, 8
	v_cndmask_b32_e32 v31, v30, v17, vcc
	v_cndmask_b32_e64 v30, v32, v14, s[0:1]
	v_add_u32_e32 v32, s8, v28
	v_cndmask_b32_e32 v30, v30, v16, vcc
	s_addc_u32 s9, s9, 0
	s_add_i32 s14, s14, 64
	s_add_i32 s0, s8, -7
	v_cmp_eq_u32_e32 vcc, 8, v32
	v_fmac_f64_e32 v[26:27], v[30:31], v[44:45]
	s_or_b64 s[12:13], vcc, s[12:13]
	v_mov_b32_e32 v30, s0
	s_andn2_b64 exec, exec, s[12:13]
	s_cbranch_execnz .LBB3_25
; %bb.26:
	s_or_b64 exec, exec, s[12:13]
.LBB3_27:
	s_or_b64 exec, exec, s[2:3]
	v_and_b32_e32 v28, 7, v1
	v_cmp_ne_u32_e32 vcc, 0, v28
	s_and_saveexec_b64 s[8:9], vcc
	s_cbranch_execz .LBB3_31
; %bb.28:
	v_lshl_add_u32 v31, v30, 3, 32
	v_mov_b32_e32 v1, 0
	s_mov_b64 s[12:13], 0
.LBB3_29:                               ; =>This Inner Loop Header: Depth=1
	v_cmp_eq_u32_e32 vcc, 1, v30
	ds_read_b64 v[32:33], v31
	v_cndmask_b32_e32 v34, v11, v13, vcc
	v_cmp_eq_u32_e64 s[0:1], 2, v30
	v_cndmask_b32_e64 v34, v34, v15, s[0:1]
	v_cmp_eq_u32_e64 s[2:3], 3, v30
	v_cndmask_b32_e32 v36, v10, v12, vcc
	v_add_co_u32_e32 v30, vcc, 1, v30
	v_add_u32_e32 v28, -1, v28
	v_addc_co_u32_e32 v1, vcc, 0, v1, vcc
	v_cndmask_b32_e64 v35, v34, v17, s[2:3]
	v_cndmask_b32_e64 v34, v36, v14, s[0:1]
	v_cmp_eq_u32_e32 vcc, 0, v28
	v_cndmask_b32_e64 v34, v34, v16, s[2:3]
	v_add_u32_e32 v31, 8, v31
	s_or_b64 s[12:13], vcc, s[12:13]
	s_waitcnt lgkmcnt(0)
	v_fmac_f64_e32 v[26:27], v[34:35], v[32:33]
	s_andn2_b64 exec, exec, s[12:13]
	s_cbranch_execnz .LBB3_29
; %bb.30:
	s_or_b64 exec, exec, s[12:13]
.LBB3_31:
	s_or_b64 exec, exec, s[8:9]
.LBB3_32:
	s_or_b64 exec, exec, s[4:5]
	v_mov_b32_e32 v1, 0
	ds_read_b64 v[10:11], v1
	s_waitcnt lgkmcnt(0)
	v_mul_f64 v[10:11], v[26:27], v[10:11]
.LBB3_33:
	s_or_b64 exec, exec, s[6:7]
	s_branch .LBB3_57
.LBB3_34:
	v_cmp_eq_u32_e64 s[0:1], 0, v0
	s_waitcnt vmcnt(3)
	ds_write_b64 v29, v[4:5]
	s_waitcnt lgkmcnt(0)
	; wave barrier
	s_waitcnt lgkmcnt(0)
	s_and_saveexec_b64 s[6:7], s[0:1]
	s_cbranch_execz .LBB3_40
; %bb.35:
	s_and_b64 vcc, exec, s[10:11]
	s_cbranch_vccz .LBB3_37
; %bb.36:
	v_cmp_eq_u32_e32 vcc, 1, v0
	s_waitcnt vmcnt(1)
	v_cndmask_b32_e32 v1, v3, v5, vcc
	v_cmp_eq_u32_e64 s[2:3], 2, v0
	ds_read_b64 v[10:11], v29
	v_cndmask_b32_e64 v1, v1, v7, s[2:3]
	v_cmp_eq_u32_e64 s[4:5], 3, v0
	s_waitcnt vmcnt(0)
	v_cndmask_b32_e64 v5, v1, v9, s[4:5]
	v_cndmask_b32_e32 v1, v2, v4, vcc
	v_cndmask_b32_e64 v1, v1, v6, s[2:3]
	v_cndmask_b32_e64 v4, v1, v8, s[4:5]
	s_waitcnt lgkmcnt(0)
	v_mul_f64 v[4:5], v[4:5], v[10:11]
	s_cbranch_execz .LBB3_38
	s_branch .LBB3_39
.LBB3_37:
                                        ; implicit-def: $vgpr4_vgpr5
.LBB3_38:
	ds_read_b64 v[4:5], v29
.LBB3_39:
	v_mov_b32_e32 v1, 0
	ds_read_b64 v[10:11], v1 offset:8
	s_waitcnt lgkmcnt(0)
	v_mul_f64 v[4:5], v[4:5], v[10:11]
.LBB3_40:
	s_or_b64 exec, exec, s[6:7]
	v_cndmask_b32_e64 v1, 0, 1, s[10:11]
	v_add_u32_e32 v12, 1, v0
	v_cmp_gt_u32_e64 s[2:3], 2, v0
	v_cmp_ne_u32_e64 s[4:5], 1, v1
	s_waitcnt vmcnt(2)
	ds_write_b64 v29, v[6:7]
	s_waitcnt lgkmcnt(0)
	; wave barrier
	s_waitcnt lgkmcnt(0)
	s_and_saveexec_b64 s[10:11], s[2:3]
	s_cbranch_execz .LBB3_48
; %bb.41:
	s_and_b64 vcc, exec, s[4:5]
	s_cbranch_vccnz .LBB3_43
; %bb.42:
	v_cmp_eq_u32_e32 vcc, 1, v0
	s_waitcnt vmcnt(1)
	v_cndmask_b32_e32 v1, v3, v5, vcc
	v_cmp_eq_u32_e64 s[6:7], 2, v0
	ds_read_b64 v[10:11], v29
	v_cndmask_b32_e64 v1, v1, v7, s[6:7]
	v_cmp_eq_u32_e64 s[8:9], 3, v0
	s_waitcnt vmcnt(0)
	v_cndmask_b32_e64 v15, v1, v9, s[8:9]
	v_cndmask_b32_e32 v1, v2, v4, vcc
	v_cndmask_b32_e64 v1, v1, v6, s[6:7]
	v_cndmask_b32_e64 v14, v1, v8, s[8:9]
	s_waitcnt lgkmcnt(0)
	v_mul_f64 v[10:11], v[14:15], v[10:11]
	s_cbranch_execz .LBB3_44
	s_branch .LBB3_45
.LBB3_43:
                                        ; implicit-def: $vgpr10_vgpr11
.LBB3_44:
	ds_read_b64 v[10:11], v29
.LBB3_45:
	s_and_saveexec_b64 s[12:13], s[0:1]
	s_cbranch_execz .LBB3_47
; %bb.46:
	v_cmp_eq_u32_e32 vcc, 1, v12
	s_waitcnt vmcnt(1)
	v_cndmask_b32_e32 v1, v3, v5, vcc
	v_cmp_eq_u32_e64 s[6:7], 2, v12
	ds_read_b64 v[14:15], v29 offset:8
	v_cndmask_b32_e64 v1, v1, v7, s[6:7]
	v_cmp_eq_u32_e64 s[8:9], 3, v12
	s_waitcnt vmcnt(0)
	v_cndmask_b32_e64 v7, v1, v9, s[8:9]
	v_cndmask_b32_e32 v1, v2, v4, vcc
	v_cndmask_b32_e64 v1, v1, v6, s[6:7]
	v_cndmask_b32_e64 v6, v1, v8, s[8:9]
	s_waitcnt lgkmcnt(0)
	v_fmac_f64_e32 v[10:11], v[6:7], v[14:15]
.LBB3_47:
	s_or_b64 exec, exec, s[12:13]
	v_mov_b32_e32 v1, 0
	ds_read_b64 v[6:7], v1 offset:16
	s_waitcnt lgkmcnt(0)
	v_mul_f64 v[6:7], v[10:11], v[6:7]
.LBB3_48:
	s_or_b64 exec, exec, s[10:11]
	v_cmp_ne_u32_e32 vcc, 3, v0
	s_waitcnt vmcnt(0)
	ds_write_b64 v29, v[8:9]
	s_waitcnt lgkmcnt(0)
	; wave barrier
	s_waitcnt lgkmcnt(0)
	s_and_saveexec_b64 s[8:9], vcc
	s_cbranch_execz .LBB3_56
; %bb.49:
	s_and_b64 vcc, exec, s[4:5]
	s_cbranch_vccnz .LBB3_51
; %bb.50:
	ds_read_b64 v[10:11], v29
	v_cmp_eq_u32_e32 vcc, 1, v0
	v_cndmask_b32_e32 v1, v3, v5, vcc
	v_cmp_eq_u32_e64 s[4:5], 2, v0
	v_cmp_eq_u32_e64 s[6:7], 3, v0
	v_cndmask_b32_e32 v0, v2, v4, vcc
	v_cndmask_b32_e64 v1, v1, v7, s[4:5]
	v_cndmask_b32_e64 v0, v0, v6, s[4:5]
	;; [unrolled: 1-line block ×4, first 2 shown]
	s_waitcnt lgkmcnt(0)
	v_mul_f64 v[0:1], v[0:1], v[10:11]
	s_cbranch_execz .LBB3_52
	s_branch .LBB3_53
.LBB3_51:
                                        ; implicit-def: $vgpr0_vgpr1
.LBB3_52:
	ds_read_b64 v[0:1], v29
.LBB3_53:
	s_and_saveexec_b64 s[6:7], s[2:3]
	s_cbranch_execz .LBB3_55
; %bb.54:
	v_cmp_eq_u32_e32 vcc, 1, v12
	v_cndmask_b32_e32 v10, v3, v5, vcc
	v_cmp_eq_u32_e64 s[2:3], 2, v12
	v_cndmask_b32_e64 v10, v10, v7, s[2:3]
	v_cmp_eq_u32_e64 s[4:5], 3, v12
	v_mov_b32_e32 v12, 0
	v_cndmask_b32_e64 v9, v10, v9, s[4:5]
	ds_read_b64 v[10:11], v29 offset:8
	ds_read_b64 v[12:13], v12 offset:48
	v_cndmask_b32_e32 v14, v2, v4, vcc
	v_cndmask_b32_e64 v14, v14, v6, s[2:3]
	v_cndmask_b32_e64 v8, v14, v8, s[4:5]
	s_waitcnt lgkmcnt(1)
	v_fmac_f64_e32 v[0:1], v[8:9], v[10:11]
	s_waitcnt lgkmcnt(0)
	v_fma_f64 v[8:9], v[6:7], v[12:13], v[0:1]
	v_cndmask_b32_e64 v1, v1, v9, s[0:1]
	v_cndmask_b32_e64 v0, v0, v8, s[0:1]
.LBB3_55:
	s_or_b64 exec, exec, s[6:7]
	v_mov_b32_e32 v8, 0
	ds_read_b64 v[8:9], v8 offset:24
	s_waitcnt lgkmcnt(0)
	v_mul_f64 v[8:9], v[0:1], v[8:9]
.LBB3_56:
	s_or_b64 exec, exec, s[8:9]
	v_pk_mov_b32 v[16:17], v[8:9], v[8:9] op_sel:[0,1]
	v_pk_mov_b32 v[14:15], v[6:7], v[6:7] op_sel:[0,1]
	;; [unrolled: 1-line block ×4, first 2 shown]
.LBB3_57:
	global_store_dwordx2 v[18:19], v[10:11], off
	global_store_dwordx2 v[20:21], v[12:13], off
	;; [unrolled: 1-line block ×4, first 2 shown]
.LBB3_58:
	s_endpgm
	.section	.rodata,"a",@progbits
	.p2align	6, 0x0
	.amdhsa_kernel _ZN9rocsolver6v33100L18trti2_kernel_smallILi4EdPdEEv13rocblas_fill_17rocblas_diagonal_T1_iil
		.amdhsa_group_segment_fixed_size 64
		.amdhsa_private_segment_fixed_size 0
		.amdhsa_kernarg_size 32
		.amdhsa_user_sgpr_count 6
		.amdhsa_user_sgpr_private_segment_buffer 1
		.amdhsa_user_sgpr_dispatch_ptr 0
		.amdhsa_user_sgpr_queue_ptr 0
		.amdhsa_user_sgpr_kernarg_segment_ptr 1
		.amdhsa_user_sgpr_dispatch_id 0
		.amdhsa_user_sgpr_flat_scratch_init 0
		.amdhsa_user_sgpr_kernarg_preload_length 0
		.amdhsa_user_sgpr_kernarg_preload_offset 0
		.amdhsa_user_sgpr_private_segment_size 0
		.amdhsa_uses_dynamic_stack 0
		.amdhsa_system_sgpr_private_segment_wavefront_offset 0
		.amdhsa_system_sgpr_workgroup_id_x 1
		.amdhsa_system_sgpr_workgroup_id_y 0
		.amdhsa_system_sgpr_workgroup_id_z 0
		.amdhsa_system_sgpr_workgroup_info 0
		.amdhsa_system_vgpr_workitem_id 0
		.amdhsa_next_free_vgpr 49
		.amdhsa_next_free_sgpr 16
		.amdhsa_accum_offset 52
		.amdhsa_reserve_vcc 1
		.amdhsa_reserve_flat_scratch 0
		.amdhsa_float_round_mode_32 0
		.amdhsa_float_round_mode_16_64 0
		.amdhsa_float_denorm_mode_32 3
		.amdhsa_float_denorm_mode_16_64 3
		.amdhsa_dx10_clamp 1
		.amdhsa_ieee_mode 1
		.amdhsa_fp16_overflow 0
		.amdhsa_tg_split 0
		.amdhsa_exception_fp_ieee_invalid_op 0
		.amdhsa_exception_fp_denorm_src 0
		.amdhsa_exception_fp_ieee_div_zero 0
		.amdhsa_exception_fp_ieee_overflow 0
		.amdhsa_exception_fp_ieee_underflow 0
		.amdhsa_exception_fp_ieee_inexact 0
		.amdhsa_exception_int_div_zero 0
	.end_amdhsa_kernel
	.section	.text._ZN9rocsolver6v33100L18trti2_kernel_smallILi4EdPdEEv13rocblas_fill_17rocblas_diagonal_T1_iil,"axG",@progbits,_ZN9rocsolver6v33100L18trti2_kernel_smallILi4EdPdEEv13rocblas_fill_17rocblas_diagonal_T1_iil,comdat
.Lfunc_end3:
	.size	_ZN9rocsolver6v33100L18trti2_kernel_smallILi4EdPdEEv13rocblas_fill_17rocblas_diagonal_T1_iil, .Lfunc_end3-_ZN9rocsolver6v33100L18trti2_kernel_smallILi4EdPdEEv13rocblas_fill_17rocblas_diagonal_T1_iil
                                        ; -- End function
	.section	.AMDGPU.csdata,"",@progbits
; Kernel info:
; codeLenInByte = 2736
; NumSgprs: 20
; NumVgprs: 49
; NumAgprs: 0
; TotalNumVgprs: 49
; ScratchSize: 0
; MemoryBound: 0
; FloatMode: 240
; IeeeMode: 1
; LDSByteSize: 64 bytes/workgroup (compile time only)
; SGPRBlocks: 2
; VGPRBlocks: 6
; NumSGPRsForWavesPerEU: 20
; NumVGPRsForWavesPerEU: 49
; AccumOffset: 52
; Occupancy: 8
; WaveLimiterHint : 0
; COMPUTE_PGM_RSRC2:SCRATCH_EN: 0
; COMPUTE_PGM_RSRC2:USER_SGPR: 6
; COMPUTE_PGM_RSRC2:TRAP_HANDLER: 0
; COMPUTE_PGM_RSRC2:TGID_X_EN: 1
; COMPUTE_PGM_RSRC2:TGID_Y_EN: 0
; COMPUTE_PGM_RSRC2:TGID_Z_EN: 0
; COMPUTE_PGM_RSRC2:TIDIG_COMP_CNT: 0
; COMPUTE_PGM_RSRC3_GFX90A:ACCUM_OFFSET: 12
; COMPUTE_PGM_RSRC3_GFX90A:TG_SPLIT: 0
	.section	.text._ZN9rocsolver6v33100L18trti2_kernel_smallILi5EdPdEEv13rocblas_fill_17rocblas_diagonal_T1_iil,"axG",@progbits,_ZN9rocsolver6v33100L18trti2_kernel_smallILi5EdPdEEv13rocblas_fill_17rocblas_diagonal_T1_iil,comdat
	.globl	_ZN9rocsolver6v33100L18trti2_kernel_smallILi5EdPdEEv13rocblas_fill_17rocblas_diagonal_T1_iil ; -- Begin function _ZN9rocsolver6v33100L18trti2_kernel_smallILi5EdPdEEv13rocblas_fill_17rocblas_diagonal_T1_iil
	.p2align	8
	.type	_ZN9rocsolver6v33100L18trti2_kernel_smallILi5EdPdEEv13rocblas_fill_17rocblas_diagonal_T1_iil,@function
_ZN9rocsolver6v33100L18trti2_kernel_smallILi5EdPdEEv13rocblas_fill_17rocblas_diagonal_T1_iil: ; @_ZN9rocsolver6v33100L18trti2_kernel_smallILi5EdPdEEv13rocblas_fill_17rocblas_diagonal_T1_iil
; %bb.0:
	v_cmp_gt_u32_e32 vcc, 5, v0
	s_and_saveexec_b64 s[0:1], vcc
	s_cbranch_execz .LBB4_84
; %bb.1:
	s_load_dwordx8 s[12:19], s[4:5], 0x0
	s_ashr_i32 s2, s6, 31
	v_lshlrev_b32_e32 v20, 3, v0
	v_mov_b32_e32 v18, 0
	v_mov_b32_e32 v19, 0xbff00000
	s_waitcnt lgkmcnt(0)
	s_mul_i32 s3, s6, s19
	s_mul_hi_u32 s4, s6, s18
	s_add_i32 s3, s4, s3
	s_mul_i32 s2, s2, s18
	s_add_i32 s3, s3, s2
	s_mul_i32 s2, s6, s18
	s_ashr_i32 s1, s16, 31
	s_lshl_b64 s[2:3], s[2:3], 3
	s_mov_b32 s0, s16
	s_add_u32 s2, s14, s2
	s_addc_u32 s3, s15, s3
	s_lshl_b64 s[0:1], s[0:1], 3
	s_add_u32 s0, s2, s0
	s_addc_u32 s1, s3, s1
	v_mov_b32_e32 v1, s1
	v_add_co_u32_e32 v34, vcc, s0, v20
	s_ashr_i32 s3, s17, 31
	s_mov_b32 s2, s17
	v_addc_co_u32_e32 v35, vcc, 0, v1, vcc
	s_lshl_b64 s[2:3], s[2:3], 3
	v_add_co_u32_e32 v36, vcc, s2, v34
	s_add_i32 s2, s17, s17
	v_add_u32_e32 v4, s2, v0
	v_mov_b32_e32 v1, s3
	v_ashrrev_i32_e32 v5, 31, v4
	v_addc_co_u32_e32 v37, vcc, v35, v1, vcc
	v_lshlrev_b64 v[6:7], 3, v[4:5]
	v_add_u32_e32 v4, s17, v4
	v_mov_b32_e32 v1, s1
	v_add_co_u32_e32 v38, vcc, s0, v6
	v_ashrrev_i32_e32 v5, 31, v4
	v_addc_co_u32_e32 v39, vcc, v1, v7, vcc
	v_lshlrev_b64 v[6:7], 3, v[4:5]
	v_add_u32_e32 v4, s17, v4
	v_add_co_u32_e32 v40, vcc, s0, v6
	v_ashrrev_i32_e32 v5, 31, v4
	v_addc_co_u32_e32 v41, vcc, v1, v7, vcc
	v_lshlrev_b64 v[4:5], 3, v[4:5]
	v_add_co_u32_e32 v42, vcc, s0, v4
	global_load_dwordx2 v[2:3], v20, s[0:1]
	v_addc_co_u32_e32 v43, vcc, v1, v5, vcc
	global_load_dwordx2 v[4:5], v[36:37], off
	global_load_dwordx2 v[6:7], v[38:39], off
	;; [unrolled: 1-line block ×4, first 2 shown]
	s_cmpk_lg_i32 s13, 0x84
	v_mov_b32_e32 v1, 0
	s_cselect_b64 s[10:11], -1, 0
	s_cmpk_eq_i32 s13, 0x84
	v_cmp_eq_u32_e64 s[0:1], 0, v0
	s_cbranch_scc1 .LBB4_3
; %bb.2:
	v_cmp_eq_u32_e64 s[2:3], 1, v0
	s_waitcnt vmcnt(3)
	v_cndmask_b32_e64 v12, v3, v5, s[2:3]
	v_cmp_eq_u32_e64 s[4:5], 2, v0
	s_waitcnt vmcnt(2)
	v_cndmask_b32_e64 v12, v12, v7, s[4:5]
	;; [unrolled: 3-line block ×4, first 2 shown]
	v_cndmask_b32_e64 v12, v2, v4, s[2:3]
	v_cndmask_b32_e64 v12, v12, v6, s[4:5]
	;; [unrolled: 1-line block ×4, first 2 shown]
	v_div_scale_f64 v[14:15], s[14:15], v[12:13], v[12:13], 1.0
	v_rcp_f64_e32 v[16:17], v[14:15]
	v_fma_f64 v[18:19], -v[14:15], v[16:17], 1.0
	v_fmac_f64_e32 v[16:17], v[16:17], v[18:19]
	v_fma_f64 v[18:19], -v[14:15], v[16:17], 1.0
	v_fmac_f64_e32 v[16:17], v[16:17], v[18:19]
	v_div_scale_f64 v[18:19], vcc, 1.0, v[12:13], 1.0
	v_mul_f64 v[22:23], v[18:19], v[16:17]
	v_fma_f64 v[14:15], -v[14:15], v[22:23], v[18:19]
	s_nop 1
	v_div_fmas_f64 v[14:15], v[14:15], v[16:17], v[22:23]
	v_div_fixup_f64 v[18:19], v[14:15], v[12:13], 1.0
	v_cndmask_b32_e64 v11, v11, v19, s[8:9]
	v_cndmask_b32_e64 v10, v10, v18, s[8:9]
	;; [unrolled: 1-line block ×10, first 2 shown]
	v_xor_b32_e32 v19, 0x80000000, v19
.LBB4_3:
	s_cmpk_eq_i32 s12, 0x79
	v_add_u32_e32 v44, 48, v20
	ds_write_b64 v20, v[18:19]
	s_cbranch_scc1 .LBB4_7
; %bb.4:
	s_waitcnt vmcnt(0)
	v_pk_mov_b32 v[32:33], v[16:17], v[16:17] op_sel:[0,1]
	v_cmp_eq_u32_e64 s[0:1], 4, v0
	v_pk_mov_b32 v[26:27], v[10:11], v[10:11] op_sel:[0,1]
	v_pk_mov_b32 v[24:25], v[8:9], v[8:9] op_sel:[0,1]
	;; [unrolled: 1-line block ×5, first 2 shown]
	ds_write_b64 v44, v[8:9]
	s_waitcnt lgkmcnt(0)
	; wave barrier
	s_waitcnt lgkmcnt(0)
	v_pk_mov_b32 v[30:31], v[14:15], v[14:15] op_sel:[0,1]
	v_pk_mov_b32 v[28:29], v[12:13], v[12:13] op_sel:[0,1]
	s_and_saveexec_b64 s[8:9], s[0:1]
	s_cbranch_execz .LBB4_11
; %bb.5:
	s_and_b64 vcc, exec, s[10:11]
	s_cbranch_vccz .LBB4_8
; %bb.6:
	v_cmp_eq_u32_e32 vcc, 1, v0
	v_cndmask_b32_e32 v18, v3, v5, vcc
	v_cmp_eq_u32_e64 s[2:3], 2, v0
	v_cndmask_b32_e64 v18, v18, v7, s[2:3]
	v_cmp_eq_u32_e64 s[4:5], 3, v0
	v_cndmask_b32_e64 v18, v18, v9, s[4:5]
	v_cmp_eq_u32_e64 s[6:7], 4, v0
	ds_read_b64 v[20:21], v44
	v_cndmask_b32_e64 v19, v18, v11, s[6:7]
	v_cndmask_b32_e32 v18, v2, v4, vcc
	v_cndmask_b32_e64 v18, v18, v6, s[2:3]
	v_cndmask_b32_e64 v18, v18, v8, s[4:5]
	;; [unrolled: 1-line block ×3, first 2 shown]
	s_waitcnt lgkmcnt(0)
	v_mul_f64 v[22:23], v[18:19], v[20:21]
	s_cbranch_execz .LBB4_9
	s_branch .LBB4_10
.LBB4_7:
                                        ; implicit-def: $vgpr18_vgpr19_vgpr20_vgpr21_vgpr22_vgpr23_vgpr24_vgpr25_vgpr26_vgpr27_vgpr28_vgpr29_vgpr30_vgpr31_vgpr32_vgpr33
	s_cbranch_execnz .LBB4_50
	s_branch .LBB4_83
.LBB4_8:
                                        ; implicit-def: $vgpr22_vgpr23
.LBB4_9:
	ds_read_b64 v[22:23], v44
.LBB4_10:
	v_mov_b32_e32 v18, 0
	ds_read_b64 v[24:25], v18 offset:24
	v_mov_b32_e32 v18, v2
	v_mov_b32_e32 v19, v3
	;; [unrolled: 1-line block ×4, first 2 shown]
	s_waitcnt lgkmcnt(0)
	v_mul_f64 v[24:25], v[22:23], v[24:25]
	v_mov_b32_e32 v22, v6
	v_mov_b32_e32 v23, v7
	v_mov_b32_e32 v26, v10
	v_mov_b32_e32 v27, v11
.LBB4_11:
	s_or_b64 exec, exec, s[8:9]
	v_cmp_lt_u32_e64 s[2:3], 2, v0
	ds_write_b64 v44, v[22:23]
	s_waitcnt lgkmcnt(0)
	; wave barrier
	s_waitcnt lgkmcnt(0)
	s_and_saveexec_b64 s[12:13], s[2:3]
	s_cbranch_execz .LBB4_17
; %bb.12:
	s_andn2_b64 vcc, exec, s[10:11]
	s_cbranch_vccnz .LBB4_14
; %bb.13:
	v_cmp_eq_u32_e32 vcc, 1, v0
	v_cndmask_b32_e32 v28, v19, v21, vcc
	v_cmp_eq_u32_e64 s[4:5], 2, v0
	v_cndmask_b32_e64 v23, v28, v23, s[4:5]
	ds_read_b64 v[28:29], v44
	v_cndmask_b32_e32 v30, v18, v20, vcc
	v_cmp_eq_u32_e64 s[6:7], 3, v0
	v_cndmask_b32_e64 v22, v30, v22, s[4:5]
	v_cndmask_b32_e64 v23, v23, v25, s[6:7]
	v_cmp_eq_u32_e64 s[8:9], 4, v0
	v_cndmask_b32_e64 v22, v22, v24, s[6:7]
	v_cndmask_b32_e64 v23, v23, v27, s[8:9]
	;; [unrolled: 1-line block ×3, first 2 shown]
	s_waitcnt lgkmcnt(0)
	v_mul_f64 v[22:23], v[22:23], v[28:29]
	s_cbranch_execz .LBB4_15
	s_branch .LBB4_16
.LBB4_14:
                                        ; implicit-def: $vgpr22_vgpr23
.LBB4_15:
	ds_read_b64 v[22:23], v44
.LBB4_16:
	v_mov_b32_e32 v28, 0
	ds_read2_b64 v[28:31], v28 offset0:2 offset1:9
	s_waitcnt lgkmcnt(0)
	v_fma_f64 v[30:31], v[24:25], v[30:31], v[22:23]
	v_cndmask_b32_e64 v23, v23, v31, s[0:1]
	v_cndmask_b32_e64 v22, v22, v30, s[0:1]
	v_mul_f64 v[22:23], v[22:23], v[28:29]
.LBB4_17:
	s_or_b64 exec, exec, s[12:13]
	v_cmp_lt_u32_e64 s[0:1], 1, v0
	ds_write_b64 v44, v[20:21]
	s_waitcnt lgkmcnt(0)
	; wave barrier
	s_waitcnt lgkmcnt(0)
	s_and_saveexec_b64 s[12:13], s[0:1]
	s_cbranch_execz .LBB4_33
; %bb.18:
	s_andn2_b64 vcc, exec, s[10:11]
	s_cbranch_vccnz .LBB4_20
; %bb.19:
	v_cmp_eq_u32_e32 vcc, 1, v0
	v_cndmask_b32_e32 v28, v19, v21, vcc
	v_cmp_eq_u32_e64 s[4:5], 2, v0
	v_cndmask_b32_e64 v28, v28, v23, s[4:5]
	v_cmp_eq_u32_e64 s[6:7], 3, v0
	v_cndmask_b32_e64 v28, v28, v25, s[6:7]
	v_cmp_eq_u32_e64 s[8:9], 4, v0
	ds_read_b64 v[30:31], v44
	v_cndmask_b32_e64 v29, v28, v27, s[8:9]
	v_cndmask_b32_e32 v28, v18, v20, vcc
	v_cndmask_b32_e64 v28, v28, v22, s[4:5]
	v_cndmask_b32_e64 v28, v28, v24, s[6:7]
	;; [unrolled: 1-line block ×3, first 2 shown]
	s_waitcnt lgkmcnt(0)
	v_mul_f64 v[28:29], v[28:29], v[30:31]
	s_cbranch_execz .LBB4_21
	s_branch .LBB4_22
.LBB4_20:
                                        ; implicit-def: $vgpr28_vgpr29
.LBB4_21:
	ds_read_b64 v[28:29], v44
.LBB4_22:
	s_and_saveexec_b64 s[8:9], s[2:3]
	s_cbranch_execz .LBB4_32
; %bb.23:
	v_add_u32_e32 v30, -3, v0
	v_add_u32_e32 v31, -2, v0
	v_cmp_lt_u32_e32 vcc, 6, v30
	v_mov_b32_e32 v32, 2
	s_and_saveexec_b64 s[4:5], vcc
	s_cbranch_execz .LBB4_27
; %bb.24:
	v_and_b32_e32 v30, -8, v31
	v_sub_u32_e32 v30, 0, v30
	s_mov_b64 s[6:7], 9
	s_mov_b32 s16, 64
	s_mov_b64 s[14:15], 0
.LBB4_25:                               ; =>This Inner Loop Header: Depth=1
	s_add_i32 s17, s6, -7
	s_cmp_eq_u32 s17, 1
	v_mov_b32_e32 v32, s16
	s_cselect_b64 vcc, -1, 0
	s_cmp_eq_u32 s17, 2
	ds_read_b128 v[46:49], v32
	ds_read_b128 v[50:53], v32 offset:16
	ds_read_b128 v[54:57], v32 offset:32
	;; [unrolled: 1-line block ×3, first 2 shown]
	v_cndmask_b32_e32 v32, v19, v21, vcc
	s_cselect_b64 s[2:3], -1, 0
	s_cmp_eq_u32 s17, 3
	v_cndmask_b32_e64 v32, v32, v23, s[2:3]
	v_cndmask_b32_e32 v33, v18, v20, vcc
	s_cselect_b64 vcc, -1, 0
	s_cmp_eq_u32 s17, 4
	v_cndmask_b32_e32 v32, v32, v25, vcc
	v_cndmask_b32_e64 v45, v33, v22, s[2:3]
	s_cselect_b64 s[2:3], -1, 0
	s_add_i32 s17, s6, -6
	v_cndmask_b32_e64 v33, v32, v27, s[2:3]
	v_cndmask_b32_e32 v32, v45, v24, vcc
	s_cmp_eq_u32 s17, 1
	v_cndmask_b32_e64 v32, v32, v26, s[2:3]
	s_cselect_b64 vcc, -1, 0
	s_cmp_eq_u32 s17, 2
	s_waitcnt lgkmcnt(3)
	v_fmac_f64_e32 v[28:29], v[32:33], v[46:47]
	v_cndmask_b32_e32 v32, v19, v21, vcc
	s_cselect_b64 s[2:3], -1, 0
	s_cmp_eq_u32 s17, 3
	v_cndmask_b32_e64 v32, v32, v23, s[2:3]
	v_cndmask_b32_e32 v33, v18, v20, vcc
	s_cselect_b64 vcc, -1, 0
	s_cmp_eq_u32 s17, 4
	v_cndmask_b32_e32 v32, v32, v25, vcc
	v_cndmask_b32_e64 v45, v33, v22, s[2:3]
	s_cselect_b64 s[2:3], -1, 0
	s_add_i32 s17, s6, -5
	v_cndmask_b32_e64 v33, v32, v27, s[2:3]
	v_cndmask_b32_e32 v32, v45, v24, vcc
	s_cmp_eq_u32 s17, 1
	v_cndmask_b32_e64 v32, v32, v26, s[2:3]
	s_cselect_b64 vcc, -1, 0
	s_cmp_eq_u32 s17, 2
	v_fmac_f64_e32 v[28:29], v[32:33], v[48:49]
	v_cndmask_b32_e32 v32, v19, v21, vcc
	s_cselect_b64 s[2:3], -1, 0
	s_cmp_eq_u32 s17, 3
	v_cndmask_b32_e64 v32, v32, v23, s[2:3]
	v_cndmask_b32_e32 v33, v18, v20, vcc
	s_cselect_b64 vcc, -1, 0
	s_cmp_eq_u32 s17, 4
	v_cndmask_b32_e32 v32, v32, v25, vcc
	v_cndmask_b32_e64 v45, v33, v22, s[2:3]
	s_cselect_b64 s[2:3], -1, 0
	s_add_i32 s17, s6, -4
	v_cndmask_b32_e64 v33, v32, v27, s[2:3]
	v_cndmask_b32_e32 v32, v45, v24, vcc
	s_cmp_eq_u32 s17, 1
	v_cndmask_b32_e64 v32, v32, v26, s[2:3]
	s_cselect_b64 vcc, -1, 0
	s_cmp_eq_u32 s17, 2
	s_waitcnt lgkmcnt(2)
	v_fmac_f64_e32 v[28:29], v[32:33], v[50:51]
	v_cndmask_b32_e32 v32, v19, v21, vcc
	s_cselect_b64 s[2:3], -1, 0
	s_cmp_eq_u32 s17, 3
	v_cndmask_b32_e64 v32, v32, v23, s[2:3]
	v_cndmask_b32_e32 v33, v18, v20, vcc
	s_cselect_b64 vcc, -1, 0
	s_cmp_eq_u32 s17, 4
	v_cndmask_b32_e32 v32, v32, v25, vcc
	v_cndmask_b32_e64 v45, v33, v22, s[2:3]
	s_cselect_b64 s[2:3], -1, 0
	s_add_i32 s17, s6, -3
	v_cndmask_b32_e64 v33, v32, v27, s[2:3]
	v_cndmask_b32_e32 v32, v45, v24, vcc
	s_cmp_eq_u32 s17, 1
	v_cndmask_b32_e64 v32, v32, v26, s[2:3]
	s_cselect_b64 vcc, -1, 0
	s_cmp_eq_u32 s17, 2
	v_fmac_f64_e32 v[28:29], v[32:33], v[52:53]
	;; [unrolled: 37-line block ×3, first 2 shown]
	v_cndmask_b32_e32 v32, v19, v21, vcc
	s_cselect_b64 s[2:3], -1, 0
	s_cmp_eq_u32 s17, 3
	v_cndmask_b32_e64 v32, v32, v23, s[2:3]
	v_cndmask_b32_e32 v33, v18, v20, vcc
	s_cselect_b64 vcc, -1, 0
	s_cmp_eq_u32 s17, 4
	v_cndmask_b32_e32 v32, v32, v25, vcc
	v_cndmask_b32_e64 v45, v33, v22, s[2:3]
	s_cselect_b64 s[2:3], -1, 0
	s_cmp_eq_u32 s6, 1
	v_cndmask_b32_e64 v33, v32, v27, s[2:3]
	v_cndmask_b32_e32 v32, v45, v24, vcc
	s_cselect_b64 vcc, -1, 0
	s_cmp_eq_u32 s6, 2
	v_cndmask_b32_e64 v32, v32, v26, s[2:3]
	v_cndmask_b32_e32 v45, v19, v21, vcc
	s_cselect_b64 s[2:3], -1, 0
	s_cmp_eq_u32 s6, 3
	s_waitcnt lgkmcnt(0)
	v_fmac_f64_e32 v[28:29], v[32:33], v[58:59]
	v_cndmask_b32_e64 v32, v45, v23, s[2:3]
	v_cndmask_b32_e32 v33, v18, v20, vcc
	s_cselect_b64 vcc, -1, 0
	s_cmp_eq_u32 s6, 4
	v_cndmask_b32_e32 v32, v32, v25, vcc
	v_cndmask_b32_e64 v45, v33, v22, s[2:3]
	s_cselect_b64 s[2:3], -1, 0
	s_add_u32 s6, s6, 8
	v_cndmask_b32_e64 v33, v32, v27, s[2:3]
	v_cndmask_b32_e32 v32, v45, v24, vcc
	v_add_u32_e32 v45, s6, v30
	v_cndmask_b32_e64 v32, v32, v26, s[2:3]
	s_addc_u32 s7, s7, 0
	s_add_i32 s16, s16, 64
	s_add_i32 s2, s6, -7
	v_cmp_eq_u32_e32 vcc, 9, v45
	v_fmac_f64_e32 v[28:29], v[32:33], v[60:61]
	s_or_b64 s[14:15], vcc, s[14:15]
	v_mov_b32_e32 v32, s2
	s_andn2_b64 exec, exec, s[14:15]
	s_cbranch_execnz .LBB4_25
; %bb.26:
	s_or_b64 exec, exec, s[14:15]
.LBB4_27:
	s_or_b64 exec, exec, s[4:5]
	v_and_b32_e32 v30, 7, v31
	v_cmp_ne_u32_e32 vcc, 0, v30
	s_and_saveexec_b64 s[14:15], vcc
	s_cbranch_execz .LBB4_31
; %bb.28:
	v_lshl_add_u32 v33, v32, 3, 48
	v_mov_b32_e32 v31, 0
	s_mov_b64 s[16:17], 0
.LBB4_29:                               ; =>This Inner Loop Header: Depth=1
	v_cmp_eq_u32_e32 vcc, 1, v32
	v_cndmask_b32_e32 v45, v19, v21, vcc
	ds_read_b64 v[46:47], v33
	v_cmp_eq_u32_e64 s[2:3], 2, v32
	v_cndmask_b32_e64 v45, v45, v23, s[2:3]
	v_cndmask_b32_e32 v48, v18, v20, vcc
	v_cmp_eq_u32_e64 s[4:5], 3, v32
	v_cndmask_b32_e64 v45, v45, v25, s[4:5]
	v_cmp_eq_u32_e64 s[6:7], 4, v32
	v_cndmask_b32_e64 v48, v48, v22, s[2:3]
	v_add_u32_e32 v30, -1, v30
	v_cndmask_b32_e64 v49, v45, v27, s[6:7]
	v_cndmask_b32_e64 v45, v48, v24, s[4:5]
	v_cmp_eq_u32_e32 vcc, 0, v30
	v_add_co_u32_e64 v32, s[2:3], 1, v32
	v_cndmask_b32_e64 v48, v45, v26, s[6:7]
	v_add_u32_e32 v33, 8, v33
	v_addc_co_u32_e64 v31, s[2:3], 0, v31, s[2:3]
	s_or_b64 s[16:17], vcc, s[16:17]
	s_waitcnt lgkmcnt(0)
	v_fmac_f64_e32 v[28:29], v[48:49], v[46:47]
	s_andn2_b64 exec, exec, s[16:17]
	s_cbranch_execnz .LBB4_29
; %bb.30:
	s_or_b64 exec, exec, s[16:17]
.LBB4_31:
	s_or_b64 exec, exec, s[14:15]
.LBB4_32:
	s_or_b64 exec, exec, s[8:9]
	v_mov_b32_e32 v20, 0
	ds_read_b64 v[20:21], v20 offset:8
	s_waitcnt lgkmcnt(0)
	v_mul_f64 v[20:21], v[28:29], v[20:21]
.LBB4_33:
	s_or_b64 exec, exec, s[12:13]
	v_cmp_ne_u32_e32 vcc, 0, v0
	ds_write_b64 v44, v[18:19]
	s_waitcnt lgkmcnt(0)
	; wave barrier
	s_waitcnt lgkmcnt(0)
	s_and_saveexec_b64 s[8:9], vcc
	s_cbranch_execz .LBB4_49
; %bb.34:
	s_andn2_b64 vcc, exec, s[10:11]
	s_cbranch_vccnz .LBB4_36
; %bb.35:
	v_cmp_eq_u32_e32 vcc, 1, v0
	v_cndmask_b32_e32 v28, v19, v21, vcc
	v_cmp_eq_u32_e64 s[2:3], 2, v0
	v_cndmask_b32_e64 v28, v28, v23, s[2:3]
	v_cmp_eq_u32_e64 s[4:5], 3, v0
	v_cndmask_b32_e64 v28, v28, v25, s[4:5]
	v_cmp_eq_u32_e64 s[6:7], 4, v0
	ds_read_b64 v[30:31], v44
	v_cndmask_b32_e64 v29, v28, v27, s[6:7]
	v_cndmask_b32_e32 v28, v18, v20, vcc
	v_cndmask_b32_e64 v28, v28, v22, s[2:3]
	v_cndmask_b32_e64 v28, v28, v24, s[4:5]
	;; [unrolled: 1-line block ×3, first 2 shown]
	s_waitcnt lgkmcnt(0)
	v_mul_f64 v[28:29], v[28:29], v[30:31]
	s_cbranch_execz .LBB4_37
	s_branch .LBB4_38
.LBB4_36:
                                        ; implicit-def: $vgpr28_vgpr29
.LBB4_37:
	ds_read_b64 v[28:29], v44
.LBB4_38:
	s_and_saveexec_b64 s[6:7], s[0:1]
	s_cbranch_execz .LBB4_48
; %bb.39:
	v_add_u32_e32 v30, -2, v0
	v_add_u32_e32 v31, -1, v0
	v_cmp_lt_u32_e32 vcc, 6, v30
	v_mov_b32_e32 v32, 1
	s_and_saveexec_b64 s[2:3], vcc
	s_cbranch_execz .LBB4_43
; %bb.40:
	v_and_b32_e32 v30, -8, v31
	v_sub_u32_e32 v30, 0, v30
	s_mov_b64 s[4:5], 8
	s_mov_b32 s14, 56
	s_mov_b64 s[12:13], 0
.LBB4_41:                               ; =>This Inner Loop Header: Depth=1
	s_add_i32 s15, s4, -7
	s_cmp_eq_u32 s15, 1
	v_mov_b32_e32 v32, s14
	s_cselect_b64 vcc, -1, 0
	s_cmp_eq_u32 s15, 2
	ds_read2_b64 v[46:49], v32 offset1:1
	ds_read2_b64 v[50:53], v32 offset0:2 offset1:3
	ds_read2_b64 v[54:57], v32 offset0:4 offset1:5
	;; [unrolled: 1-line block ×3, first 2 shown]
	v_cndmask_b32_e32 v32, v19, v21, vcc
	s_cselect_b64 s[0:1], -1, 0
	s_cmp_eq_u32 s15, 3
	v_cndmask_b32_e64 v32, v32, v23, s[0:1]
	v_cndmask_b32_e32 v33, v18, v20, vcc
	s_cselect_b64 vcc, -1, 0
	s_cmp_eq_u32 s15, 4
	v_cndmask_b32_e32 v32, v32, v25, vcc
	v_cndmask_b32_e64 v45, v33, v22, s[0:1]
	s_cselect_b64 s[0:1], -1, 0
	s_add_i32 s15, s4, -6
	v_cndmask_b32_e64 v33, v32, v27, s[0:1]
	v_cndmask_b32_e32 v32, v45, v24, vcc
	s_cmp_eq_u32 s15, 1
	v_cndmask_b32_e64 v32, v32, v26, s[0:1]
	s_cselect_b64 vcc, -1, 0
	s_cmp_eq_u32 s15, 2
	s_waitcnt lgkmcnt(3)
	v_fmac_f64_e32 v[28:29], v[32:33], v[46:47]
	v_cndmask_b32_e32 v32, v19, v21, vcc
	s_cselect_b64 s[0:1], -1, 0
	s_cmp_eq_u32 s15, 3
	v_cndmask_b32_e64 v32, v32, v23, s[0:1]
	v_cndmask_b32_e32 v33, v18, v20, vcc
	s_cselect_b64 vcc, -1, 0
	s_cmp_eq_u32 s15, 4
	v_cndmask_b32_e32 v32, v32, v25, vcc
	v_cndmask_b32_e64 v45, v33, v22, s[0:1]
	s_cselect_b64 s[0:1], -1, 0
	s_add_i32 s15, s4, -5
	v_cndmask_b32_e64 v33, v32, v27, s[0:1]
	v_cndmask_b32_e32 v32, v45, v24, vcc
	s_cmp_eq_u32 s15, 1
	v_cndmask_b32_e64 v32, v32, v26, s[0:1]
	s_cselect_b64 vcc, -1, 0
	s_cmp_eq_u32 s15, 2
	v_fmac_f64_e32 v[28:29], v[32:33], v[48:49]
	v_cndmask_b32_e32 v32, v19, v21, vcc
	s_cselect_b64 s[0:1], -1, 0
	s_cmp_eq_u32 s15, 3
	v_cndmask_b32_e64 v32, v32, v23, s[0:1]
	v_cndmask_b32_e32 v33, v18, v20, vcc
	s_cselect_b64 vcc, -1, 0
	s_cmp_eq_u32 s15, 4
	v_cndmask_b32_e32 v32, v32, v25, vcc
	v_cndmask_b32_e64 v45, v33, v22, s[0:1]
	s_cselect_b64 s[0:1], -1, 0
	s_add_i32 s15, s4, -4
	v_cndmask_b32_e64 v33, v32, v27, s[0:1]
	v_cndmask_b32_e32 v32, v45, v24, vcc
	s_cmp_eq_u32 s15, 1
	v_cndmask_b32_e64 v32, v32, v26, s[0:1]
	s_cselect_b64 vcc, -1, 0
	s_cmp_eq_u32 s15, 2
	s_waitcnt lgkmcnt(2)
	v_fmac_f64_e32 v[28:29], v[32:33], v[50:51]
	v_cndmask_b32_e32 v32, v19, v21, vcc
	s_cselect_b64 s[0:1], -1, 0
	s_cmp_eq_u32 s15, 3
	v_cndmask_b32_e64 v32, v32, v23, s[0:1]
	v_cndmask_b32_e32 v33, v18, v20, vcc
	s_cselect_b64 vcc, -1, 0
	s_cmp_eq_u32 s15, 4
	v_cndmask_b32_e32 v32, v32, v25, vcc
	v_cndmask_b32_e64 v45, v33, v22, s[0:1]
	s_cselect_b64 s[0:1], -1, 0
	s_add_i32 s15, s4, -3
	v_cndmask_b32_e64 v33, v32, v27, s[0:1]
	v_cndmask_b32_e32 v32, v45, v24, vcc
	s_cmp_eq_u32 s15, 1
	v_cndmask_b32_e64 v32, v32, v26, s[0:1]
	s_cselect_b64 vcc, -1, 0
	s_cmp_eq_u32 s15, 2
	v_fmac_f64_e32 v[28:29], v[32:33], v[52:53]
	;; [unrolled: 37-line block ×3, first 2 shown]
	v_cndmask_b32_e32 v32, v19, v21, vcc
	s_cselect_b64 s[0:1], -1, 0
	s_cmp_eq_u32 s15, 3
	v_cndmask_b32_e64 v32, v32, v23, s[0:1]
	v_cndmask_b32_e32 v33, v18, v20, vcc
	s_cselect_b64 vcc, -1, 0
	s_cmp_eq_u32 s15, 4
	v_cndmask_b32_e32 v32, v32, v25, vcc
	v_cndmask_b32_e64 v45, v33, v22, s[0:1]
	s_cselect_b64 s[0:1], -1, 0
	s_cmp_eq_u32 s4, 1
	v_cndmask_b32_e64 v33, v32, v27, s[0:1]
	v_cndmask_b32_e32 v32, v45, v24, vcc
	s_cselect_b64 vcc, -1, 0
	s_cmp_eq_u32 s4, 2
	v_cndmask_b32_e64 v32, v32, v26, s[0:1]
	v_cndmask_b32_e32 v45, v19, v21, vcc
	s_cselect_b64 s[0:1], -1, 0
	s_cmp_eq_u32 s4, 3
	s_waitcnt lgkmcnt(0)
	v_fmac_f64_e32 v[28:29], v[32:33], v[58:59]
	v_cndmask_b32_e64 v32, v45, v23, s[0:1]
	v_cndmask_b32_e32 v33, v18, v20, vcc
	s_cselect_b64 vcc, -1, 0
	s_cmp_eq_u32 s4, 4
	v_cndmask_b32_e32 v32, v32, v25, vcc
	v_cndmask_b32_e64 v45, v33, v22, s[0:1]
	s_cselect_b64 s[0:1], -1, 0
	s_add_u32 s4, s4, 8
	v_cndmask_b32_e64 v33, v32, v27, s[0:1]
	v_cndmask_b32_e32 v32, v45, v24, vcc
	v_add_u32_e32 v45, s4, v30
	v_cndmask_b32_e64 v32, v32, v26, s[0:1]
	s_addc_u32 s5, s5, 0
	s_add_i32 s14, s14, 64
	s_add_i32 s0, s4, -7
	v_cmp_eq_u32_e32 vcc, 8, v45
	v_fmac_f64_e32 v[28:29], v[32:33], v[60:61]
	s_or_b64 s[12:13], vcc, s[12:13]
	v_mov_b32_e32 v32, s0
	s_andn2_b64 exec, exec, s[12:13]
	s_cbranch_execnz .LBB4_41
; %bb.42:
	s_or_b64 exec, exec, s[12:13]
.LBB4_43:
	s_or_b64 exec, exec, s[2:3]
	v_and_b32_e32 v30, 7, v31
	v_cmp_ne_u32_e32 vcc, 0, v30
	s_and_saveexec_b64 s[12:13], vcc
	s_cbranch_execz .LBB4_47
; %bb.44:
	v_lshl_add_u32 v33, v32, 3, 48
	v_mov_b32_e32 v31, 0
	s_mov_b64 s[14:15], 0
.LBB4_45:                               ; =>This Inner Loop Header: Depth=1
	v_cmp_eq_u32_e32 vcc, 1, v32
	v_cndmask_b32_e32 v45, v19, v21, vcc
	ds_read_b64 v[46:47], v33
	v_cmp_eq_u32_e64 s[0:1], 2, v32
	v_cndmask_b32_e64 v45, v45, v23, s[0:1]
	v_cndmask_b32_e32 v48, v18, v20, vcc
	v_cmp_eq_u32_e64 s[2:3], 3, v32
	v_cndmask_b32_e64 v45, v45, v25, s[2:3]
	v_cmp_eq_u32_e64 s[4:5], 4, v32
	v_cndmask_b32_e64 v48, v48, v22, s[0:1]
	v_add_u32_e32 v30, -1, v30
	v_cndmask_b32_e64 v49, v45, v27, s[4:5]
	v_cndmask_b32_e64 v45, v48, v24, s[2:3]
	v_cmp_eq_u32_e32 vcc, 0, v30
	v_add_co_u32_e64 v32, s[0:1], 1, v32
	v_cndmask_b32_e64 v48, v45, v26, s[4:5]
	v_add_u32_e32 v33, 8, v33
	v_addc_co_u32_e64 v31, s[0:1], 0, v31, s[0:1]
	s_or_b64 s[14:15], vcc, s[14:15]
	s_waitcnt lgkmcnt(0)
	v_fmac_f64_e32 v[28:29], v[48:49], v[46:47]
	s_andn2_b64 exec, exec, s[14:15]
	s_cbranch_execnz .LBB4_45
; %bb.46:
	s_or_b64 exec, exec, s[14:15]
.LBB4_47:
	s_or_b64 exec, exec, s[12:13]
.LBB4_48:
	s_or_b64 exec, exec, s[6:7]
	v_mov_b32_e32 v18, 0
	ds_read_b64 v[18:19], v18
	s_waitcnt lgkmcnt(0)
	v_mul_f64 v[18:19], v[28:29], v[18:19]
.LBB4_49:
	s_or_b64 exec, exec, s[8:9]
	s_branch .LBB4_83
.LBB4_50:
	v_cmp_eq_u32_e64 s[0:1], 0, v0
	s_waitcnt vmcnt(3)
	ds_write_b64 v44, v[4:5]
	s_waitcnt lgkmcnt(0)
	; wave barrier
	s_waitcnt lgkmcnt(0)
	s_and_saveexec_b64 s[8:9], s[0:1]
	s_cbranch_execz .LBB4_56
; %bb.51:
	s_and_b64 vcc, exec, s[10:11]
	s_cbranch_vccz .LBB4_53
; %bb.52:
	v_cmp_eq_u32_e32 vcc, 1, v0
	ds_read_b64 v[12:13], v44
	v_cndmask_b32_e32 v5, v3, v5, vcc
	v_cmp_eq_u32_e64 s[2:3], 2, v0
	v_cndmask_b32_e32 v4, v2, v4, vcc
	s_waitcnt vmcnt(2)
	v_cndmask_b32_e64 v5, v5, v7, s[2:3]
	v_cmp_eq_u32_e64 s[4:5], 3, v0
	v_cndmask_b32_e64 v4, v4, v6, s[2:3]
	s_waitcnt vmcnt(1)
	v_cndmask_b32_e64 v5, v5, v9, s[4:5]
	v_cmp_eq_u32_e64 s[6:7], 4, v0
	v_cndmask_b32_e64 v4, v4, v8, s[4:5]
	s_waitcnt vmcnt(0)
	v_cndmask_b32_e64 v5, v5, v11, s[6:7]
	v_cndmask_b32_e64 v4, v4, v10, s[6:7]
	s_waitcnt lgkmcnt(0)
	v_mul_f64 v[4:5], v[4:5], v[12:13]
	s_cbranch_execz .LBB4_54
	s_branch .LBB4_55
.LBB4_53:
                                        ; implicit-def: $vgpr4_vgpr5
.LBB4_54:
	ds_read_b64 v[4:5], v44
.LBB4_55:
	v_mov_b32_e32 v12, 0
	ds_read_b64 v[12:13], v12 offset:8
	s_waitcnt lgkmcnt(0)
	v_mul_f64 v[4:5], v[4:5], v[12:13]
.LBB4_56:
	s_or_b64 exec, exec, s[8:9]
	v_cndmask_b32_e64 v19, 0, 1, s[10:11]
	v_add_u32_e32 v18, 1, v0
	v_cmp_gt_u32_e32 vcc, 2, v0
	v_cmp_ne_u32_e64 s[2:3], 1, v19
	s_waitcnt vmcnt(2)
	ds_write_b64 v44, v[6:7]
	s_waitcnt lgkmcnt(0)
	; wave barrier
	s_waitcnt lgkmcnt(0)
	s_and_saveexec_b64 s[10:11], vcc
	s_cbranch_execz .LBB4_64
; %bb.57:
	s_and_b64 vcc, exec, s[2:3]
	s_cbranch_vccnz .LBB4_59
; %bb.58:
	v_cmp_eq_u32_e32 vcc, 1, v0
	v_cndmask_b32_e32 v12, v3, v5, vcc
	v_cmp_eq_u32_e64 s[4:5], 2, v0
	v_cndmask_b32_e64 v12, v12, v7, s[4:5]
	v_cmp_eq_u32_e64 s[6:7], 3, v0
	s_waitcnt vmcnt(1)
	v_cndmask_b32_e64 v12, v12, v9, s[6:7]
	v_cmp_eq_u32_e64 s[8:9], 4, v0
	ds_read_b64 v[14:15], v44
	s_waitcnt vmcnt(0)
	v_cndmask_b32_e64 v13, v12, v11, s[8:9]
	v_cndmask_b32_e32 v12, v2, v4, vcc
	v_cndmask_b32_e64 v12, v12, v6, s[4:5]
	v_cndmask_b32_e64 v12, v12, v8, s[6:7]
	;; [unrolled: 1-line block ×3, first 2 shown]
	s_waitcnt lgkmcnt(0)
	v_mul_f64 v[12:13], v[12:13], v[14:15]
	s_cbranch_execz .LBB4_60
	s_branch .LBB4_61
.LBB4_59:
                                        ; implicit-def: $vgpr12_vgpr13
.LBB4_60:
	ds_read_b64 v[12:13], v44
.LBB4_61:
	s_and_saveexec_b64 s[12:13], s[0:1]
	s_cbranch_execz .LBB4_63
; %bb.62:
	v_cmp_eq_u32_e32 vcc, 1, v18
	v_cndmask_b32_e32 v14, v3, v5, vcc
	v_cmp_eq_u32_e64 s[4:5], 2, v18
	v_cndmask_b32_e64 v7, v14, v7, s[4:5]
	ds_read_b64 v[14:15], v44 offset:8
	v_cndmask_b32_e32 v16, v2, v4, vcc
	v_cmp_eq_u32_e64 s[6:7], 3, v18
	v_cndmask_b32_e64 v6, v16, v6, s[4:5]
	s_waitcnt vmcnt(1)
	v_cndmask_b32_e64 v7, v7, v9, s[6:7]
	v_cmp_eq_u32_e64 s[8:9], 4, v18
	v_cndmask_b32_e64 v6, v6, v8, s[6:7]
	s_waitcnt vmcnt(0)
	v_cndmask_b32_e64 v7, v7, v11, s[8:9]
	v_cndmask_b32_e64 v6, v6, v10, s[8:9]
	s_waitcnt lgkmcnt(0)
	v_fmac_f64_e32 v[12:13], v[6:7], v[14:15]
.LBB4_63:
	s_or_b64 exec, exec, s[12:13]
	v_mov_b32_e32 v6, 0
	ds_read_b64 v[6:7], v6 offset:16
	s_waitcnt lgkmcnt(0)
	v_mul_f64 v[6:7], v[12:13], v[6:7]
.LBB4_64:
	s_or_b64 exec, exec, s[10:11]
	v_cmp_gt_u32_e64 s[4:5], 3, v0
	s_waitcnt vmcnt(1)
	ds_write_b64 v44, v[8:9]
	s_waitcnt lgkmcnt(0)
	; wave barrier
	s_waitcnt lgkmcnt(0)
	s_and_saveexec_b64 s[12:13], s[4:5]
	s_cbranch_execz .LBB4_72
; %bb.65:
	s_and_b64 vcc, exec, s[2:3]
	s_cbranch_vccnz .LBB4_67
; %bb.66:
	v_cmp_eq_u32_e32 vcc, 1, v0
	v_cndmask_b32_e32 v12, v3, v5, vcc
	v_cmp_eq_u32_e64 s[6:7], 2, v0
	v_cndmask_b32_e64 v12, v12, v7, s[6:7]
	v_cmp_eq_u32_e64 s[8:9], 3, v0
	v_cndmask_b32_e64 v12, v12, v9, s[8:9]
	v_cmp_eq_u32_e64 s[10:11], 4, v0
	ds_read_b64 v[14:15], v44
	s_waitcnt vmcnt(0)
	v_cndmask_b32_e64 v13, v12, v11, s[10:11]
	v_cndmask_b32_e32 v12, v2, v4, vcc
	v_cndmask_b32_e64 v12, v12, v6, s[6:7]
	v_cndmask_b32_e64 v12, v12, v8, s[8:9]
	;; [unrolled: 1-line block ×3, first 2 shown]
	s_waitcnt lgkmcnt(0)
	v_mul_f64 v[12:13], v[12:13], v[14:15]
	s_cbranch_execz .LBB4_68
	s_branch .LBB4_69
.LBB4_67:
                                        ; implicit-def: $vgpr12_vgpr13
.LBB4_68:
	ds_read_b64 v[12:13], v44
.LBB4_69:
	v_cmp_ne_u32_e32 vcc, 2, v0
	s_and_saveexec_b64 s[14:15], vcc
	s_cbranch_execz .LBB4_71
; %bb.70:
	v_cmp_eq_u32_e32 vcc, 1, v18
	v_cndmask_b32_e32 v14, v3, v5, vcc
	v_cmp_eq_u32_e64 s[6:7], 2, v18
	v_cndmask_b32_e64 v14, v14, v7, s[6:7]
	v_cmp_eq_u32_e64 s[8:9], 3, v18
	v_mov_b32_e32 v16, 0
	v_cndmask_b32_e64 v9, v14, v9, s[8:9]
	v_cmp_eq_u32_e64 s[10:11], 4, v18
	v_cndmask_b32_e32 v18, v2, v4, vcc
	ds_read_b64 v[14:15], v44 offset:8
	ds_read_b64 v[16:17], v16 offset:64
	v_cndmask_b32_e64 v18, v18, v6, s[6:7]
	v_cndmask_b32_e64 v8, v18, v8, s[8:9]
	s_waitcnt vmcnt(0)
	v_cndmask_b32_e64 v9, v9, v11, s[10:11]
	v_cndmask_b32_e64 v8, v8, v10, s[10:11]
	s_waitcnt lgkmcnt(1)
	v_fmac_f64_e32 v[12:13], v[8:9], v[14:15]
	s_waitcnt lgkmcnt(0)
	v_fma_f64 v[8:9], v[6:7], v[16:17], v[12:13]
	v_cndmask_b32_e64 v13, v13, v9, s[0:1]
	v_cndmask_b32_e64 v12, v12, v8, s[0:1]
.LBB4_71:
	s_or_b64 exec, exec, s[14:15]
	v_mov_b32_e32 v8, 0
	ds_read_b64 v[8:9], v8 offset:24
	s_waitcnt lgkmcnt(0)
	v_mul_f64 v[8:9], v[12:13], v[8:9]
.LBB4_72:
	s_or_b64 exec, exec, s[12:13]
	v_cmp_ne_u32_e32 vcc, 4, v0
	s_waitcnt vmcnt(0)
	ds_write_b64 v44, v[10:11]
	s_waitcnt lgkmcnt(0)
	; wave barrier
	s_waitcnt lgkmcnt(0)
	s_and_saveexec_b64 s[8:9], vcc
	s_cbranch_execz .LBB4_82
; %bb.73:
	s_and_b64 vcc, exec, s[2:3]
	s_cbranch_vccnz .LBB4_75
; %bb.74:
	v_cmp_eq_u32_e32 vcc, 1, v0
	v_cndmask_b32_e32 v12, v3, v5, vcc
	v_cmp_eq_u32_e64 s[0:1], 2, v0
	v_cndmask_b32_e64 v12, v12, v7, s[0:1]
	v_cmp_eq_u32_e64 s[2:3], 3, v0
	v_cndmask_b32_e64 v12, v12, v9, s[2:3]
	v_cmp_eq_u32_e64 s[6:7], 4, v0
	ds_read_b64 v[14:15], v44
	v_cndmask_b32_e64 v13, v12, v11, s[6:7]
	v_cndmask_b32_e32 v12, v2, v4, vcc
	v_cndmask_b32_e64 v12, v12, v6, s[0:1]
	v_cndmask_b32_e64 v12, v12, v8, s[2:3]
	v_cndmask_b32_e64 v12, v12, v10, s[6:7]
	s_waitcnt lgkmcnt(0)
	v_mul_f64 v[12:13], v[12:13], v[14:15]
	s_cbranch_execz .LBB4_76
	s_branch .LBB4_77
.LBB4_75:
                                        ; implicit-def: $vgpr12_vgpr13
.LBB4_76:
	ds_read_b64 v[12:13], v44
.LBB4_77:
	s_and_saveexec_b64 s[6:7], s[4:5]
	s_cbranch_execz .LBB4_81
; %bb.78:
	v_lshl_add_u32 v14, v0, 3, 56
	s_mov_b64 s[4:5], 0
.LBB4_79:                               ; =>This Inner Loop Header: Depth=1
	v_add_co_u32_e32 v0, vcc, 1, v0
	v_addc_co_u32_e32 v1, vcc, 0, v1, vcc
	v_cmp_eq_u32_e32 vcc, 1, v0
	ds_read_b64 v[16:17], v14
	v_cndmask_b32_e32 v15, v3, v5, vcc
	v_cmp_eq_u32_e64 s[2:3], 2, v0
	v_cmp_lt_u32_e64 s[0:1], 2, v0
	v_cndmask_b32_e64 v15, v15, v7, s[2:3]
	v_cndmask_b32_e32 v18, v2, v4, vcc
	v_cmp_eq_u32_e32 vcc, 3, v0
	s_or_b64 s[4:5], s[0:1], s[4:5]
	v_cndmask_b32_e32 v15, v15, v9, vcc
	v_cndmask_b32_e64 v18, v18, v6, s[2:3]
	v_cmp_eq_u32_e64 s[0:1], 4, v0
	v_cndmask_b32_e64 v19, v15, v11, s[0:1]
	v_cndmask_b32_e32 v15, v18, v8, vcc
	v_cndmask_b32_e64 v18, v15, v10, s[0:1]
	v_add_u32_e32 v14, 8, v14
	s_waitcnt lgkmcnt(0)
	v_fmac_f64_e32 v[12:13], v[18:19], v[16:17]
	s_andn2_b64 exec, exec, s[4:5]
	s_cbranch_execnz .LBB4_79
; %bb.80:
	s_or_b64 exec, exec, s[4:5]
.LBB4_81:
	s_or_b64 exec, exec, s[6:7]
	v_mov_b32_e32 v0, 0
	ds_read_b64 v[0:1], v0 offset:32
	s_waitcnt lgkmcnt(0)
	v_mul_f64 v[10:11], v[12:13], v[0:1]
.LBB4_82:
	s_or_b64 exec, exec, s[8:9]
	v_pk_mov_b32 v[32:33], v[16:17], v[16:17] op_sel:[0,1]
	v_pk_mov_b32 v[30:31], v[14:15], v[14:15] op_sel:[0,1]
	v_pk_mov_b32 v[28:29], v[12:13], v[12:13] op_sel:[0,1]
	v_pk_mov_b32 v[26:27], v[10:11], v[10:11] op_sel:[0,1]
	v_pk_mov_b32 v[24:25], v[8:9], v[8:9] op_sel:[0,1]
	v_pk_mov_b32 v[22:23], v[6:7], v[6:7] op_sel:[0,1]
	v_pk_mov_b32 v[20:21], v[4:5], v[4:5] op_sel:[0,1]
	v_pk_mov_b32 v[18:19], v[2:3], v[2:3] op_sel:[0,1]
.LBB4_83:
	global_store_dwordx2 v[34:35], v[18:19], off
	global_store_dwordx2 v[36:37], v[20:21], off
	;; [unrolled: 1-line block ×5, first 2 shown]
.LBB4_84:
	s_endpgm
	.section	.rodata,"a",@progbits
	.p2align	6, 0x0
	.amdhsa_kernel _ZN9rocsolver6v33100L18trti2_kernel_smallILi5EdPdEEv13rocblas_fill_17rocblas_diagonal_T1_iil
		.amdhsa_group_segment_fixed_size 88
		.amdhsa_private_segment_fixed_size 0
		.amdhsa_kernarg_size 32
		.amdhsa_user_sgpr_count 6
		.amdhsa_user_sgpr_private_segment_buffer 1
		.amdhsa_user_sgpr_dispatch_ptr 0
		.amdhsa_user_sgpr_queue_ptr 0
		.amdhsa_user_sgpr_kernarg_segment_ptr 1
		.amdhsa_user_sgpr_dispatch_id 0
		.amdhsa_user_sgpr_flat_scratch_init 0
		.amdhsa_user_sgpr_kernarg_preload_length 0
		.amdhsa_user_sgpr_kernarg_preload_offset 0
		.amdhsa_user_sgpr_private_segment_size 0
		.amdhsa_uses_dynamic_stack 0
		.amdhsa_system_sgpr_private_segment_wavefront_offset 0
		.amdhsa_system_sgpr_workgroup_id_x 1
		.amdhsa_system_sgpr_workgroup_id_y 0
		.amdhsa_system_sgpr_workgroup_id_z 0
		.amdhsa_system_sgpr_workgroup_info 0
		.amdhsa_system_vgpr_workitem_id 0
		.amdhsa_next_free_vgpr 62
		.amdhsa_next_free_sgpr 20
		.amdhsa_accum_offset 64
		.amdhsa_reserve_vcc 1
		.amdhsa_reserve_flat_scratch 0
		.amdhsa_float_round_mode_32 0
		.amdhsa_float_round_mode_16_64 0
		.amdhsa_float_denorm_mode_32 3
		.amdhsa_float_denorm_mode_16_64 3
		.amdhsa_dx10_clamp 1
		.amdhsa_ieee_mode 1
		.amdhsa_fp16_overflow 0
		.amdhsa_tg_split 0
		.amdhsa_exception_fp_ieee_invalid_op 0
		.amdhsa_exception_fp_denorm_src 0
		.amdhsa_exception_fp_ieee_div_zero 0
		.amdhsa_exception_fp_ieee_overflow 0
		.amdhsa_exception_fp_ieee_underflow 0
		.amdhsa_exception_fp_ieee_inexact 0
		.amdhsa_exception_int_div_zero 0
	.end_amdhsa_kernel
	.section	.text._ZN9rocsolver6v33100L18trti2_kernel_smallILi5EdPdEEv13rocblas_fill_17rocblas_diagonal_T1_iil,"axG",@progbits,_ZN9rocsolver6v33100L18trti2_kernel_smallILi5EdPdEEv13rocblas_fill_17rocblas_diagonal_T1_iil,comdat
.Lfunc_end4:
	.size	_ZN9rocsolver6v33100L18trti2_kernel_smallILi5EdPdEEv13rocblas_fill_17rocblas_diagonal_T1_iil, .Lfunc_end4-_ZN9rocsolver6v33100L18trti2_kernel_smallILi5EdPdEEv13rocblas_fill_17rocblas_diagonal_T1_iil
                                        ; -- End function
	.section	.AMDGPU.csdata,"",@progbits
; Kernel info:
; codeLenInByte = 4880
; NumSgprs: 24
; NumVgprs: 62
; NumAgprs: 0
; TotalNumVgprs: 62
; ScratchSize: 0
; MemoryBound: 0
; FloatMode: 240
; IeeeMode: 1
; LDSByteSize: 88 bytes/workgroup (compile time only)
; SGPRBlocks: 2
; VGPRBlocks: 7
; NumSGPRsForWavesPerEU: 24
; NumVGPRsForWavesPerEU: 62
; AccumOffset: 64
; Occupancy: 8
; WaveLimiterHint : 0
; COMPUTE_PGM_RSRC2:SCRATCH_EN: 0
; COMPUTE_PGM_RSRC2:USER_SGPR: 6
; COMPUTE_PGM_RSRC2:TRAP_HANDLER: 0
; COMPUTE_PGM_RSRC2:TGID_X_EN: 1
; COMPUTE_PGM_RSRC2:TGID_Y_EN: 0
; COMPUTE_PGM_RSRC2:TGID_Z_EN: 0
; COMPUTE_PGM_RSRC2:TIDIG_COMP_CNT: 0
; COMPUTE_PGM_RSRC3_GFX90A:ACCUM_OFFSET: 15
; COMPUTE_PGM_RSRC3_GFX90A:TG_SPLIT: 0
	.section	.text._ZN9rocsolver6v33100L18trti2_kernel_smallILi6EdPdEEv13rocblas_fill_17rocblas_diagonal_T1_iil,"axG",@progbits,_ZN9rocsolver6v33100L18trti2_kernel_smallILi6EdPdEEv13rocblas_fill_17rocblas_diagonal_T1_iil,comdat
	.globl	_ZN9rocsolver6v33100L18trti2_kernel_smallILi6EdPdEEv13rocblas_fill_17rocblas_diagonal_T1_iil ; -- Begin function _ZN9rocsolver6v33100L18trti2_kernel_smallILi6EdPdEEv13rocblas_fill_17rocblas_diagonal_T1_iil
	.p2align	8
	.type	_ZN9rocsolver6v33100L18trti2_kernel_smallILi6EdPdEEv13rocblas_fill_17rocblas_diagonal_T1_iil,@function
_ZN9rocsolver6v33100L18trti2_kernel_smallILi6EdPdEEv13rocblas_fill_17rocblas_diagonal_T1_iil: ; @_ZN9rocsolver6v33100L18trti2_kernel_smallILi6EdPdEEv13rocblas_fill_17rocblas_diagonal_T1_iil
; %bb.0:
	v_cmp_gt_u32_e32 vcc, 6, v0
	s_and_saveexec_b64 s[0:1], vcc
	s_cbranch_execz .LBB5_110
; %bb.1:
	s_load_dwordx8 s[12:19], s[4:5], 0x0
	s_ashr_i32 s2, s6, 31
	v_lshlrev_b32_e32 v16, 3, v0
	v_mov_b32_e32 v14, 0
	v_mov_b32_e32 v15, 0xbff00000
	s_waitcnt lgkmcnt(0)
	s_mul_i32 s3, s6, s19
	s_mul_hi_u32 s4, s6, s18
	s_add_i32 s3, s4, s3
	s_mul_i32 s2, s2, s18
	s_add_i32 s3, s3, s2
	s_mul_i32 s2, s6, s18
	s_ashr_i32 s1, s16, 31
	s_lshl_b64 s[2:3], s[2:3], 3
	s_mov_b32 s0, s16
	s_add_u32 s2, s14, s2
	s_addc_u32 s3, s15, s3
	s_lshl_b64 s[0:1], s[0:1], 3
	s_add_u32 s0, s2, s0
	s_addc_u32 s1, s3, s1
	v_mov_b32_e32 v1, s1
	v_add_co_u32_e32 v30, vcc, s0, v16
	s_ashr_i32 s3, s17, 31
	s_mov_b32 s2, s17
	v_addc_co_u32_e32 v31, vcc, 0, v1, vcc
	s_lshl_b64 s[2:3], s[2:3], 3
	v_add_co_u32_e32 v32, vcc, s2, v30
	s_add_i32 s2, s17, s17
	v_add_u32_e32 v2, s2, v0
	v_mov_b32_e32 v1, s3
	v_ashrrev_i32_e32 v3, 31, v2
	v_addc_co_u32_e32 v33, vcc, v31, v1, vcc
	v_lshlrev_b64 v[4:5], 3, v[2:3]
	v_add_u32_e32 v2, s17, v2
	v_mov_b32_e32 v1, s1
	v_add_co_u32_e32 v34, vcc, s0, v4
	v_ashrrev_i32_e32 v3, 31, v2
	v_addc_co_u32_e32 v35, vcc, v1, v5, vcc
	v_lshlrev_b64 v[4:5], 3, v[2:3]
	v_add_u32_e32 v2, s17, v2
	v_add_co_u32_e32 v36, vcc, s0, v4
	v_ashrrev_i32_e32 v3, 31, v2
	v_addc_co_u32_e32 v37, vcc, v1, v5, vcc
	v_lshlrev_b64 v[4:5], 3, v[2:3]
	v_add_u32_e32 v2, s17, v2
	v_add_co_u32_e32 v38, vcc, s0, v4
	v_ashrrev_i32_e32 v3, 31, v2
	v_addc_co_u32_e32 v39, vcc, v1, v5, vcc
	global_load_dwordx2 v[4:5], v[32:33], off
	global_load_dwordx2 v[6:7], v[34:35], off
	;; [unrolled: 1-line block ×4, first 2 shown]
	v_lshlrev_b64 v[2:3], 3, v[2:3]
	v_add_co_u32_e32 v40, vcc, s0, v2
	v_addc_co_u32_e32 v41, vcc, v1, v3, vcc
	global_load_dwordx2 v[2:3], v16, s[0:1]
	global_load_dwordx2 v[12:13], v[40:41], off
	s_cmpk_lg_i32 s13, 0x84
	v_mov_b32_e32 v1, 0
	s_cselect_b64 s[14:15], -1, 0
	s_cmpk_eq_i32 s13, 0x84
	v_cmp_eq_u32_e64 s[0:1], 0, v0
	s_cbranch_scc1 .LBB5_3
; %bb.2:
	v_cmp_eq_u32_e64 s[2:3], 1, v0
	s_waitcnt vmcnt(1)
	v_cndmask_b32_e64 v14, v3, v5, s[2:3]
	v_cmp_eq_u32_e64 s[4:5], 2, v0
	v_cndmask_b32_e64 v14, v14, v7, s[4:5]
	v_cmp_eq_u32_e64 s[6:7], 3, v0
	;; [unrolled: 2-line block ×4, first 2 shown]
	s_waitcnt vmcnt(0)
	v_cndmask_b32_e64 v15, v14, v13, s[10:11]
	v_cndmask_b32_e64 v14, v2, v4, s[2:3]
	;; [unrolled: 1-line block ×6, first 2 shown]
	v_div_scale_f64 v[18:19], s[16:17], v[14:15], v[14:15], 1.0
	v_rcp_f64_e32 v[20:21], v[18:19]
	v_fma_f64 v[22:23], -v[18:19], v[20:21], 1.0
	v_fmac_f64_e32 v[20:21], v[20:21], v[22:23]
	v_fma_f64 v[22:23], -v[18:19], v[20:21], 1.0
	v_fmac_f64_e32 v[20:21], v[20:21], v[22:23]
	v_div_scale_f64 v[22:23], vcc, 1.0, v[14:15], 1.0
	v_mul_f64 v[24:25], v[22:23], v[20:21]
	v_fma_f64 v[18:19], -v[18:19], v[24:25], v[22:23]
	s_nop 1
	v_div_fmas_f64 v[18:19], v[18:19], v[20:21], v[24:25]
	v_div_fixup_f64 v[14:15], v[18:19], v[14:15], 1.0
	v_cndmask_b32_e64 v13, v13, v15, s[10:11]
	v_cndmask_b32_e64 v12, v12, v14, s[10:11]
	;; [unrolled: 1-line block ×12, first 2 shown]
	v_xor_b32_e32 v15, 0x80000000, v15
.LBB5_3:
	s_cmpk_eq_i32 s12, 0x79
	v_add_u32_e32 v45, 48, v16
	ds_write_b64 v16, v[14:15]
	s_cbranch_scc1 .LBB5_7
; %bb.4:
	s_waitcnt vmcnt(0)
	v_pk_mov_b32 v[28:29], v[16:17], v[16:17] op_sel:[0,1]
	v_cmp_eq_u32_e64 s[0:1], 5, v0
	v_pk_mov_b32 v[26:27], v[14:15], v[14:15] op_sel:[0,1]
	v_pk_mov_b32 v[24:25], v[12:13], v[12:13] op_sel:[0,1]
	;; [unrolled: 1-line block ×7, first 2 shown]
	ds_write_b64 v45, v[10:11]
	s_waitcnt lgkmcnt(0)
	; wave barrier
	s_waitcnt lgkmcnt(0)
	s_and_saveexec_b64 s[10:11], s[0:1]
	s_cbranch_execz .LBB5_11
; %bb.5:
	s_and_b64 vcc, exec, s[14:15]
	s_cbranch_vccz .LBB5_8
; %bb.6:
	v_cmp_eq_u32_e32 vcc, 1, v0
	v_cndmask_b32_e32 v14, v3, v5, vcc
	v_cmp_eq_u32_e64 s[2:3], 2, v0
	v_cndmask_b32_e64 v14, v14, v7, s[2:3]
	v_cmp_eq_u32_e64 s[4:5], 3, v0
	v_cndmask_b32_e64 v14, v14, v9, s[4:5]
	v_cmp_eq_u32_e64 s[6:7], 4, v0
	v_cndmask_b32_e64 v14, v14, v11, s[6:7]
	v_cmp_eq_u32_e64 s[8:9], 5, v0
	v_cndmask_b32_e64 v15, v14, v13, s[8:9]
	v_cndmask_b32_e32 v14, v2, v4, vcc
	ds_read_b64 v[16:17], v45
	v_cndmask_b32_e64 v14, v14, v6, s[2:3]
	v_cndmask_b32_e64 v14, v14, v8, s[4:5]
	;; [unrolled: 1-line block ×4, first 2 shown]
	s_waitcnt lgkmcnt(0)
	v_mul_f64 v[18:19], v[14:15], v[16:17]
	s_cbranch_execz .LBB5_9
	s_branch .LBB5_10
.LBB5_7:
                                        ; implicit-def: $vgpr14_vgpr15_vgpr16_vgpr17_vgpr18_vgpr19_vgpr20_vgpr21_vgpr22_vgpr23_vgpr24_vgpr25_vgpr26_vgpr27_vgpr28_vgpr29
	s_cbranch_execnz .LBB5_66
	s_branch .LBB5_109
.LBB5_8:
                                        ; implicit-def: $vgpr18_vgpr19
.LBB5_9:
	ds_read_b64 v[18:19], v45
.LBB5_10:
	v_mov_b32_e32 v14, 0
	ds_read_b64 v[20:21], v14 offset:32
	v_mov_b32_e32 v14, v2
	v_mov_b32_e32 v15, v3
	;; [unrolled: 1-line block ×4, first 2 shown]
	s_waitcnt lgkmcnt(0)
	v_mul_f64 v[22:23], v[18:19], v[20:21]
	v_mov_b32_e32 v18, v6
	v_mov_b32_e32 v19, v7
	;; [unrolled: 1-line block ×6, first 2 shown]
.LBB5_11:
	s_or_b64 exec, exec, s[10:11]
	v_cmp_lt_u32_e64 s[2:3], 3, v0
	ds_write_b64 v45, v[20:21]
	s_waitcnt lgkmcnt(0)
	; wave barrier
	s_waitcnt lgkmcnt(0)
	s_and_saveexec_b64 s[12:13], s[2:3]
	s_cbranch_execz .LBB5_17
; %bb.12:
	s_andn2_b64 vcc, exec, s[14:15]
	s_cbranch_vccnz .LBB5_14
; %bb.13:
	v_cmp_eq_u32_e32 vcc, 1, v0
	v_cndmask_b32_e32 v26, v15, v17, vcc
	v_cmp_eq_u32_e64 s[4:5], 2, v0
	v_cndmask_b32_e64 v26, v26, v19, s[4:5]
	v_cmp_eq_u32_e64 s[6:7], 3, v0
	v_cndmask_b32_e64 v21, v26, v21, s[6:7]
	v_cndmask_b32_e32 v28, v14, v16, vcc
	ds_read_b64 v[26:27], v45
	v_cndmask_b32_e64 v28, v28, v18, s[4:5]
	v_cmp_eq_u32_e64 s[8:9], 4, v0
	v_cndmask_b32_e64 v20, v28, v20, s[6:7]
	v_cndmask_b32_e64 v21, v21, v23, s[8:9]
	v_cmp_eq_u32_e64 s[10:11], 5, v0
	v_cndmask_b32_e64 v20, v20, v22, s[8:9]
	v_cndmask_b32_e64 v21, v21, v25, s[10:11]
	;; [unrolled: 1-line block ×3, first 2 shown]
	s_waitcnt lgkmcnt(0)
	v_mul_f64 v[20:21], v[20:21], v[26:27]
	s_cbranch_execz .LBB5_15
	s_branch .LBB5_16
.LBB5_14:
                                        ; implicit-def: $vgpr20_vgpr21
.LBB5_15:
	ds_read_b64 v[20:21], v45
.LBB5_16:
	v_mov_b32_e32 v26, 0
	ds_read2_b64 v[26:29], v26 offset0:3 offset1:10
	s_waitcnt lgkmcnt(0)
	v_fma_f64 v[28:29], v[22:23], v[28:29], v[20:21]
	v_cndmask_b32_e64 v21, v21, v29, s[0:1]
	v_cndmask_b32_e64 v20, v20, v28, s[0:1]
	v_mul_f64 v[20:21], v[20:21], v[26:27]
.LBB5_17:
	s_or_b64 exec, exec, s[12:13]
	v_cmp_lt_u32_e64 s[0:1], 2, v0
	ds_write_b64 v45, v[18:19]
	s_waitcnt lgkmcnt(0)
	; wave barrier
	s_waitcnt lgkmcnt(0)
	s_and_saveexec_b64 s[12:13], s[0:1]
	s_cbranch_execz .LBB5_33
; %bb.18:
	s_andn2_b64 vcc, exec, s[14:15]
	s_cbranch_vccnz .LBB5_20
; %bb.19:
	v_cmp_eq_u32_e32 vcc, 1, v0
	v_cndmask_b32_e32 v42, v15, v17, vcc
	v_cmp_eq_u32_e64 s[4:5], 2, v0
	v_cndmask_b32_e64 v42, v42, v19, s[4:5]
	v_cmp_eq_u32_e64 s[6:7], 3, v0
	v_cndmask_b32_e64 v42, v42, v21, s[6:7]
	v_cmp_eq_u32_e64 s[8:9], 4, v0
	v_cndmask_b32_e64 v42, v42, v23, s[8:9]
	v_cmp_eq_u32_e64 s[10:11], 5, v0
	v_cndmask_b32_e64 v43, v42, v25, s[10:11]
	v_cndmask_b32_e32 v42, v14, v16, vcc
	ds_read_b64 v[46:47], v45
	v_cndmask_b32_e64 v42, v42, v18, s[4:5]
	v_cndmask_b32_e64 v42, v42, v20, s[6:7]
	;; [unrolled: 1-line block ×4, first 2 shown]
	s_waitcnt lgkmcnt(0)
	v_mul_f64 v[42:43], v[42:43], v[46:47]
	s_cbranch_execz .LBB5_21
	s_branch .LBB5_22
.LBB5_20:
                                        ; implicit-def: $vgpr42_vgpr43
.LBB5_21:
	ds_read_b64 v[42:43], v45
.LBB5_22:
	s_and_saveexec_b64 s[6:7], s[2:3]
	s_cbranch_execz .LBB5_32
; %bb.23:
	v_add_u32_e32 v44, -4, v0
	v_add_u32_e32 v47, -3, v0
	v_cmp_lt_u32_e32 vcc, 6, v44
	v_mov_b32_e32 v46, 3
	s_and_saveexec_b64 s[2:3], vcc
	s_cbranch_execz .LBB5_27
; %bb.24:
	v_and_b32_e32 v44, -8, v47
	v_sub_u32_e32 v44, 0, v44
	s_mov_b64 s[4:5], 10
	s_movk_i32 s10, 0x48
	s_mov_b64 s[8:9], 0
.LBB5_25:                               ; =>This Inner Loop Header: Depth=1
	s_lshl_b32 s11, s4, 1
	s_add_i32 s16, s11, -13
	s_set_gpr_idx_on s16, gpr_idx(SRC0)
	v_mov_b32_e32 v53, v14
	s_set_gpr_idx_off
	s_add_i32 s16, s11, -14
	v_mov_b32_e32 v46, s10
	s_set_gpr_idx_on s16, gpr_idx(SRC0)
	v_mov_b32_e32 v52, v14
	s_set_gpr_idx_off
	ds_read2_b64 v[48:51], v46 offset1:1
	s_add_i32 s16, s11, -11
	s_waitcnt lgkmcnt(0)
	v_fmac_f64_e32 v[42:43], v[52:53], v[48:49]
	s_set_gpr_idx_on s16, gpr_idx(SRC0)
	v_mov_b32_e32 v49, v14
	s_set_gpr_idx_off
	s_add_i32 s16, s11, -12
	s_set_gpr_idx_on s16, gpr_idx(SRC0)
	v_mov_b32_e32 v48, v14
	s_set_gpr_idx_off
	s_add_i32 s16, s11, -9
	v_fmac_f64_e32 v[42:43], v[48:49], v[50:51]
	s_set_gpr_idx_on s16, gpr_idx(SRC0)
	v_mov_b32_e32 v53, v14
	s_set_gpr_idx_off
	s_add_i32 s16, s11, -10
	s_set_gpr_idx_on s16, gpr_idx(SRC0)
	v_mov_b32_e32 v52, v14
	s_set_gpr_idx_off
	ds_read2_b64 v[48:51], v46 offset0:2 offset1:3
	s_add_i32 s16, s11, -7
	s_waitcnt lgkmcnt(0)
	v_fmac_f64_e32 v[42:43], v[52:53], v[48:49]
	s_set_gpr_idx_on s16, gpr_idx(SRC0)
	v_mov_b32_e32 v49, v14
	s_set_gpr_idx_off
	s_add_i32 s16, s11, -8
	s_set_gpr_idx_on s16, gpr_idx(SRC0)
	v_mov_b32_e32 v48, v14
	s_set_gpr_idx_off
	s_add_i32 s16, s11, -5
	v_fmac_f64_e32 v[42:43], v[48:49], v[50:51]
	s_set_gpr_idx_on s16, gpr_idx(SRC0)
	v_mov_b32_e32 v53, v14
	s_set_gpr_idx_off
	s_add_i32 s16, s11, -6
	s_set_gpr_idx_on s16, gpr_idx(SRC0)
	v_mov_b32_e32 v52, v14
	s_set_gpr_idx_off
	ds_read2_b64 v[48:51], v46 offset0:4 offset1:5
	;; [unrolled: 20-line block ×3, first 2 shown]
	s_add_u32 s4, s4, 8
	v_add_u32_e32 v46, s4, v44
	s_addc_u32 s5, s5, 0
	s_add_i32 s10, s10, 64
	s_waitcnt lgkmcnt(0)
	v_fmac_f64_e32 v[42:43], v[52:53], v[48:49]
	s_set_gpr_idx_on s11, gpr_idx(SRC0)
	v_mov_b32_e32 v49, v15
	v_mov_b32_e32 v48, v14
	s_set_gpr_idx_off
	v_cmp_eq_u32_e32 vcc, 10, v46
	s_add_i32 s11, s4, -7
	v_fmac_f64_e32 v[42:43], v[48:49], v[50:51]
	s_or_b64 s[8:9], vcc, s[8:9]
	v_mov_b32_e32 v46, s11
	s_andn2_b64 exec, exec, s[8:9]
	s_cbranch_execnz .LBB5_25
; %bb.26:
	s_or_b64 exec, exec, s[8:9]
.LBB5_27:
	s_or_b64 exec, exec, s[2:3]
	v_and_b32_e32 v26, 7, v47
	v_cmp_ne_u32_e32 vcc, 0, v26
	s_and_saveexec_b64 s[8:9], vcc
	s_cbranch_execz .LBB5_31
; %bb.28:
	v_lshl_add_u32 v28, v46, 3, 48
	v_mov_b32_e32 v27, 0
	s_mov_b64 s[10:11], 0
.LBB5_29:                               ; =>This Inner Loop Header: Depth=1
	v_cmp_eq_u32_e32 vcc, 1, v46
	v_cndmask_b32_e32 v29, v15, v17, vcc
	v_add_u32_e32 v26, -1, v26
	v_cmp_eq_u32_e64 s[2:3], 2, v46
	ds_read_b64 v[48:49], v28
	v_cndmask_b32_e64 v29, v29, v19, s[2:3]
	v_cndmask_b32_e32 v44, v14, v16, vcc
	v_cmp_eq_u32_e32 vcc, 0, v26
	v_cmp_eq_u32_e64 s[4:5], 3, v46
	v_cndmask_b32_e64 v29, v29, v21, s[4:5]
	v_cndmask_b32_e64 v44, v44, v18, s[2:3]
	s_or_b64 s[10:11], vcc, s[10:11]
	v_cmp_eq_u32_e32 vcc, 4, v46
	v_cndmask_b32_e32 v29, v29, v23, vcc
	v_cmp_eq_u32_e64 s[2:3], 5, v46
	v_cndmask_b32_e64 v44, v44, v20, s[4:5]
	v_cndmask_b32_e64 v51, v29, v25, s[2:3]
	v_cndmask_b32_e32 v29, v44, v22, vcc
	v_add_co_u32_e64 v46, s[4:5], 1, v46
	v_cndmask_b32_e64 v50, v29, v24, s[2:3]
	v_add_u32_e32 v28, 8, v28
	v_addc_co_u32_e64 v27, s[4:5], 0, v27, s[4:5]
	s_waitcnt lgkmcnt(0)
	v_fmac_f64_e32 v[42:43], v[50:51], v[48:49]
	s_andn2_b64 exec, exec, s[10:11]
	s_cbranch_execnz .LBB5_29
; %bb.30:
	s_or_b64 exec, exec, s[10:11]
.LBB5_31:
	s_or_b64 exec, exec, s[8:9]
.LBB5_32:
	s_or_b64 exec, exec, s[6:7]
	v_mov_b32_e32 v18, 0
	ds_read_b64 v[18:19], v18 offset:16
	s_waitcnt lgkmcnt(0)
	v_mul_f64 v[18:19], v[42:43], v[18:19]
.LBB5_33:
	s_or_b64 exec, exec, s[12:13]
	v_cmp_lt_u32_e64 s[2:3], 1, v0
	ds_write_b64 v45, v[16:17]
	s_waitcnt lgkmcnt(0)
	; wave barrier
	s_waitcnt lgkmcnt(0)
	s_and_saveexec_b64 s[12:13], s[2:3]
	s_cbranch_execz .LBB5_49
; %bb.34:
	s_andn2_b64 vcc, exec, s[14:15]
	s_cbranch_vccnz .LBB5_36
; %bb.35:
	v_cmp_eq_u32_e32 vcc, 1, v0
	v_cndmask_b32_e32 v42, v15, v17, vcc
	v_cmp_eq_u32_e64 s[4:5], 2, v0
	v_cndmask_b32_e64 v42, v42, v19, s[4:5]
	v_cmp_eq_u32_e64 s[6:7], 3, v0
	v_cndmask_b32_e64 v42, v42, v21, s[6:7]
	;; [unrolled: 2-line block ×4, first 2 shown]
	v_cndmask_b32_e32 v42, v14, v16, vcc
	ds_read_b64 v[46:47], v45
	v_cndmask_b32_e64 v42, v42, v18, s[4:5]
	v_cndmask_b32_e64 v42, v42, v20, s[6:7]
	;; [unrolled: 1-line block ×4, first 2 shown]
	s_waitcnt lgkmcnt(0)
	v_mul_f64 v[42:43], v[42:43], v[46:47]
	s_cbranch_execz .LBB5_37
	s_branch .LBB5_38
.LBB5_36:
                                        ; implicit-def: $vgpr42_vgpr43
.LBB5_37:
	ds_read_b64 v[42:43], v45
.LBB5_38:
	s_and_saveexec_b64 s[6:7], s[0:1]
	s_cbranch_execz .LBB5_48
; %bb.39:
	v_add_u32_e32 v44, -3, v0
	v_add_u32_e32 v47, -2, v0
	v_cmp_lt_u32_e32 vcc, 6, v44
	v_mov_b32_e32 v46, 2
	s_and_saveexec_b64 s[0:1], vcc
	s_cbranch_execz .LBB5_43
; %bb.40:
	v_and_b32_e32 v44, -8, v47
	v_sub_u32_e32 v44, 0, v44
	s_mov_b64 s[4:5], 9
	s_mov_b32 s10, 64
	s_mov_b64 s[8:9], 0
.LBB5_41:                               ; =>This Inner Loop Header: Depth=1
	s_lshl_b32 s11, s4, 1
	s_add_i32 s16, s11, -13
	s_set_gpr_idx_on s16, gpr_idx(SRC0)
	v_mov_b32_e32 v65, v14
	s_set_gpr_idx_off
	s_add_i32 s16, s11, -14
	v_mov_b32_e32 v46, s10
	s_set_gpr_idx_on s16, gpr_idx(SRC0)
	v_mov_b32_e32 v64, v14
	s_set_gpr_idx_off
	ds_read_b128 v[48:51], v46
	ds_read_b128 v[52:55], v46 offset:16
	ds_read_b128 v[56:59], v46 offset:32
	;; [unrolled: 1-line block ×3, first 2 shown]
	s_add_i32 s16, s11, -11
	s_waitcnt lgkmcnt(3)
	v_fmac_f64_e32 v[42:43], v[64:65], v[48:49]
	s_set_gpr_idx_on s16, gpr_idx(SRC0)
	v_mov_b32_e32 v49, v14
	s_set_gpr_idx_off
	s_add_i32 s16, s11, -12
	s_set_gpr_idx_on s16, gpr_idx(SRC0)
	v_mov_b32_e32 v48, v14
	s_set_gpr_idx_off
	s_add_i32 s16, s11, -9
	v_fmac_f64_e32 v[42:43], v[48:49], v[50:51]
	s_set_gpr_idx_on s16, gpr_idx(SRC0)
	v_mov_b32_e32 v49, v14
	s_set_gpr_idx_off
	s_add_i32 s16, s11, -10
	s_set_gpr_idx_on s16, gpr_idx(SRC0)
	v_mov_b32_e32 v48, v14
	s_set_gpr_idx_off
	s_add_i32 s16, s11, -7
	s_waitcnt lgkmcnt(2)
	v_fmac_f64_e32 v[42:43], v[48:49], v[52:53]
	s_set_gpr_idx_on s16, gpr_idx(SRC0)
	v_mov_b32_e32 v49, v14
	s_set_gpr_idx_off
	s_add_i32 s16, s11, -8
	s_set_gpr_idx_on s16, gpr_idx(SRC0)
	v_mov_b32_e32 v48, v14
	s_set_gpr_idx_off
	s_add_i32 s16, s11, -5
	v_fmac_f64_e32 v[42:43], v[48:49], v[54:55]
	s_set_gpr_idx_on s16, gpr_idx(SRC0)
	v_mov_b32_e32 v49, v14
	s_set_gpr_idx_off
	s_add_i32 s16, s11, -6
	s_set_gpr_idx_on s16, gpr_idx(SRC0)
	v_mov_b32_e32 v48, v14
	s_set_gpr_idx_off
	;; [unrolled: 19-line block ×3, first 2 shown]
	s_add_u32 s4, s4, 8
	s_waitcnt lgkmcnt(0)
	v_fmac_f64_e32 v[42:43], v[48:49], v[60:61]
	s_set_gpr_idx_on s11, gpr_idx(SRC0)
	v_mov_b32_e32 v49, v15
	s_set_gpr_idx_off
	v_add_u32_e32 v46, s4, v44
	s_set_gpr_idx_on s11, gpr_idx(SRC0)
	v_mov_b32_e32 v48, v14
	s_set_gpr_idx_off
	s_addc_u32 s5, s5, 0
	s_add_i32 s10, s10, 64
	v_cmp_eq_u32_e32 vcc, 9, v46
	s_add_i32 s11, s4, -7
	v_fmac_f64_e32 v[42:43], v[48:49], v[62:63]
	s_or_b64 s[8:9], vcc, s[8:9]
	v_mov_b32_e32 v46, s11
	s_andn2_b64 exec, exec, s[8:9]
	s_cbranch_execnz .LBB5_41
; %bb.42:
	s_or_b64 exec, exec, s[8:9]
.LBB5_43:
	s_or_b64 exec, exec, s[0:1]
	v_and_b32_e32 v26, 7, v47
	v_cmp_ne_u32_e32 vcc, 0, v26
	s_and_saveexec_b64 s[8:9], vcc
	s_cbranch_execz .LBB5_47
; %bb.44:
	v_lshl_add_u32 v28, v46, 3, 48
	v_mov_b32_e32 v27, 0
	s_mov_b64 s[10:11], 0
.LBB5_45:                               ; =>This Inner Loop Header: Depth=1
	v_cmp_eq_u32_e32 vcc, 1, v46
	v_cndmask_b32_e32 v29, v15, v17, vcc
	v_add_u32_e32 v26, -1, v26
	v_cmp_eq_u32_e64 s[0:1], 2, v46
	ds_read_b64 v[48:49], v28
	v_cndmask_b32_e64 v29, v29, v19, s[0:1]
	v_cndmask_b32_e32 v44, v14, v16, vcc
	v_cmp_eq_u32_e32 vcc, 0, v26
	v_cmp_eq_u32_e64 s[4:5], 3, v46
	v_cndmask_b32_e64 v29, v29, v21, s[4:5]
	v_cndmask_b32_e64 v44, v44, v18, s[0:1]
	s_or_b64 s[10:11], vcc, s[10:11]
	v_cmp_eq_u32_e32 vcc, 4, v46
	v_cndmask_b32_e32 v29, v29, v23, vcc
	v_cmp_eq_u32_e64 s[0:1], 5, v46
	v_cndmask_b32_e64 v44, v44, v20, s[4:5]
	v_cndmask_b32_e64 v51, v29, v25, s[0:1]
	v_cndmask_b32_e32 v29, v44, v22, vcc
	v_add_co_u32_e64 v46, s[4:5], 1, v46
	v_cndmask_b32_e64 v50, v29, v24, s[0:1]
	v_add_u32_e32 v28, 8, v28
	v_addc_co_u32_e64 v27, s[4:5], 0, v27, s[4:5]
	s_waitcnt lgkmcnt(0)
	v_fmac_f64_e32 v[42:43], v[50:51], v[48:49]
	s_andn2_b64 exec, exec, s[10:11]
	s_cbranch_execnz .LBB5_45
; %bb.46:
	s_or_b64 exec, exec, s[10:11]
.LBB5_47:
	s_or_b64 exec, exec, s[8:9]
.LBB5_48:
	s_or_b64 exec, exec, s[6:7]
	v_mov_b32_e32 v16, 0
	ds_read_b64 v[16:17], v16 offset:8
	s_waitcnt lgkmcnt(0)
	v_mul_f64 v[16:17], v[42:43], v[16:17]
.LBB5_49:
	s_or_b64 exec, exec, s[12:13]
	v_cmp_ne_u32_e32 vcc, 0, v0
	ds_write_b64 v45, v[14:15]
	s_waitcnt lgkmcnt(0)
	; wave barrier
	s_waitcnt lgkmcnt(0)
	s_and_saveexec_b64 s[10:11], vcc
	s_cbranch_execz .LBB5_65
; %bb.50:
	s_andn2_b64 vcc, exec, s[14:15]
	s_cbranch_vccnz .LBB5_52
; %bb.51:
	v_cmp_eq_u32_e32 vcc, 1, v0
	v_cndmask_b32_e32 v42, v15, v17, vcc
	v_cmp_eq_u32_e64 s[0:1], 2, v0
	v_cndmask_b32_e64 v42, v42, v19, s[0:1]
	v_cmp_eq_u32_e64 s[4:5], 3, v0
	v_cndmask_b32_e64 v42, v42, v21, s[4:5]
	;; [unrolled: 2-line block ×4, first 2 shown]
	v_cndmask_b32_e32 v42, v14, v16, vcc
	ds_read_b64 v[46:47], v45
	v_cndmask_b32_e64 v42, v42, v18, s[0:1]
	v_cndmask_b32_e64 v42, v42, v20, s[4:5]
	;; [unrolled: 1-line block ×4, first 2 shown]
	s_waitcnt lgkmcnt(0)
	v_mul_f64 v[42:43], v[42:43], v[46:47]
	s_cbranch_execz .LBB5_53
	s_branch .LBB5_54
.LBB5_52:
                                        ; implicit-def: $vgpr42_vgpr43
.LBB5_53:
	ds_read_b64 v[42:43], v45
.LBB5_54:
	s_and_saveexec_b64 s[4:5], s[2:3]
	s_cbranch_execz .LBB5_64
; %bb.55:
	v_add_u32_e32 v44, -2, v0
	v_add_u32_e32 v47, -1, v0
	v_cmp_lt_u32_e32 vcc, 6, v44
	v_mov_b32_e32 v46, 1
	s_and_saveexec_b64 s[0:1], vcc
	s_cbranch_execz .LBB5_59
; %bb.56:
	v_and_b32_e32 v44, -8, v47
	v_sub_u32_e32 v44, 0, v44
	s_mov_b64 s[2:3], 8
	s_mov_b32 s8, 56
	s_mov_b64 s[6:7], 0
.LBB5_57:                               ; =>This Inner Loop Header: Depth=1
	s_lshl_b32 s9, s2, 1
	s_add_i32 s12, s9, -13
	v_mov_b32_e32 v62, s8
	s_add_i32 s13, s9, -14
	s_set_gpr_idx_on s12, gpr_idx(SRC0)
	v_mov_b32_e32 v57, v14
	s_set_gpr_idx_off
	s_add_i32 s16, s9, -11
	s_set_gpr_idx_on s13, gpr_idx(SRC0)
	v_mov_b32_e32 v56, v14
	s_set_gpr_idx_off
	ds_read2_b64 v[48:51], v62 offset1:1
	s_add_i32 s17, s9, -12
	s_set_gpr_idx_on s16, gpr_idx(SRC0)
	v_mov_b32_e32 v59, v14
	s_set_gpr_idx_off
	s_add_i32 s18, s9, -9
	s_set_gpr_idx_on s17, gpr_idx(SRC0)
	v_mov_b32_e32 v58, v14
	s_set_gpr_idx_off
	;; [unrolled: 4-line block ×4, first 2 shown]
	ds_read2_b64 v[52:55], v62 offset0:2 offset1:3
	s_add_i32 s21, s9, -8
	s_waitcnt lgkmcnt(1)
	v_fmac_f64_e32 v[42:43], v[56:57], v[48:49]
	s_set_gpr_idx_on s20, gpr_idx(SRC0)
	v_mov_b32_e32 v57, v14
	s_set_gpr_idx_off
	s_add_i32 s22, s9, -5
	v_fmac_f64_e32 v[42:43], v[58:59], v[50:51]
	s_set_gpr_idx_on s21, gpr_idx(SRC0)
	v_mov_b32_e32 v56, v14
	s_set_gpr_idx_off
	s_add_i32 s23, s9, -6
	s_set_gpr_idx_on s22, gpr_idx(SRC0)
	v_mov_b32_e32 v59, v14
	s_set_gpr_idx_off
	s_add_i32 s24, s9, -3
	;; [unrolled: 4-line block ×3, first 2 shown]
	ds_read2_b64 v[48:51], v62 offset0:4 offset1:5
	s_waitcnt lgkmcnt(1)
	v_fmac_f64_e32 v[42:43], v[60:61], v[52:53]
	s_set_gpr_idx_on s24, gpr_idx(SRC0)
	v_mov_b32_e32 v61, v14
	s_set_gpr_idx_off
	s_add_i32 s26, s9, -1
	v_fmac_f64_e32 v[42:43], v[56:57], v[54:55]
	s_set_gpr_idx_on s25, gpr_idx(SRC0)
	v_mov_b32_e32 v60, v14
	s_set_gpr_idx_off
	s_add_i32 s27, s9, -2
	s_set_gpr_idx_on s26, gpr_idx(SRC0)
	v_mov_b32_e32 v57, v14
	s_set_gpr_idx_off
	s_set_gpr_idx_on s27, gpr_idx(SRC0)
	v_mov_b32_e32 v56, v14
	s_set_gpr_idx_off
	ds_read2_b64 v[52:55], v62 offset0:6 offset1:7
	s_add_u32 s2, s2, 8
	s_waitcnt lgkmcnt(1)
	v_fmac_f64_e32 v[42:43], v[58:59], v[48:49]
	s_set_gpr_idx_on s9, gpr_idx(SRC0)
	v_mov_b32_e32 v49, v15
	s_set_gpr_idx_off
	v_add_u32_e32 v46, s2, v44
	v_fmac_f64_e32 v[42:43], v[60:61], v[50:51]
	s_set_gpr_idx_on s9, gpr_idx(SRC0)
	v_mov_b32_e32 v48, v14
	s_set_gpr_idx_off
	s_addc_u32 s3, s3, 0
	s_add_i32 s8, s8, 64
	s_add_i32 s12, s2, -7
	v_cmp_eq_u32_e32 vcc, 8, v46
	s_waitcnt lgkmcnt(0)
	v_fmac_f64_e32 v[42:43], v[56:57], v[52:53]
	v_mov_b32_e32 v46, s12
	s_or_b64 s[6:7], vcc, s[6:7]
	v_fmac_f64_e32 v[42:43], v[48:49], v[54:55]
	s_andn2_b64 exec, exec, s[6:7]
	s_cbranch_execnz .LBB5_57
; %bb.58:
	s_or_b64 exec, exec, s[6:7]
.LBB5_59:
	s_or_b64 exec, exec, s[0:1]
	v_and_b32_e32 v26, 7, v47
	v_cmp_ne_u32_e32 vcc, 0, v26
	s_and_saveexec_b64 s[6:7], vcc
	s_cbranch_execz .LBB5_63
; %bb.60:
	v_lshl_add_u32 v28, v46, 3, 48
	v_mov_b32_e32 v27, 0
	s_mov_b64 s[8:9], 0
.LBB5_61:                               ; =>This Inner Loop Header: Depth=1
	v_cmp_eq_u32_e32 vcc, 1, v46
	v_cndmask_b32_e32 v29, v15, v17, vcc
	v_add_u32_e32 v26, -1, v26
	v_cmp_eq_u32_e64 s[0:1], 2, v46
	ds_read_b64 v[48:49], v28
	v_cndmask_b32_e64 v29, v29, v19, s[0:1]
	v_cndmask_b32_e32 v44, v14, v16, vcc
	v_cmp_eq_u32_e32 vcc, 0, v26
	v_cmp_eq_u32_e64 s[2:3], 3, v46
	v_cndmask_b32_e64 v29, v29, v21, s[2:3]
	v_cndmask_b32_e64 v44, v44, v18, s[0:1]
	s_or_b64 s[8:9], vcc, s[8:9]
	v_cmp_eq_u32_e32 vcc, 4, v46
	v_cndmask_b32_e32 v29, v29, v23, vcc
	v_cmp_eq_u32_e64 s[0:1], 5, v46
	v_cndmask_b32_e64 v44, v44, v20, s[2:3]
	v_cndmask_b32_e64 v51, v29, v25, s[0:1]
	v_cndmask_b32_e32 v29, v44, v22, vcc
	v_add_co_u32_e64 v46, s[2:3], 1, v46
	v_cndmask_b32_e64 v50, v29, v24, s[0:1]
	v_add_u32_e32 v28, 8, v28
	v_addc_co_u32_e64 v27, s[2:3], 0, v27, s[2:3]
	s_waitcnt lgkmcnt(0)
	v_fmac_f64_e32 v[42:43], v[50:51], v[48:49]
	s_andn2_b64 exec, exec, s[8:9]
	s_cbranch_execnz .LBB5_61
; %bb.62:
	s_or_b64 exec, exec, s[8:9]
.LBB5_63:
	s_or_b64 exec, exec, s[6:7]
.LBB5_64:
	s_or_b64 exec, exec, s[4:5]
	v_mov_b32_e32 v14, 0
	ds_read_b64 v[14:15], v14
	s_waitcnt lgkmcnt(0)
	v_mul_f64 v[14:15], v[42:43], v[14:15]
.LBB5_65:
	s_or_b64 exec, exec, s[10:11]
	s_branch .LBB5_109
.LBB5_66:
	v_cmp_eq_u32_e64 s[2:3], 0, v0
	s_waitcnt vmcnt(5)
	ds_write_b64 v45, v[4:5]
	s_waitcnt lgkmcnt(0)
	; wave barrier
	s_waitcnt lgkmcnt(0)
	s_and_saveexec_b64 s[10:11], s[2:3]
	s_cbranch_execz .LBB5_72
; %bb.67:
	s_and_b64 vcc, exec, s[14:15]
	s_cbranch_vccz .LBB5_69
; %bb.68:
	v_cmp_eq_u32_e32 vcc, 1, v0
	s_waitcnt vmcnt(1)
	v_cndmask_b32_e32 v5, v3, v5, vcc
	v_cmp_eq_u32_e64 s[0:1], 2, v0
	v_cndmask_b32_e32 v4, v2, v4, vcc
	ds_read_b64 v[14:15], v45
	v_cndmask_b32_e64 v5, v5, v7, s[0:1]
	v_cmp_eq_u32_e64 s[4:5], 3, v0
	v_cndmask_b32_e64 v4, v4, v6, s[0:1]
	v_cndmask_b32_e64 v5, v5, v9, s[4:5]
	v_cmp_eq_u32_e64 s[6:7], 4, v0
	v_cndmask_b32_e64 v4, v4, v8, s[4:5]
	;; [unrolled: 3-line block ×3, first 2 shown]
	s_waitcnt vmcnt(0)
	v_cndmask_b32_e64 v5, v5, v13, s[8:9]
	v_cndmask_b32_e64 v4, v4, v12, s[8:9]
	s_waitcnt lgkmcnt(0)
	v_mul_f64 v[4:5], v[4:5], v[14:15]
	s_cbranch_execz .LBB5_70
	s_branch .LBB5_71
.LBB5_69:
                                        ; implicit-def: $vgpr4_vgpr5
.LBB5_70:
	ds_read_b64 v[4:5], v45
.LBB5_71:
	v_mov_b32_e32 v14, 0
	ds_read_b64 v[14:15], v14 offset:8
	s_waitcnt lgkmcnt(0)
	v_mul_f64 v[4:5], v[4:5], v[14:15]
.LBB5_72:
	s_or_b64 exec, exec, s[10:11]
	v_cndmask_b32_e64 v14, 0, 1, s[14:15]
	v_add_u32_e32 v16, 1, v0
	v_cmp_gt_u32_e32 vcc, 2, v0
	v_cmp_ne_u32_e64 s[0:1], 1, v14
	s_waitcnt vmcnt(4)
	ds_write_b64 v45, v[6:7]
	s_waitcnt lgkmcnt(0)
	; wave barrier
	s_waitcnt lgkmcnt(0)
	s_and_saveexec_b64 s[12:13], vcc
	s_cbranch_execz .LBB5_80
; %bb.73:
	s_and_b64 vcc, exec, s[0:1]
	s_cbranch_vccnz .LBB5_75
; %bb.74:
	v_cmp_eq_u32_e32 vcc, 1, v0
	s_waitcnt vmcnt(1)
	v_cndmask_b32_e32 v14, v3, v5, vcc
	v_cmp_eq_u32_e64 s[4:5], 2, v0
	v_cndmask_b32_e64 v14, v14, v7, s[4:5]
	v_cmp_eq_u32_e64 s[6:7], 3, v0
	v_cndmask_b32_e64 v14, v14, v9, s[6:7]
	;; [unrolled: 2-line block ×3, first 2 shown]
	v_cmp_eq_u32_e64 s[10:11], 5, v0
	s_waitcnt vmcnt(0)
	v_cndmask_b32_e64 v15, v14, v13, s[10:11]
	v_cndmask_b32_e32 v14, v2, v4, vcc
	ds_read_b64 v[18:19], v45
	v_cndmask_b32_e64 v14, v14, v6, s[4:5]
	v_cndmask_b32_e64 v14, v14, v8, s[6:7]
	;; [unrolled: 1-line block ×4, first 2 shown]
	s_waitcnt lgkmcnt(0)
	v_mul_f64 v[14:15], v[14:15], v[18:19]
	s_cbranch_execz .LBB5_76
	s_branch .LBB5_77
.LBB5_75:
                                        ; implicit-def: $vgpr14_vgpr15
.LBB5_76:
	ds_read_b64 v[14:15], v45
.LBB5_77:
	s_and_saveexec_b64 s[14:15], s[2:3]
	s_cbranch_execz .LBB5_79
; %bb.78:
	v_cmp_eq_u32_e32 vcc, 1, v16
	s_waitcnt vmcnt(1)
	v_cndmask_b32_e32 v17, v3, v5, vcc
	v_cmp_eq_u32_e64 s[4:5], 2, v16
	v_cndmask_b32_e64 v7, v17, v7, s[4:5]
	v_cndmask_b32_e32 v17, v2, v4, vcc
	ds_read_b64 v[18:19], v45 offset:8
	v_cmp_eq_u32_e64 s[6:7], 3, v16
	v_cndmask_b32_e64 v6, v17, v6, s[4:5]
	v_cndmask_b32_e64 v7, v7, v9, s[6:7]
	v_cmp_eq_u32_e64 s[8:9], 4, v16
	v_cndmask_b32_e64 v6, v6, v8, s[6:7]
	v_cndmask_b32_e64 v7, v7, v11, s[8:9]
	v_cmp_eq_u32_e64 s[10:11], 5, v16
	v_cndmask_b32_e64 v6, v6, v10, s[8:9]
	s_waitcnt vmcnt(0)
	v_cndmask_b32_e64 v7, v7, v13, s[10:11]
	v_cndmask_b32_e64 v6, v6, v12, s[10:11]
	s_waitcnt lgkmcnt(0)
	v_fmac_f64_e32 v[14:15], v[6:7], v[18:19]
.LBB5_79:
	s_or_b64 exec, exec, s[14:15]
	v_mov_b32_e32 v6, 0
	ds_read_b64 v[6:7], v6 offset:16
	s_waitcnt lgkmcnt(0)
	v_mul_f64 v[6:7], v[14:15], v[6:7]
.LBB5_80:
	s_or_b64 exec, exec, s[12:13]
	v_cmp_gt_u32_e32 vcc, 3, v0
	s_waitcnt vmcnt(3)
	ds_write_b64 v45, v[8:9]
	s_waitcnt lgkmcnt(0)
	; wave barrier
	s_waitcnt lgkmcnt(0)
	s_and_saveexec_b64 s[12:13], vcc
	s_cbranch_execz .LBB5_88
; %bb.81:
	s_and_b64 vcc, exec, s[0:1]
	s_cbranch_vccnz .LBB5_83
; %bb.82:
	v_cmp_eq_u32_e32 vcc, 1, v0
	s_waitcnt vmcnt(1)
	v_cndmask_b32_e32 v14, v3, v5, vcc
	v_cmp_eq_u32_e64 s[4:5], 2, v0
	v_cndmask_b32_e64 v14, v14, v7, s[4:5]
	v_cmp_eq_u32_e64 s[6:7], 3, v0
	v_cndmask_b32_e64 v14, v14, v9, s[6:7]
	;; [unrolled: 2-line block ×3, first 2 shown]
	v_cmp_eq_u32_e64 s[10:11], 5, v0
	s_waitcnt vmcnt(0)
	v_cndmask_b32_e64 v15, v14, v13, s[10:11]
	v_cndmask_b32_e32 v14, v2, v4, vcc
	ds_read_b64 v[18:19], v45
	v_cndmask_b32_e64 v14, v14, v6, s[4:5]
	v_cndmask_b32_e64 v14, v14, v8, s[6:7]
	;; [unrolled: 1-line block ×4, first 2 shown]
	s_waitcnt lgkmcnt(0)
	v_mul_f64 v[14:15], v[14:15], v[18:19]
	s_cbranch_execz .LBB5_84
	s_branch .LBB5_85
.LBB5_83:
                                        ; implicit-def: $vgpr14_vgpr15
.LBB5_84:
	ds_read_b64 v[14:15], v45
.LBB5_85:
	v_cmp_ne_u32_e32 vcc, 2, v0
	s_and_saveexec_b64 s[14:15], vcc
	s_cbranch_execz .LBB5_87
; %bb.86:
	v_cmp_eq_u32_e32 vcc, 1, v16
	s_waitcnt vmcnt(1)
	v_cndmask_b32_e32 v17, v3, v5, vcc
	v_cmp_eq_u32_e64 s[4:5], 2, v16
	v_cndmask_b32_e64 v17, v17, v7, s[4:5]
	v_cmp_eq_u32_e64 s[6:7], 3, v16
	v_cmp_eq_u32_e64 s[8:9], 4, v16
	;; [unrolled: 1-line block ×3, first 2 shown]
	v_cndmask_b32_e32 v16, v2, v4, vcc
	v_mov_b32_e32 v18, 0
	v_cndmask_b32_e64 v9, v17, v9, s[6:7]
	v_cndmask_b32_e64 v20, v16, v6, s[4:5]
	ds_read_b64 v[16:17], v45 offset:8
	ds_read_b64 v[18:19], v18 offset:64
	v_cndmask_b32_e64 v8, v20, v8, s[6:7]
	v_cndmask_b32_e64 v9, v9, v11, s[8:9]
	;; [unrolled: 1-line block ×3, first 2 shown]
	s_waitcnt vmcnt(0)
	v_cndmask_b32_e64 v9, v9, v13, s[10:11]
	v_cndmask_b32_e64 v8, v8, v12, s[10:11]
	s_waitcnt lgkmcnt(1)
	v_fmac_f64_e32 v[14:15], v[8:9], v[16:17]
	s_waitcnt lgkmcnt(0)
	v_fma_f64 v[8:9], v[6:7], v[18:19], v[14:15]
	v_cndmask_b32_e64 v15, v15, v9, s[2:3]
	v_cndmask_b32_e64 v14, v14, v8, s[2:3]
.LBB5_87:
	s_or_b64 exec, exec, s[14:15]
	v_mov_b32_e32 v8, 0
	ds_read_b64 v[8:9], v8 offset:24
	s_waitcnt lgkmcnt(0)
	v_mul_f64 v[8:9], v[14:15], v[8:9]
.LBB5_88:
	s_or_b64 exec, exec, s[12:13]
	v_cmp_gt_u32_e64 s[2:3], 4, v0
	s_waitcnt vmcnt(2)
	ds_write_b64 v45, v[10:11]
	s_waitcnt lgkmcnt(0)
	; wave barrier
	s_waitcnt lgkmcnt(0)
	s_and_saveexec_b64 s[12:13], s[2:3]
	s_cbranch_execz .LBB5_98
; %bb.89:
	s_and_b64 vcc, exec, s[0:1]
	s_cbranch_vccnz .LBB5_91
; %bb.90:
	v_cmp_eq_u32_e32 vcc, 1, v0
	s_waitcnt vmcnt(1)
	v_cndmask_b32_e32 v14, v3, v5, vcc
	v_cmp_eq_u32_e64 s[4:5], 2, v0
	v_cndmask_b32_e64 v14, v14, v7, s[4:5]
	v_cmp_eq_u32_e64 s[6:7], 3, v0
	v_cndmask_b32_e64 v14, v14, v9, s[6:7]
	;; [unrolled: 2-line block ×3, first 2 shown]
	v_cmp_eq_u32_e64 s[10:11], 5, v0
	s_waitcnt vmcnt(0)
	v_cndmask_b32_e64 v15, v14, v13, s[10:11]
	v_cndmask_b32_e32 v14, v2, v4, vcc
	ds_read_b64 v[16:17], v45
	v_cndmask_b32_e64 v14, v14, v6, s[4:5]
	v_cndmask_b32_e64 v14, v14, v8, s[6:7]
	;; [unrolled: 1-line block ×4, first 2 shown]
	s_waitcnt lgkmcnt(0)
	v_mul_f64 v[14:15], v[14:15], v[16:17]
	s_cbranch_execz .LBB5_92
	s_branch .LBB5_93
.LBB5_91:
                                        ; implicit-def: $vgpr14_vgpr15
.LBB5_92:
	ds_read_b64 v[14:15], v45
.LBB5_93:
	v_cmp_ne_u32_e32 vcc, 3, v0
	s_and_saveexec_b64 s[8:9], vcc
	s_cbranch_execz .LBB5_97
; %bb.94:
	v_lshl_add_u32 v18, v0, 3, 56
	s_mov_b64 s[10:11], 0
	v_pk_mov_b32 v[16:17], v[0:1], v[0:1] op_sel:[0,1]
.LBB5_95:                               ; =>This Inner Loop Header: Depth=1
	v_add_co_u32_e32 v16, vcc, 1, v16
	v_addc_co_u32_e32 v17, vcc, 0, v17, vcc
	v_cmp_eq_u32_e32 vcc, 1, v16
	s_waitcnt vmcnt(1)
	v_cndmask_b32_e32 v19, v3, v5, vcc
	v_cmp_eq_u32_e64 s[6:7], 2, v16
	ds_read_b64 v[20:21], v18
	v_cmp_lt_u32_e64 s[4:5], 2, v16
	v_cndmask_b32_e64 v19, v19, v7, s[6:7]
	v_cndmask_b32_e32 v22, v2, v4, vcc
	v_cmp_eq_u32_e32 vcc, 3, v16
	s_or_b64 s[10:11], s[4:5], s[10:11]
	v_cndmask_b32_e32 v19, v19, v9, vcc
	v_cndmask_b32_e64 v22, v22, v6, s[6:7]
	v_cmp_eq_u32_e64 s[4:5], 4, v16
	v_cndmask_b32_e64 v19, v19, v11, s[4:5]
	v_cndmask_b32_e32 v22, v22, v8, vcc
	v_cmp_eq_u32_e32 vcc, 5, v16
	s_waitcnt vmcnt(0)
	v_cndmask_b32_e32 v23, v19, v13, vcc
	v_cndmask_b32_e64 v19, v22, v10, s[4:5]
	v_cndmask_b32_e32 v22, v19, v12, vcc
	v_add_u32_e32 v18, 8, v18
	s_waitcnt lgkmcnt(0)
	v_fmac_f64_e32 v[14:15], v[22:23], v[20:21]
	s_andn2_b64 exec, exec, s[10:11]
	s_cbranch_execnz .LBB5_95
; %bb.96:
	s_or_b64 exec, exec, s[10:11]
.LBB5_97:
	s_or_b64 exec, exec, s[8:9]
	v_mov_b32_e32 v10, 0
	ds_read_b64 v[10:11], v10 offset:32
	s_waitcnt lgkmcnt(0)
	v_mul_f64 v[10:11], v[14:15], v[10:11]
.LBB5_98:
	s_or_b64 exec, exec, s[12:13]
	v_cmp_ne_u32_e32 vcc, 5, v0
	s_waitcnt vmcnt(0)
	ds_write_b64 v45, v[12:13]
	s_waitcnt lgkmcnt(0)
	; wave barrier
	s_waitcnt lgkmcnt(0)
	s_and_saveexec_b64 s[10:11], vcc
	s_cbranch_execz .LBB5_108
; %bb.99:
	s_and_b64 vcc, exec, s[0:1]
	s_cbranch_vccnz .LBB5_101
; %bb.100:
	v_cmp_eq_u32_e32 vcc, 1, v0
	v_cndmask_b32_e32 v14, v3, v5, vcc
	v_cmp_eq_u32_e64 s[0:1], 2, v0
	v_cndmask_b32_e64 v14, v14, v7, s[0:1]
	v_cmp_eq_u32_e64 s[4:5], 3, v0
	v_cndmask_b32_e64 v14, v14, v9, s[4:5]
	;; [unrolled: 2-line block ×4, first 2 shown]
	v_cndmask_b32_e32 v14, v2, v4, vcc
	ds_read_b64 v[16:17], v45
	v_cndmask_b32_e64 v14, v14, v6, s[0:1]
	v_cndmask_b32_e64 v14, v14, v8, s[4:5]
	;; [unrolled: 1-line block ×4, first 2 shown]
	s_waitcnt lgkmcnt(0)
	v_mul_f64 v[14:15], v[14:15], v[16:17]
	s_cbranch_execz .LBB5_102
	s_branch .LBB5_103
.LBB5_101:
                                        ; implicit-def: $vgpr14_vgpr15
.LBB5_102:
	ds_read_b64 v[14:15], v45
.LBB5_103:
	s_and_saveexec_b64 s[4:5], s[2:3]
	s_cbranch_execz .LBB5_107
; %bb.104:
	v_lshl_add_u32 v16, v0, 3, 56
	s_mov_b64 s[6:7], 0
.LBB5_105:                              ; =>This Inner Loop Header: Depth=1
	v_add_co_u32_e32 v0, vcc, 1, v0
	v_addc_co_u32_e32 v1, vcc, 0, v1, vcc
	v_cmp_eq_u32_e32 vcc, 1, v0
	v_cndmask_b32_e32 v17, v3, v5, vcc
	v_cmp_eq_u32_e64 s[2:3], 2, v0
	ds_read_b64 v[18:19], v16
	v_cmp_lt_u32_e64 s[0:1], 3, v0
	v_cndmask_b32_e64 v17, v17, v7, s[2:3]
	v_cndmask_b32_e32 v20, v2, v4, vcc
	v_cmp_eq_u32_e32 vcc, 3, v0
	s_or_b64 s[6:7], s[0:1], s[6:7]
	v_cndmask_b32_e32 v17, v17, v9, vcc
	v_cndmask_b32_e64 v20, v20, v6, s[2:3]
	v_cmp_eq_u32_e64 s[0:1], 4, v0
	v_cndmask_b32_e64 v17, v17, v11, s[0:1]
	v_cndmask_b32_e32 v20, v20, v8, vcc
	v_cmp_eq_u32_e32 vcc, 5, v0
	v_cndmask_b32_e32 v21, v17, v13, vcc
	v_cndmask_b32_e64 v17, v20, v10, s[0:1]
	v_cndmask_b32_e32 v20, v17, v12, vcc
	v_add_u32_e32 v16, 8, v16
	s_waitcnt lgkmcnt(0)
	v_fmac_f64_e32 v[14:15], v[20:21], v[18:19]
	s_andn2_b64 exec, exec, s[6:7]
	s_cbranch_execnz .LBB5_105
; %bb.106:
	s_or_b64 exec, exec, s[6:7]
.LBB5_107:
	s_or_b64 exec, exec, s[4:5]
	v_mov_b32_e32 v0, 0
	ds_read_b64 v[0:1], v0 offset:40
	s_waitcnt lgkmcnt(0)
	v_mul_f64 v[12:13], v[14:15], v[0:1]
.LBB5_108:
	s_or_b64 exec, exec, s[10:11]
	v_pk_mov_b32 v[28:29], v[16:17], v[16:17] op_sel:[0,1]
	v_pk_mov_b32 v[26:27], v[14:15], v[14:15] op_sel:[0,1]
	;; [unrolled: 1-line block ×8, first 2 shown]
.LBB5_109:
	global_store_dwordx2 v[30:31], v[14:15], off
	global_store_dwordx2 v[32:33], v[16:17], off
	;; [unrolled: 1-line block ×6, first 2 shown]
.LBB5_110:
	s_endpgm
	.section	.rodata,"a",@progbits
	.p2align	6, 0x0
	.amdhsa_kernel _ZN9rocsolver6v33100L18trti2_kernel_smallILi6EdPdEEv13rocblas_fill_17rocblas_diagonal_T1_iil
		.amdhsa_group_segment_fixed_size 96
		.amdhsa_private_segment_fixed_size 0
		.amdhsa_kernarg_size 32
		.amdhsa_user_sgpr_count 6
		.amdhsa_user_sgpr_private_segment_buffer 1
		.amdhsa_user_sgpr_dispatch_ptr 0
		.amdhsa_user_sgpr_queue_ptr 0
		.amdhsa_user_sgpr_kernarg_segment_ptr 1
		.amdhsa_user_sgpr_dispatch_id 0
		.amdhsa_user_sgpr_flat_scratch_init 0
		.amdhsa_user_sgpr_kernarg_preload_length 0
		.amdhsa_user_sgpr_kernarg_preload_offset 0
		.amdhsa_user_sgpr_private_segment_size 0
		.amdhsa_uses_dynamic_stack 0
		.amdhsa_system_sgpr_private_segment_wavefront_offset 0
		.amdhsa_system_sgpr_workgroup_id_x 1
		.amdhsa_system_sgpr_workgroup_id_y 0
		.amdhsa_system_sgpr_workgroup_id_z 0
		.amdhsa_system_sgpr_workgroup_info 0
		.amdhsa_system_vgpr_workitem_id 0
		.amdhsa_next_free_vgpr 66
		.amdhsa_next_free_sgpr 28
		.amdhsa_accum_offset 68
		.amdhsa_reserve_vcc 1
		.amdhsa_reserve_flat_scratch 0
		.amdhsa_float_round_mode_32 0
		.amdhsa_float_round_mode_16_64 0
		.amdhsa_float_denorm_mode_32 3
		.amdhsa_float_denorm_mode_16_64 3
		.amdhsa_dx10_clamp 1
		.amdhsa_ieee_mode 1
		.amdhsa_fp16_overflow 0
		.amdhsa_tg_split 0
		.amdhsa_exception_fp_ieee_invalid_op 0
		.amdhsa_exception_fp_denorm_src 0
		.amdhsa_exception_fp_ieee_div_zero 0
		.amdhsa_exception_fp_ieee_overflow 0
		.amdhsa_exception_fp_ieee_underflow 0
		.amdhsa_exception_fp_ieee_inexact 0
		.amdhsa_exception_int_div_zero 0
	.end_amdhsa_kernel
	.section	.text._ZN9rocsolver6v33100L18trti2_kernel_smallILi6EdPdEEv13rocblas_fill_17rocblas_diagonal_T1_iil,"axG",@progbits,_ZN9rocsolver6v33100L18trti2_kernel_smallILi6EdPdEEv13rocblas_fill_17rocblas_diagonal_T1_iil,comdat
.Lfunc_end5:
	.size	_ZN9rocsolver6v33100L18trti2_kernel_smallILi6EdPdEEv13rocblas_fill_17rocblas_diagonal_T1_iil, .Lfunc_end5-_ZN9rocsolver6v33100L18trti2_kernel_smallILi6EdPdEEv13rocblas_fill_17rocblas_diagonal_T1_iil
                                        ; -- End function
	.section	.AMDGPU.csdata,"",@progbits
; Kernel info:
; codeLenInByte = 5644
; NumSgprs: 32
; NumVgprs: 66
; NumAgprs: 0
; TotalNumVgprs: 66
; ScratchSize: 0
; MemoryBound: 0
; FloatMode: 240
; IeeeMode: 1
; LDSByteSize: 96 bytes/workgroup (compile time only)
; SGPRBlocks: 3
; VGPRBlocks: 8
; NumSGPRsForWavesPerEU: 32
; NumVGPRsForWavesPerEU: 66
; AccumOffset: 68
; Occupancy: 7
; WaveLimiterHint : 0
; COMPUTE_PGM_RSRC2:SCRATCH_EN: 0
; COMPUTE_PGM_RSRC2:USER_SGPR: 6
; COMPUTE_PGM_RSRC2:TRAP_HANDLER: 0
; COMPUTE_PGM_RSRC2:TGID_X_EN: 1
; COMPUTE_PGM_RSRC2:TGID_Y_EN: 0
; COMPUTE_PGM_RSRC2:TGID_Z_EN: 0
; COMPUTE_PGM_RSRC2:TIDIG_COMP_CNT: 0
; COMPUTE_PGM_RSRC3_GFX90A:ACCUM_OFFSET: 16
; COMPUTE_PGM_RSRC3_GFX90A:TG_SPLIT: 0
	.section	.text._ZN9rocsolver6v33100L18trti2_kernel_smallILi7EdPdEEv13rocblas_fill_17rocblas_diagonal_T1_iil,"axG",@progbits,_ZN9rocsolver6v33100L18trti2_kernel_smallILi7EdPdEEv13rocblas_fill_17rocblas_diagonal_T1_iil,comdat
	.globl	_ZN9rocsolver6v33100L18trti2_kernel_smallILi7EdPdEEv13rocblas_fill_17rocblas_diagonal_T1_iil ; -- Begin function _ZN9rocsolver6v33100L18trti2_kernel_smallILi7EdPdEEv13rocblas_fill_17rocblas_diagonal_T1_iil
	.p2align	8
	.type	_ZN9rocsolver6v33100L18trti2_kernel_smallILi7EdPdEEv13rocblas_fill_17rocblas_diagonal_T1_iil,@function
_ZN9rocsolver6v33100L18trti2_kernel_smallILi7EdPdEEv13rocblas_fill_17rocblas_diagonal_T1_iil: ; @_ZN9rocsolver6v33100L18trti2_kernel_smallILi7EdPdEEv13rocblas_fill_17rocblas_diagonal_T1_iil
; %bb.0:
	v_cmp_gt_u32_e32 vcc, 7, v0
	s_and_saveexec_b64 s[0:1], vcc
	s_cbranch_execz .LBB6_136
; %bb.1:
	s_load_dwordx8 s[16:23], s[4:5], 0x0
	s_ashr_i32 s2, s6, 31
	v_lshlrev_b32_e32 v18, 3, v0
	v_mov_b32_e32 v16, 0
	v_mov_b32_e32 v17, 0xbff00000
	s_waitcnt lgkmcnt(0)
	s_mul_i32 s3, s6, s23
	s_mul_hi_u32 s4, s6, s22
	s_add_i32 s3, s4, s3
	s_mul_i32 s2, s2, s22
	s_add_i32 s3, s3, s2
	s_mul_i32 s2, s6, s22
	s_ashr_i32 s1, s20, 31
	s_lshl_b64 s[2:3], s[2:3], 3
	s_mov_b32 s0, s20
	s_add_u32 s2, s18, s2
	s_addc_u32 s3, s19, s3
	s_lshl_b64 s[0:1], s[0:1], 3
	s_add_u32 s0, s2, s0
	s_addc_u32 s1, s3, s1
	v_mov_b32_e32 v1, s1
	v_add_co_u32_e32 v32, vcc, s0, v18
	s_ashr_i32 s3, s21, 31
	s_mov_b32 s2, s21
	v_addc_co_u32_e32 v33, vcc, 0, v1, vcc
	s_lshl_b64 s[2:3], s[2:3], 3
	v_add_co_u32_e32 v34, vcc, s2, v32
	s_add_i32 s2, s21, s21
	v_add_u32_e32 v2, s2, v0
	v_mov_b32_e32 v1, s3
	v_ashrrev_i32_e32 v3, 31, v2
	v_addc_co_u32_e32 v35, vcc, v33, v1, vcc
	v_lshlrev_b64 v[4:5], 3, v[2:3]
	v_add_u32_e32 v2, s21, v2
	v_mov_b32_e32 v1, s1
	v_add_co_u32_e32 v36, vcc, s0, v4
	v_ashrrev_i32_e32 v3, 31, v2
	v_addc_co_u32_e32 v37, vcc, v1, v5, vcc
	v_lshlrev_b64 v[4:5], 3, v[2:3]
	v_add_u32_e32 v2, s21, v2
	v_add_co_u32_e32 v38, vcc, s0, v4
	v_ashrrev_i32_e32 v3, 31, v2
	v_addc_co_u32_e32 v39, vcc, v1, v5, vcc
	v_lshlrev_b64 v[4:5], 3, v[2:3]
	v_add_u32_e32 v2, s21, v2
	v_add_co_u32_e32 v40, vcc, s0, v4
	v_ashrrev_i32_e32 v3, 31, v2
	v_addc_co_u32_e32 v41, vcc, v1, v5, vcc
	v_lshlrev_b64 v[12:13], 3, v[2:3]
	v_add_u32_e32 v2, s21, v2
	v_add_co_u32_e32 v42, vcc, s0, v12
	v_ashrrev_i32_e32 v3, 31, v2
	global_load_dwordx2 v[4:5], v[34:35], off
	global_load_dwordx2 v[6:7], v[36:37], off
	;; [unrolled: 1-line block ×4, first 2 shown]
	v_addc_co_u32_e32 v43, vcc, v1, v13, vcc
	v_lshlrev_b64 v[2:3], 3, v[2:3]
	v_add_co_u32_e32 v44, vcc, s0, v2
	global_load_dwordx2 v[12:13], v[42:43], off
	v_addc_co_u32_e32 v45, vcc, v1, v3, vcc
	global_load_dwordx2 v[2:3], v18, s[0:1]
	global_load_dwordx2 v[14:15], v[44:45], off
	s_cmpk_lg_i32 s17, 0x84
	v_mov_b32_e32 v1, 0
	s_cselect_b64 s[14:15], -1, 0
	s_cmpk_eq_i32 s17, 0x84
	v_cmp_eq_u32_e64 s[0:1], 0, v0
	s_cbranch_scc1 .LBB6_3
; %bb.2:
	v_cmp_eq_u32_e64 s[2:3], 1, v0
	s_waitcnt vmcnt(1)
	v_cndmask_b32_e64 v16, v3, v5, s[2:3]
	v_cmp_eq_u32_e64 s[4:5], 2, v0
	v_cndmask_b32_e64 v16, v16, v7, s[4:5]
	v_cmp_eq_u32_e64 s[6:7], 3, v0
	;; [unrolled: 2-line block ×5, first 2 shown]
	s_waitcnt vmcnt(0)
	v_cndmask_b32_e64 v17, v16, v15, s[12:13]
	v_cndmask_b32_e64 v16, v2, v4, s[2:3]
	v_cndmask_b32_e64 v16, v16, v6, s[4:5]
	v_cndmask_b32_e64 v16, v16, v8, s[6:7]
	v_cndmask_b32_e64 v16, v16, v10, s[8:9]
	v_cndmask_b32_e64 v16, v16, v12, s[10:11]
	v_cndmask_b32_e64 v16, v16, v14, s[12:13]
	v_div_scale_f64 v[20:21], s[18:19], v[16:17], v[16:17], 1.0
	v_rcp_f64_e32 v[22:23], v[20:21]
	v_fma_f64 v[24:25], -v[20:21], v[22:23], 1.0
	v_fmac_f64_e32 v[22:23], v[22:23], v[24:25]
	v_fma_f64 v[24:25], -v[20:21], v[22:23], 1.0
	v_fmac_f64_e32 v[22:23], v[22:23], v[24:25]
	v_div_scale_f64 v[24:25], vcc, 1.0, v[16:17], 1.0
	v_mul_f64 v[26:27], v[24:25], v[22:23]
	v_fma_f64 v[20:21], -v[20:21], v[26:27], v[24:25]
	s_nop 1
	v_div_fmas_f64 v[20:21], v[20:21], v[22:23], v[26:27]
	v_div_fixup_f64 v[16:17], v[20:21], v[16:17], 1.0
	v_cndmask_b32_e64 v15, v15, v17, s[12:13]
	v_cndmask_b32_e64 v14, v14, v16, s[12:13]
	v_cndmask_b32_e64 v13, v13, v17, s[10:11]
	v_cndmask_b32_e64 v12, v12, v16, s[10:11]
	v_cndmask_b32_e64 v11, v11, v17, s[8:9]
	v_cndmask_b32_e64 v10, v10, v16, s[8:9]
	v_cndmask_b32_e64 v9, v9, v17, s[6:7]
	v_cndmask_b32_e64 v8, v8, v16, s[6:7]
	v_cndmask_b32_e64 v7, v7, v17, s[4:5]
	v_cndmask_b32_e64 v6, v6, v16, s[4:5]
	v_cndmask_b32_e64 v5, v5, v17, s[2:3]
	v_cndmask_b32_e64 v4, v4, v16, s[2:3]
	v_cndmask_b32_e64 v3, v3, v17, s[0:1]
	v_cndmask_b32_e64 v2, v2, v16, s[0:1]
	v_xor_b32_e32 v17, 0x80000000, v17
.LBB6_3:
	s_cmpk_eq_i32 s16, 0x79
	v_add_u32_e32 v49, 64, v18
	ds_write_b64 v18, v[16:17]
	s_cbranch_scc1 .LBB6_7
; %bb.4:
	s_waitcnt vmcnt(0)
	v_pk_mov_b32 v[30:31], v[16:17], v[16:17] op_sel:[0,1]
	v_cmp_eq_u32_e64 s[0:1], 6, v0
	v_pk_mov_b32 v[28:29], v[14:15], v[14:15] op_sel:[0,1]
	v_pk_mov_b32 v[26:27], v[12:13], v[12:13] op_sel:[0,1]
	;; [unrolled: 1-line block ×7, first 2 shown]
	ds_write_b64 v49, v[12:13]
	s_waitcnt lgkmcnt(0)
	; wave barrier
	s_waitcnt lgkmcnt(0)
	s_and_saveexec_b64 s[12:13], s[0:1]
	s_cbranch_execz .LBB6_11
; %bb.5:
	s_and_b64 vcc, exec, s[14:15]
	s_cbranch_vccz .LBB6_8
; %bb.6:
	v_cmp_eq_u32_e32 vcc, 1, v0
	v_cndmask_b32_e32 v16, v3, v5, vcc
	v_cmp_eq_u32_e64 s[2:3], 2, v0
	v_cndmask_b32_e64 v16, v16, v7, s[2:3]
	v_cmp_eq_u32_e64 s[4:5], 3, v0
	v_cndmask_b32_e64 v16, v16, v9, s[4:5]
	;; [unrolled: 2-line block ×5, first 2 shown]
	v_cndmask_b32_e32 v16, v2, v4, vcc
	v_cndmask_b32_e64 v16, v16, v6, s[2:3]
	ds_read_b64 v[18:19], v49
	v_cndmask_b32_e64 v16, v16, v8, s[4:5]
	v_cndmask_b32_e64 v16, v16, v10, s[6:7]
	;; [unrolled: 1-line block ×4, first 2 shown]
	s_waitcnt lgkmcnt(0)
	v_mul_f64 v[20:21], v[16:17], v[18:19]
	s_cbranch_execz .LBB6_9
	s_branch .LBB6_10
.LBB6_7:
                                        ; implicit-def: $vgpr16_vgpr17_vgpr18_vgpr19_vgpr20_vgpr21_vgpr22_vgpr23_vgpr24_vgpr25_vgpr26_vgpr27_vgpr28_vgpr29_vgpr30_vgpr31
	s_cbranch_execnz .LBB6_82
	s_branch .LBB6_135
.LBB6_8:
                                        ; implicit-def: $vgpr20_vgpr21
.LBB6_9:
	ds_read_b64 v[20:21], v49
.LBB6_10:
	v_mov_b32_e32 v16, 0
	ds_read_b64 v[22:23], v16 offset:40
	v_mov_b32_e32 v16, v2
	v_mov_b32_e32 v17, v3
	;; [unrolled: 1-line block ×4, first 2 shown]
	s_waitcnt lgkmcnt(0)
	v_mul_f64 v[26:27], v[20:21], v[22:23]
	v_mov_b32_e32 v20, v6
	v_mov_b32_e32 v21, v7
	;; [unrolled: 1-line block ×8, first 2 shown]
.LBB6_11:
	s_or_b64 exec, exec, s[12:13]
	v_cmp_lt_u32_e64 s[2:3], 4, v0
	ds_write_b64 v49, v[24:25]
	s_waitcnt lgkmcnt(0)
	; wave barrier
	s_waitcnt lgkmcnt(0)
	s_and_saveexec_b64 s[16:17], s[2:3]
	s_cbranch_execz .LBB6_17
; %bb.12:
	s_andn2_b64 vcc, exec, s[14:15]
	s_cbranch_vccnz .LBB6_14
; %bb.13:
	v_cmp_eq_u32_e32 vcc, 1, v0
	v_cndmask_b32_e32 v30, v17, v19, vcc
	v_cmp_eq_u32_e64 s[4:5], 2, v0
	v_cndmask_b32_e64 v30, v30, v21, s[4:5]
	v_cmp_eq_u32_e64 s[6:7], 3, v0
	v_cndmask_b32_e64 v30, v30, v23, s[6:7]
	;; [unrolled: 2-line block ×3, first 2 shown]
	v_cndmask_b32_e32 v30, v16, v18, vcc
	v_cndmask_b32_e64 v46, v30, v20, s[4:5]
	ds_read_b64 v[30:31], v49
	v_cndmask_b32_e64 v46, v46, v22, s[6:7]
	v_cmp_eq_u32_e64 s[10:11], 5, v0
	v_cndmask_b32_e64 v24, v46, v24, s[8:9]
	v_cndmask_b32_e64 v25, v25, v27, s[10:11]
	v_cmp_eq_u32_e64 s[12:13], 6, v0
	v_cndmask_b32_e64 v24, v24, v26, s[10:11]
	v_cndmask_b32_e64 v25, v25, v29, s[12:13]
	;; [unrolled: 1-line block ×3, first 2 shown]
	s_waitcnt lgkmcnt(0)
	v_mul_f64 v[24:25], v[24:25], v[30:31]
	s_cbranch_execz .LBB6_15
	s_branch .LBB6_16
.LBB6_14:
                                        ; implicit-def: $vgpr24_vgpr25
.LBB6_15:
	ds_read_b64 v[24:25], v49
.LBB6_16:
	v_mov_b32_e32 v30, 0
	ds_read2_b64 v[50:53], v30 offset0:4 offset1:13
	s_waitcnt lgkmcnt(0)
	v_fma_f64 v[30:31], v[26:27], v[52:53], v[24:25]
	v_cndmask_b32_e64 v25, v25, v31, s[0:1]
	v_cndmask_b32_e64 v24, v24, v30, s[0:1]
	v_mul_f64 v[24:25], v[24:25], v[50:51]
.LBB6_17:
	s_or_b64 exec, exec, s[16:17]
	v_cmp_lt_u32_e64 s[0:1], 3, v0
	ds_write_b64 v49, v[22:23]
	s_waitcnt lgkmcnt(0)
	; wave barrier
	s_waitcnt lgkmcnt(0)
	s_and_saveexec_b64 s[16:17], s[0:1]
	s_cbranch_execz .LBB6_33
; %bb.18:
	s_andn2_b64 vcc, exec, s[14:15]
	s_cbranch_vccnz .LBB6_20
; %bb.19:
	v_cmp_eq_u32_e32 vcc, 1, v0
	v_cndmask_b32_e32 v46, v17, v19, vcc
	v_cmp_eq_u32_e64 s[4:5], 2, v0
	v_cndmask_b32_e64 v46, v46, v21, s[4:5]
	v_cmp_eq_u32_e64 s[6:7], 3, v0
	v_cndmask_b32_e64 v46, v46, v23, s[6:7]
	;; [unrolled: 2-line block ×5, first 2 shown]
	v_cndmask_b32_e32 v46, v16, v18, vcc
	v_cndmask_b32_e64 v46, v46, v20, s[4:5]
	ds_read_b64 v[50:51], v49
	v_cndmask_b32_e64 v46, v46, v22, s[6:7]
	v_cndmask_b32_e64 v46, v46, v24, s[8:9]
	;; [unrolled: 1-line block ×4, first 2 shown]
	s_waitcnt lgkmcnt(0)
	v_mul_f64 v[46:47], v[46:47], v[50:51]
	s_cbranch_execz .LBB6_21
	s_branch .LBB6_22
.LBB6_20:
                                        ; implicit-def: $vgpr46_vgpr47
.LBB6_21:
	ds_read_b64 v[46:47], v49
.LBB6_22:
	s_and_saveexec_b64 s[6:7], s[2:3]
	s_cbranch_execz .LBB6_32
; %bb.23:
	v_add_u32_e32 v48, -5, v0
	v_add_u32_e32 v51, -4, v0
	v_cmp_lt_u32_e32 vcc, 6, v48
	v_mov_b32_e32 v50, 4
	s_and_saveexec_b64 s[2:3], vcc
	s_cbranch_execz .LBB6_27
; %bb.24:
	v_and_b32_e32 v48, -8, v51
	v_sub_u32_e32 v48, 0, v48
	s_mov_b64 s[4:5], 5
	s_movk_i32 s10, 0x60
	s_mov_b64 s[8:9], 0
.LBB6_25:                               ; =>This Inner Loop Header: Depth=1
	s_lshl_b32 s11, s4, 1
	s_add_i32 s12, s11, -1
	s_set_gpr_idx_on s12, gpr_idx(SRC0)
	v_mov_b32_e32 v69, v16
	s_set_gpr_idx_off
	s_add_i32 s12, s11, -2
	v_mov_b32_e32 v50, s10
	s_set_gpr_idx_on s12, gpr_idx(SRC0)
	v_mov_b32_e32 v68, v16
	s_set_gpr_idx_off
	ds_read_b128 v[52:55], v50
	ds_read_b128 v[56:59], v50 offset:16
	ds_read_b128 v[60:63], v50 offset:32
	;; [unrolled: 1-line block ×3, first 2 shown]
	s_add_i32 s12, s11, 3
	s_waitcnt lgkmcnt(3)
	v_fmac_f64_e32 v[46:47], v[68:69], v[52:53]
	s_set_gpr_idx_on s11, gpr_idx(SRC0)
	v_mov_b32_e32 v53, v17
	v_mov_b32_e32 v52, v16
	s_set_gpr_idx_off
	v_fmac_f64_e32 v[46:47], v[52:53], v[54:55]
	s_set_gpr_idx_on s12, gpr_idx(SRC0)
	v_mov_b32_e32 v53, v16
	s_set_gpr_idx_off
	s_add_i32 s12, s11, 2
	s_set_gpr_idx_on s12, gpr_idx(SRC0)
	v_mov_b32_e32 v52, v16
	s_set_gpr_idx_off
	s_add_i32 s12, s11, 5
	s_waitcnt lgkmcnt(2)
	v_fmac_f64_e32 v[46:47], v[52:53], v[56:57]
	s_set_gpr_idx_on s12, gpr_idx(SRC0)
	v_mov_b32_e32 v53, v16
	s_set_gpr_idx_off
	s_add_i32 s12, s11, 4
	s_set_gpr_idx_on s12, gpr_idx(SRC0)
	v_mov_b32_e32 v52, v16
	s_set_gpr_idx_off
	s_add_i32 s12, s11, 7
	v_fmac_f64_e32 v[46:47], v[52:53], v[58:59]
	s_set_gpr_idx_on s12, gpr_idx(SRC0)
	v_mov_b32_e32 v53, v16
	s_set_gpr_idx_off
	s_add_i32 s12, s11, 6
	s_set_gpr_idx_on s12, gpr_idx(SRC0)
	v_mov_b32_e32 v52, v16
	s_set_gpr_idx_off
	s_add_i32 s12, s11, 9
	s_waitcnt lgkmcnt(1)
	v_fmac_f64_e32 v[46:47], v[52:53], v[60:61]
	s_set_gpr_idx_on s12, gpr_idx(SRC0)
	v_mov_b32_e32 v53, v16
	s_set_gpr_idx_off
	s_add_i32 s12, s11, 8
	s_set_gpr_idx_on s12, gpr_idx(SRC0)
	v_mov_b32_e32 v52, v16
	s_set_gpr_idx_off
	s_add_i32 s12, s11, 11
	v_fmac_f64_e32 v[46:47], v[52:53], v[62:63]
	s_set_gpr_idx_on s12, gpr_idx(SRC0)
	v_mov_b32_e32 v53, v16
	s_set_gpr_idx_off
	s_add_i32 s12, s11, 10
	s_set_gpr_idx_on s12, gpr_idx(SRC0)
	v_mov_b32_e32 v52, v16
	s_set_gpr_idx_off
	s_add_i32 s12, s11, 13
	s_add_i32 s11, s11, 12
	s_add_u32 s4, s4, 8
	s_waitcnt lgkmcnt(0)
	v_fmac_f64_e32 v[46:47], v[52:53], v[64:65]
	s_set_gpr_idx_on s12, gpr_idx(SRC0)
	v_mov_b32_e32 v53, v16
	s_set_gpr_idx_off
	v_add_u32_e32 v50, s4, v48
	s_set_gpr_idx_on s11, gpr_idx(SRC0)
	v_mov_b32_e32 v52, v16
	s_set_gpr_idx_off
	s_addc_u32 s5, s5, 0
	s_add_i32 s10, s10, 64
	v_cmp_eq_u32_e32 vcc, 5, v50
	s_add_i32 s11, s4, -1
	v_fmac_f64_e32 v[46:47], v[52:53], v[66:67]
	s_or_b64 s[8:9], vcc, s[8:9]
	v_mov_b32_e32 v50, s11
	s_andn2_b64 exec, exec, s[8:9]
	s_cbranch_execnz .LBB6_25
; %bb.26:
	s_or_b64 exec, exec, s[8:9]
.LBB6_27:
	s_or_b64 exec, exec, s[2:3]
	v_and_b32_e32 v30, 7, v51
	v_cmp_ne_u32_e32 vcc, 0, v30
	s_and_saveexec_b64 s[8:9], vcc
	s_cbranch_execz .LBB6_31
; %bb.28:
	v_lshl_add_u32 v48, v50, 3, 64
	v_mov_b32_e32 v31, 0
	s_mov_b64 s[10:11], 0
.LBB6_29:                               ; =>This Inner Loop Header: Depth=1
	v_cmp_eq_u32_e32 vcc, 1, v50
	v_cndmask_b32_e32 v51, v17, v19, vcc
	v_add_u32_e32 v30, -1, v30
	v_cmp_eq_u32_e64 s[2:3], 2, v50
	v_cndmask_b32_e64 v51, v51, v21, s[2:3]
	v_cndmask_b32_e32 v54, v16, v18, vcc
	v_cmp_eq_u32_e32 vcc, 0, v30
	v_cmp_eq_u32_e64 s[4:5], 3, v50
	ds_read_b64 v[52:53], v48
	v_cndmask_b32_e64 v51, v51, v23, s[4:5]
	v_cndmask_b32_e64 v54, v54, v20, s[2:3]
	s_or_b64 s[10:11], vcc, s[10:11]
	v_cmp_eq_u32_e32 vcc, 4, v50
	v_cndmask_b32_e32 v51, v51, v25, vcc
	v_cndmask_b32_e64 v54, v54, v22, s[4:5]
	v_cmp_eq_u32_e64 s[2:3], 5, v50
	v_cndmask_b32_e64 v51, v51, v27, s[2:3]
	v_cmp_eq_u32_e64 s[4:5], 6, v50
	v_cndmask_b32_e32 v54, v54, v24, vcc
	v_cndmask_b32_e64 v55, v51, v29, s[4:5]
	v_cndmask_b32_e64 v51, v54, v26, s[2:3]
	v_add_co_u32_e32 v50, vcc, 1, v50
	v_cndmask_b32_e64 v54, v51, v28, s[4:5]
	v_add_u32_e32 v48, 8, v48
	v_addc_co_u32_e32 v31, vcc, 0, v31, vcc
	s_waitcnt lgkmcnt(0)
	v_fmac_f64_e32 v[46:47], v[54:55], v[52:53]
	s_andn2_b64 exec, exec, s[10:11]
	s_cbranch_execnz .LBB6_29
; %bb.30:
	s_or_b64 exec, exec, s[10:11]
.LBB6_31:
	s_or_b64 exec, exec, s[8:9]
.LBB6_32:
	s_or_b64 exec, exec, s[6:7]
	v_mov_b32_e32 v22, 0
	ds_read_b64 v[22:23], v22 offset:24
	s_waitcnt lgkmcnt(0)
	v_mul_f64 v[22:23], v[46:47], v[22:23]
.LBB6_33:
	s_or_b64 exec, exec, s[16:17]
	v_cmp_lt_u32_e64 s[2:3], 2, v0
	ds_write_b64 v49, v[20:21]
	s_waitcnt lgkmcnt(0)
	; wave barrier
	s_waitcnt lgkmcnt(0)
	s_and_saveexec_b64 s[16:17], s[2:3]
	s_cbranch_execz .LBB6_49
; %bb.34:
	s_andn2_b64 vcc, exec, s[14:15]
	s_cbranch_vccnz .LBB6_36
; %bb.35:
	v_cmp_eq_u32_e32 vcc, 1, v0
	v_cndmask_b32_e32 v46, v17, v19, vcc
	v_cmp_eq_u32_e64 s[4:5], 2, v0
	v_cndmask_b32_e64 v46, v46, v21, s[4:5]
	v_cmp_eq_u32_e64 s[6:7], 3, v0
	v_cndmask_b32_e64 v46, v46, v23, s[6:7]
	;; [unrolled: 2-line block ×5, first 2 shown]
	v_cndmask_b32_e32 v46, v16, v18, vcc
	v_cndmask_b32_e64 v46, v46, v20, s[4:5]
	ds_read_b64 v[50:51], v49
	v_cndmask_b32_e64 v46, v46, v22, s[6:7]
	v_cndmask_b32_e64 v46, v46, v24, s[8:9]
	;; [unrolled: 1-line block ×4, first 2 shown]
	s_waitcnt lgkmcnt(0)
	v_mul_f64 v[46:47], v[46:47], v[50:51]
	s_cbranch_execz .LBB6_37
	s_branch .LBB6_38
.LBB6_36:
                                        ; implicit-def: $vgpr46_vgpr47
.LBB6_37:
	ds_read_b64 v[46:47], v49
.LBB6_38:
	s_and_saveexec_b64 s[6:7], s[0:1]
	s_cbranch_execz .LBB6_48
; %bb.39:
	v_add_u32_e32 v48, -4, v0
	v_add_u32_e32 v51, -3, v0
	v_cmp_lt_u32_e32 vcc, 6, v48
	v_mov_b32_e32 v50, 3
	s_and_saveexec_b64 s[0:1], vcc
	s_cbranch_execz .LBB6_43
; %bb.40:
	v_and_b32_e32 v48, -8, v51
	v_sub_u32_e32 v48, 0, v48
	s_mov_b64 s[4:5], 10
	s_movk_i32 s10, 0x58
	s_mov_b64 s[8:9], 0
.LBB6_41:                               ; =>This Inner Loop Header: Depth=1
	s_lshl_b32 s11, s4, 1
	s_add_i32 s12, s11, -13
	v_mov_b32_e32 v66, s10
	s_add_i32 s13, s11, -14
	s_set_gpr_idx_on s12, gpr_idx(SRC0)
	v_mov_b32_e32 v61, v16
	s_set_gpr_idx_off
	s_add_i32 s18, s11, -11
	s_set_gpr_idx_on s13, gpr_idx(SRC0)
	v_mov_b32_e32 v60, v16
	s_set_gpr_idx_off
	ds_read2_b64 v[52:55], v66 offset1:1
	s_add_i32 s19, s11, -12
	s_set_gpr_idx_on s18, gpr_idx(SRC0)
	v_mov_b32_e32 v63, v16
	s_set_gpr_idx_off
	s_add_i32 s20, s11, -9
	s_set_gpr_idx_on s19, gpr_idx(SRC0)
	v_mov_b32_e32 v62, v16
	s_set_gpr_idx_off
	;; [unrolled: 4-line block ×4, first 2 shown]
	ds_read2_b64 v[56:59], v66 offset0:2 offset1:3
	s_add_i32 s23, s11, -8
	s_waitcnt lgkmcnt(1)
	v_fmac_f64_e32 v[46:47], v[60:61], v[52:53]
	s_set_gpr_idx_on s22, gpr_idx(SRC0)
	v_mov_b32_e32 v61, v16
	s_set_gpr_idx_off
	s_add_i32 s24, s11, -5
	v_fmac_f64_e32 v[46:47], v[62:63], v[54:55]
	s_set_gpr_idx_on s23, gpr_idx(SRC0)
	v_mov_b32_e32 v60, v16
	s_set_gpr_idx_off
	s_add_i32 s25, s11, -6
	s_set_gpr_idx_on s24, gpr_idx(SRC0)
	v_mov_b32_e32 v63, v16
	s_set_gpr_idx_off
	s_add_i32 s26, s11, -3
	;; [unrolled: 4-line block ×3, first 2 shown]
	ds_read2_b64 v[52:55], v66 offset0:4 offset1:5
	s_waitcnt lgkmcnt(1)
	v_fmac_f64_e32 v[46:47], v[64:65], v[56:57]
	s_set_gpr_idx_on s26, gpr_idx(SRC0)
	v_mov_b32_e32 v65, v16
	s_set_gpr_idx_off
	s_add_i32 s28, s11, -1
	v_fmac_f64_e32 v[46:47], v[60:61], v[58:59]
	s_set_gpr_idx_on s27, gpr_idx(SRC0)
	v_mov_b32_e32 v64, v16
	s_set_gpr_idx_off
	s_add_i32 s29, s11, -2
	s_set_gpr_idx_on s28, gpr_idx(SRC0)
	v_mov_b32_e32 v61, v16
	s_set_gpr_idx_off
	s_set_gpr_idx_on s29, gpr_idx(SRC0)
	v_mov_b32_e32 v60, v16
	s_set_gpr_idx_off
	ds_read2_b64 v[56:59], v66 offset0:6 offset1:7
	s_add_u32 s4, s4, 8
	s_waitcnt lgkmcnt(1)
	v_fmac_f64_e32 v[46:47], v[62:63], v[52:53]
	s_set_gpr_idx_on s11, gpr_idx(SRC0)
	v_mov_b32_e32 v53, v17
	s_set_gpr_idx_off
	v_add_u32_e32 v50, s4, v48
	v_fmac_f64_e32 v[46:47], v[64:65], v[54:55]
	s_set_gpr_idx_on s11, gpr_idx(SRC0)
	v_mov_b32_e32 v52, v16
	s_set_gpr_idx_off
	s_addc_u32 s5, s5, 0
	s_add_i32 s10, s10, 64
	s_add_i32 s12, s4, -7
	v_cmp_eq_u32_e32 vcc, 10, v50
	s_waitcnt lgkmcnt(0)
	v_fmac_f64_e32 v[46:47], v[60:61], v[56:57]
	v_mov_b32_e32 v50, s12
	s_or_b64 s[8:9], vcc, s[8:9]
	v_fmac_f64_e32 v[46:47], v[52:53], v[58:59]
	s_andn2_b64 exec, exec, s[8:9]
	s_cbranch_execnz .LBB6_41
; %bb.42:
	s_or_b64 exec, exec, s[8:9]
.LBB6_43:
	s_or_b64 exec, exec, s[0:1]
	v_and_b32_e32 v30, 7, v51
	v_cmp_ne_u32_e32 vcc, 0, v30
	s_and_saveexec_b64 s[8:9], vcc
	s_cbranch_execz .LBB6_47
; %bb.44:
	v_lshl_add_u32 v48, v50, 3, 64
	v_mov_b32_e32 v31, 0
	s_mov_b64 s[10:11], 0
.LBB6_45:                               ; =>This Inner Loop Header: Depth=1
	v_cmp_eq_u32_e32 vcc, 1, v50
	v_cndmask_b32_e32 v51, v17, v19, vcc
	v_add_u32_e32 v30, -1, v30
	v_cmp_eq_u32_e64 s[0:1], 2, v50
	v_cndmask_b32_e64 v51, v51, v21, s[0:1]
	v_cndmask_b32_e32 v54, v16, v18, vcc
	v_cmp_eq_u32_e32 vcc, 0, v30
	v_cmp_eq_u32_e64 s[4:5], 3, v50
	ds_read_b64 v[52:53], v48
	v_cndmask_b32_e64 v51, v51, v23, s[4:5]
	v_cndmask_b32_e64 v54, v54, v20, s[0:1]
	s_or_b64 s[10:11], vcc, s[10:11]
	v_cmp_eq_u32_e32 vcc, 4, v50
	v_cndmask_b32_e32 v51, v51, v25, vcc
	v_cndmask_b32_e64 v54, v54, v22, s[4:5]
	v_cmp_eq_u32_e64 s[0:1], 5, v50
	v_cndmask_b32_e64 v51, v51, v27, s[0:1]
	v_cmp_eq_u32_e64 s[4:5], 6, v50
	v_cndmask_b32_e32 v54, v54, v24, vcc
	v_cndmask_b32_e64 v55, v51, v29, s[4:5]
	v_cndmask_b32_e64 v51, v54, v26, s[0:1]
	v_add_co_u32_e32 v50, vcc, 1, v50
	v_cndmask_b32_e64 v54, v51, v28, s[4:5]
	v_add_u32_e32 v48, 8, v48
	v_addc_co_u32_e32 v31, vcc, 0, v31, vcc
	s_waitcnt lgkmcnt(0)
	v_fmac_f64_e32 v[46:47], v[54:55], v[52:53]
	s_andn2_b64 exec, exec, s[10:11]
	s_cbranch_execnz .LBB6_45
; %bb.46:
	s_or_b64 exec, exec, s[10:11]
.LBB6_47:
	s_or_b64 exec, exec, s[8:9]
.LBB6_48:
	s_or_b64 exec, exec, s[6:7]
	v_mov_b32_e32 v20, 0
	ds_read_b64 v[20:21], v20 offset:16
	s_waitcnt lgkmcnt(0)
	v_mul_f64 v[20:21], v[46:47], v[20:21]
.LBB6_49:
	s_or_b64 exec, exec, s[16:17]
	v_cmp_lt_u32_e64 s[0:1], 1, v0
	ds_write_b64 v49, v[18:19]
	s_waitcnt lgkmcnt(0)
	; wave barrier
	s_waitcnt lgkmcnt(0)
	s_and_saveexec_b64 s[16:17], s[0:1]
	s_cbranch_execz .LBB6_65
; %bb.50:
	s_andn2_b64 vcc, exec, s[14:15]
	s_cbranch_vccnz .LBB6_52
; %bb.51:
	v_cmp_eq_u32_e32 vcc, 1, v0
	v_cndmask_b32_e32 v46, v17, v19, vcc
	v_cmp_eq_u32_e64 s[4:5], 2, v0
	v_cndmask_b32_e64 v46, v46, v21, s[4:5]
	v_cmp_eq_u32_e64 s[6:7], 3, v0
	v_cndmask_b32_e64 v46, v46, v23, s[6:7]
	v_cmp_eq_u32_e64 s[8:9], 4, v0
	v_cndmask_b32_e64 v46, v46, v25, s[8:9]
	v_cmp_eq_u32_e64 s[10:11], 5, v0
	v_cndmask_b32_e64 v46, v46, v27, s[10:11]
	v_cmp_eq_u32_e64 s[12:13], 6, v0
	v_cndmask_b32_e64 v47, v46, v29, s[12:13]
	v_cndmask_b32_e32 v46, v16, v18, vcc
	v_cndmask_b32_e64 v46, v46, v20, s[4:5]
	ds_read_b64 v[50:51], v49
	v_cndmask_b32_e64 v46, v46, v22, s[6:7]
	v_cndmask_b32_e64 v46, v46, v24, s[8:9]
	;; [unrolled: 1-line block ×4, first 2 shown]
	s_waitcnt lgkmcnt(0)
	v_mul_f64 v[46:47], v[46:47], v[50:51]
	s_cbranch_execz .LBB6_53
	s_branch .LBB6_54
.LBB6_52:
                                        ; implicit-def: $vgpr46_vgpr47
.LBB6_53:
	ds_read_b64 v[46:47], v49
.LBB6_54:
	s_and_saveexec_b64 s[6:7], s[2:3]
	s_cbranch_execz .LBB6_64
; %bb.55:
	v_add_u32_e32 v48, -3, v0
	v_add_u32_e32 v51, -2, v0
	v_cmp_lt_u32_e32 vcc, 6, v48
	v_mov_b32_e32 v50, 2
	s_and_saveexec_b64 s[2:3], vcc
	s_cbranch_execz .LBB6_59
; %bb.56:
	v_and_b32_e32 v48, -8, v51
	v_sub_u32_e32 v48, 0, v48
	s_mov_b64 s[4:5], 9
	s_movk_i32 s10, 0x50
	s_mov_b64 s[8:9], 0
.LBB6_57:                               ; =>This Inner Loop Header: Depth=1
	s_lshl_b32 s11, s4, 1
	s_add_i32 s12, s11, -13
	s_set_gpr_idx_on s12, gpr_idx(SRC0)
	v_mov_b32_e32 v69, v16
	s_set_gpr_idx_off
	s_add_i32 s12, s11, -14
	v_mov_b32_e32 v50, s10
	s_set_gpr_idx_on s12, gpr_idx(SRC0)
	v_mov_b32_e32 v68, v16
	s_set_gpr_idx_off
	ds_read_b128 v[52:55], v50
	ds_read_b128 v[56:59], v50 offset:16
	ds_read_b128 v[60:63], v50 offset:32
	;; [unrolled: 1-line block ×3, first 2 shown]
	s_add_i32 s12, s11, -11
	s_waitcnt lgkmcnt(3)
	v_fmac_f64_e32 v[46:47], v[68:69], v[52:53]
	s_set_gpr_idx_on s12, gpr_idx(SRC0)
	v_mov_b32_e32 v53, v16
	s_set_gpr_idx_off
	s_add_i32 s12, s11, -12
	s_set_gpr_idx_on s12, gpr_idx(SRC0)
	v_mov_b32_e32 v52, v16
	s_set_gpr_idx_off
	s_add_i32 s12, s11, -9
	v_fmac_f64_e32 v[46:47], v[52:53], v[54:55]
	s_set_gpr_idx_on s12, gpr_idx(SRC0)
	v_mov_b32_e32 v53, v16
	s_set_gpr_idx_off
	s_add_i32 s12, s11, -10
	s_set_gpr_idx_on s12, gpr_idx(SRC0)
	v_mov_b32_e32 v52, v16
	s_set_gpr_idx_off
	s_add_i32 s12, s11, -7
	s_waitcnt lgkmcnt(2)
	v_fmac_f64_e32 v[46:47], v[52:53], v[56:57]
	s_set_gpr_idx_on s12, gpr_idx(SRC0)
	v_mov_b32_e32 v53, v16
	s_set_gpr_idx_off
	s_add_i32 s12, s11, -8
	s_set_gpr_idx_on s12, gpr_idx(SRC0)
	v_mov_b32_e32 v52, v16
	s_set_gpr_idx_off
	s_add_i32 s12, s11, -5
	v_fmac_f64_e32 v[46:47], v[52:53], v[58:59]
	s_set_gpr_idx_on s12, gpr_idx(SRC0)
	v_mov_b32_e32 v53, v16
	s_set_gpr_idx_off
	s_add_i32 s12, s11, -6
	s_set_gpr_idx_on s12, gpr_idx(SRC0)
	v_mov_b32_e32 v52, v16
	s_set_gpr_idx_off
	;; [unrolled: 19-line block ×3, first 2 shown]
	s_add_u32 s4, s4, 8
	s_waitcnt lgkmcnt(0)
	v_fmac_f64_e32 v[46:47], v[52:53], v[64:65]
	s_set_gpr_idx_on s11, gpr_idx(SRC0)
	v_mov_b32_e32 v53, v17
	s_set_gpr_idx_off
	v_add_u32_e32 v50, s4, v48
	s_set_gpr_idx_on s11, gpr_idx(SRC0)
	v_mov_b32_e32 v52, v16
	s_set_gpr_idx_off
	s_addc_u32 s5, s5, 0
	s_add_i32 s10, s10, 64
	v_cmp_eq_u32_e32 vcc, 9, v50
	s_add_i32 s11, s4, -7
	v_fmac_f64_e32 v[46:47], v[52:53], v[66:67]
	s_or_b64 s[8:9], vcc, s[8:9]
	v_mov_b32_e32 v50, s11
	s_andn2_b64 exec, exec, s[8:9]
	s_cbranch_execnz .LBB6_57
; %bb.58:
	s_or_b64 exec, exec, s[8:9]
.LBB6_59:
	s_or_b64 exec, exec, s[2:3]
	v_and_b32_e32 v30, 7, v51
	v_cmp_ne_u32_e32 vcc, 0, v30
	s_and_saveexec_b64 s[8:9], vcc
	s_cbranch_execz .LBB6_63
; %bb.60:
	v_lshl_add_u32 v48, v50, 3, 64
	v_mov_b32_e32 v31, 0
	s_mov_b64 s[10:11], 0
.LBB6_61:                               ; =>This Inner Loop Header: Depth=1
	v_cmp_eq_u32_e32 vcc, 1, v50
	v_cndmask_b32_e32 v51, v17, v19, vcc
	v_add_u32_e32 v30, -1, v30
	v_cmp_eq_u32_e64 s[2:3], 2, v50
	v_cndmask_b32_e64 v51, v51, v21, s[2:3]
	v_cndmask_b32_e32 v54, v16, v18, vcc
	v_cmp_eq_u32_e32 vcc, 0, v30
	v_cmp_eq_u32_e64 s[4:5], 3, v50
	ds_read_b64 v[52:53], v48
	v_cndmask_b32_e64 v51, v51, v23, s[4:5]
	v_cndmask_b32_e64 v54, v54, v20, s[2:3]
	s_or_b64 s[10:11], vcc, s[10:11]
	v_cmp_eq_u32_e32 vcc, 4, v50
	v_cndmask_b32_e32 v51, v51, v25, vcc
	v_cndmask_b32_e64 v54, v54, v22, s[4:5]
	v_cmp_eq_u32_e64 s[2:3], 5, v50
	v_cndmask_b32_e64 v51, v51, v27, s[2:3]
	v_cmp_eq_u32_e64 s[4:5], 6, v50
	v_cndmask_b32_e32 v54, v54, v24, vcc
	v_cndmask_b32_e64 v55, v51, v29, s[4:5]
	v_cndmask_b32_e64 v51, v54, v26, s[2:3]
	v_add_co_u32_e32 v50, vcc, 1, v50
	v_cndmask_b32_e64 v54, v51, v28, s[4:5]
	v_add_u32_e32 v48, 8, v48
	v_addc_co_u32_e32 v31, vcc, 0, v31, vcc
	s_waitcnt lgkmcnt(0)
	v_fmac_f64_e32 v[46:47], v[54:55], v[52:53]
	s_andn2_b64 exec, exec, s[10:11]
	s_cbranch_execnz .LBB6_61
; %bb.62:
	s_or_b64 exec, exec, s[10:11]
.LBB6_63:
	s_or_b64 exec, exec, s[8:9]
.LBB6_64:
	s_or_b64 exec, exec, s[6:7]
	v_mov_b32_e32 v18, 0
	ds_read_b64 v[18:19], v18 offset:8
	s_waitcnt lgkmcnt(0)
	v_mul_f64 v[18:19], v[46:47], v[18:19]
.LBB6_65:
	s_or_b64 exec, exec, s[16:17]
	v_cmp_ne_u32_e32 vcc, 0, v0
	ds_write_b64 v49, v[16:17]
	s_waitcnt lgkmcnt(0)
	; wave barrier
	s_waitcnt lgkmcnt(0)
	s_and_saveexec_b64 s[12:13], vcc
	s_cbranch_execz .LBB6_81
; %bb.66:
	s_andn2_b64 vcc, exec, s[14:15]
	s_cbranch_vccnz .LBB6_68
; %bb.67:
	v_cmp_eq_u32_e32 vcc, 1, v0
	v_cndmask_b32_e32 v46, v17, v19, vcc
	v_cmp_eq_u32_e64 s[2:3], 2, v0
	v_cndmask_b32_e64 v46, v46, v21, s[2:3]
	v_cmp_eq_u32_e64 s[4:5], 3, v0
	v_cndmask_b32_e64 v46, v46, v23, s[4:5]
	;; [unrolled: 2-line block ×5, first 2 shown]
	v_cndmask_b32_e32 v46, v16, v18, vcc
	v_cndmask_b32_e64 v46, v46, v20, s[2:3]
	ds_read_b64 v[50:51], v49
	v_cndmask_b32_e64 v46, v46, v22, s[4:5]
	v_cndmask_b32_e64 v46, v46, v24, s[6:7]
	;; [unrolled: 1-line block ×4, first 2 shown]
	s_waitcnt lgkmcnt(0)
	v_mul_f64 v[46:47], v[46:47], v[50:51]
	s_cbranch_execz .LBB6_69
	s_branch .LBB6_70
.LBB6_68:
                                        ; implicit-def: $vgpr46_vgpr47
.LBB6_69:
	ds_read_b64 v[46:47], v49
.LBB6_70:
	s_and_saveexec_b64 s[4:5], s[0:1]
	s_cbranch_execz .LBB6_80
; %bb.71:
	v_add_u32_e32 v48, -2, v0
	v_add_u32_e32 v51, -1, v0
	v_cmp_lt_u32_e32 vcc, 6, v48
	v_mov_b32_e32 v50, 1
	s_and_saveexec_b64 s[0:1], vcc
	s_cbranch_execz .LBB6_75
; %bb.72:
	v_and_b32_e32 v48, -8, v51
	v_sub_u32_e32 v48, 0, v48
	s_mov_b64 s[2:3], 8
	s_movk_i32 s8, 0x48
	s_mov_b64 s[6:7], 0
.LBB6_73:                               ; =>This Inner Loop Header: Depth=1
	s_lshl_b32 s9, s2, 1
	s_add_i32 s10, s9, -13
	v_mov_b32_e32 v66, s8
	s_add_i32 s11, s9, -14
	s_set_gpr_idx_on s10, gpr_idx(SRC0)
	v_mov_b32_e32 v61, v16
	s_set_gpr_idx_off
	s_add_i32 s16, s9, -11
	s_set_gpr_idx_on s11, gpr_idx(SRC0)
	v_mov_b32_e32 v60, v16
	s_set_gpr_idx_off
	ds_read2_b64 v[52:55], v66 offset1:1
	s_add_i32 s17, s9, -12
	s_set_gpr_idx_on s16, gpr_idx(SRC0)
	v_mov_b32_e32 v63, v16
	s_set_gpr_idx_off
	s_add_i32 s18, s9, -9
	s_set_gpr_idx_on s17, gpr_idx(SRC0)
	v_mov_b32_e32 v62, v16
	s_set_gpr_idx_off
	;; [unrolled: 4-line block ×4, first 2 shown]
	ds_read2_b64 v[56:59], v66 offset0:2 offset1:3
	s_add_i32 s21, s9, -8
	s_waitcnt lgkmcnt(1)
	v_fmac_f64_e32 v[46:47], v[60:61], v[52:53]
	s_set_gpr_idx_on s20, gpr_idx(SRC0)
	v_mov_b32_e32 v61, v16
	s_set_gpr_idx_off
	s_add_i32 s22, s9, -5
	v_fmac_f64_e32 v[46:47], v[62:63], v[54:55]
	s_set_gpr_idx_on s21, gpr_idx(SRC0)
	v_mov_b32_e32 v60, v16
	s_set_gpr_idx_off
	s_add_i32 s23, s9, -6
	s_set_gpr_idx_on s22, gpr_idx(SRC0)
	v_mov_b32_e32 v63, v16
	s_set_gpr_idx_off
	s_add_i32 s24, s9, -3
	s_set_gpr_idx_on s23, gpr_idx(SRC0)
	v_mov_b32_e32 v62, v16
	s_set_gpr_idx_off
	s_add_i32 s25, s9, -4
	ds_read2_b64 v[52:55], v66 offset0:4 offset1:5
	s_waitcnt lgkmcnt(1)
	v_fmac_f64_e32 v[46:47], v[64:65], v[56:57]
	s_set_gpr_idx_on s24, gpr_idx(SRC0)
	v_mov_b32_e32 v65, v16
	s_set_gpr_idx_off
	s_add_i32 s26, s9, -1
	v_fmac_f64_e32 v[46:47], v[60:61], v[58:59]
	s_set_gpr_idx_on s25, gpr_idx(SRC0)
	v_mov_b32_e32 v64, v16
	s_set_gpr_idx_off
	s_add_i32 s27, s9, -2
	s_set_gpr_idx_on s26, gpr_idx(SRC0)
	v_mov_b32_e32 v61, v16
	s_set_gpr_idx_off
	s_set_gpr_idx_on s27, gpr_idx(SRC0)
	v_mov_b32_e32 v60, v16
	s_set_gpr_idx_off
	ds_read2_b64 v[56:59], v66 offset0:6 offset1:7
	s_add_u32 s2, s2, 8
	s_waitcnt lgkmcnt(1)
	v_fmac_f64_e32 v[46:47], v[62:63], v[52:53]
	s_set_gpr_idx_on s9, gpr_idx(SRC0)
	v_mov_b32_e32 v53, v17
	s_set_gpr_idx_off
	v_add_u32_e32 v50, s2, v48
	v_fmac_f64_e32 v[46:47], v[64:65], v[54:55]
	s_set_gpr_idx_on s9, gpr_idx(SRC0)
	v_mov_b32_e32 v52, v16
	s_set_gpr_idx_off
	s_addc_u32 s3, s3, 0
	s_add_i32 s8, s8, 64
	s_add_i32 s10, s2, -7
	v_cmp_eq_u32_e32 vcc, 8, v50
	s_waitcnt lgkmcnt(0)
	v_fmac_f64_e32 v[46:47], v[60:61], v[56:57]
	v_mov_b32_e32 v50, s10
	s_or_b64 s[6:7], vcc, s[6:7]
	v_fmac_f64_e32 v[46:47], v[52:53], v[58:59]
	s_andn2_b64 exec, exec, s[6:7]
	s_cbranch_execnz .LBB6_73
; %bb.74:
	s_or_b64 exec, exec, s[6:7]
.LBB6_75:
	s_or_b64 exec, exec, s[0:1]
	v_and_b32_e32 v30, 7, v51
	v_cmp_ne_u32_e32 vcc, 0, v30
	s_and_saveexec_b64 s[6:7], vcc
	s_cbranch_execz .LBB6_79
; %bb.76:
	v_lshl_add_u32 v48, v50, 3, 64
	v_mov_b32_e32 v31, 0
	s_mov_b64 s[8:9], 0
.LBB6_77:                               ; =>This Inner Loop Header: Depth=1
	v_cmp_eq_u32_e32 vcc, 1, v50
	v_cndmask_b32_e32 v51, v17, v19, vcc
	v_add_u32_e32 v30, -1, v30
	v_cmp_eq_u32_e64 s[0:1], 2, v50
	v_cndmask_b32_e64 v51, v51, v21, s[0:1]
	v_cndmask_b32_e32 v54, v16, v18, vcc
	v_cmp_eq_u32_e32 vcc, 0, v30
	v_cmp_eq_u32_e64 s[2:3], 3, v50
	ds_read_b64 v[52:53], v48
	v_cndmask_b32_e64 v51, v51, v23, s[2:3]
	v_cndmask_b32_e64 v54, v54, v20, s[0:1]
	s_or_b64 s[8:9], vcc, s[8:9]
	v_cmp_eq_u32_e32 vcc, 4, v50
	v_cndmask_b32_e32 v51, v51, v25, vcc
	v_cndmask_b32_e64 v54, v54, v22, s[2:3]
	v_cmp_eq_u32_e64 s[0:1], 5, v50
	v_cndmask_b32_e64 v51, v51, v27, s[0:1]
	v_cmp_eq_u32_e64 s[2:3], 6, v50
	v_cndmask_b32_e32 v54, v54, v24, vcc
	v_cndmask_b32_e64 v55, v51, v29, s[2:3]
	v_cndmask_b32_e64 v51, v54, v26, s[0:1]
	v_add_co_u32_e32 v50, vcc, 1, v50
	v_cndmask_b32_e64 v54, v51, v28, s[2:3]
	v_add_u32_e32 v48, 8, v48
	v_addc_co_u32_e32 v31, vcc, 0, v31, vcc
	s_waitcnt lgkmcnt(0)
	v_fmac_f64_e32 v[46:47], v[54:55], v[52:53]
	s_andn2_b64 exec, exec, s[8:9]
	s_cbranch_execnz .LBB6_77
; %bb.78:
	s_or_b64 exec, exec, s[8:9]
.LBB6_79:
	s_or_b64 exec, exec, s[6:7]
.LBB6_80:
	s_or_b64 exec, exec, s[4:5]
	v_mov_b32_e32 v16, 0
	ds_read_b64 v[16:17], v16
	s_waitcnt lgkmcnt(0)
	v_mul_f64 v[16:17], v[46:47], v[16:17]
.LBB6_81:
	s_or_b64 exec, exec, s[12:13]
	s_branch .LBB6_135
.LBB6_82:
	v_cmp_eq_u32_e64 s[2:3], 0, v0
	s_waitcnt vmcnt(6)
	ds_write_b64 v49, v[4:5]
	s_waitcnt lgkmcnt(0)
	; wave barrier
	s_waitcnt lgkmcnt(0)
	s_and_saveexec_b64 s[12:13], s[2:3]
	s_cbranch_execz .LBB6_88
; %bb.83:
	s_and_b64 vcc, exec, s[14:15]
	s_cbranch_vccz .LBB6_85
; %bb.84:
	v_cmp_eq_u32_e32 vcc, 1, v0
	s_waitcnt vmcnt(1)
	v_cndmask_b32_e32 v5, v3, v5, vcc
	v_cmp_eq_u32_e64 s[0:1], 2, v0
	v_cndmask_b32_e32 v4, v2, v4, vcc
	v_cndmask_b32_e64 v5, v5, v7, s[0:1]
	v_cmp_eq_u32_e64 s[4:5], 3, v0
	v_cndmask_b32_e64 v4, v4, v6, s[0:1]
	ds_read_b64 v[16:17], v49
	v_cndmask_b32_e64 v5, v5, v9, s[4:5]
	v_cmp_eq_u32_e64 s[6:7], 4, v0
	v_cndmask_b32_e64 v4, v4, v8, s[4:5]
	v_cndmask_b32_e64 v5, v5, v11, s[6:7]
	v_cmp_eq_u32_e64 s[8:9], 5, v0
	v_cndmask_b32_e64 v4, v4, v10, s[6:7]
	v_cndmask_b32_e64 v5, v5, v13, s[8:9]
	v_cmp_eq_u32_e64 s[10:11], 6, v0
	v_cndmask_b32_e64 v4, v4, v12, s[8:9]
	s_waitcnt vmcnt(0)
	v_cndmask_b32_e64 v5, v5, v15, s[10:11]
	v_cndmask_b32_e64 v4, v4, v14, s[10:11]
	s_waitcnt lgkmcnt(0)
	v_mul_f64 v[4:5], v[4:5], v[16:17]
	s_cbranch_execz .LBB6_86
	s_branch .LBB6_87
.LBB6_85:
                                        ; implicit-def: $vgpr4_vgpr5
.LBB6_86:
	ds_read_b64 v[4:5], v49
.LBB6_87:
	v_mov_b32_e32 v16, 0
	ds_read_b64 v[16:17], v16 offset:8
	s_waitcnt lgkmcnt(0)
	v_mul_f64 v[4:5], v[4:5], v[16:17]
.LBB6_88:
	s_or_b64 exec, exec, s[12:13]
	v_cndmask_b32_e64 v16, 0, 1, s[14:15]
	v_add_u32_e32 v18, 1, v0
	v_cmp_gt_u32_e32 vcc, 2, v0
	v_cmp_ne_u32_e64 s[0:1], 1, v16
	s_waitcnt vmcnt(5)
	ds_write_b64 v49, v[6:7]
	s_waitcnt lgkmcnt(0)
	; wave barrier
	s_waitcnt lgkmcnt(0)
	s_and_saveexec_b64 s[14:15], vcc
	s_cbranch_execz .LBB6_96
; %bb.89:
	s_and_b64 vcc, exec, s[0:1]
	s_cbranch_vccnz .LBB6_91
; %bb.90:
	v_cmp_eq_u32_e32 vcc, 1, v0
	s_waitcnt vmcnt(1)
	v_cndmask_b32_e32 v16, v3, v5, vcc
	v_cmp_eq_u32_e64 s[4:5], 2, v0
	v_cndmask_b32_e64 v16, v16, v7, s[4:5]
	v_cmp_eq_u32_e64 s[6:7], 3, v0
	v_cndmask_b32_e64 v16, v16, v9, s[6:7]
	;; [unrolled: 2-line block ×4, first 2 shown]
	v_cmp_eq_u32_e64 s[12:13], 6, v0
	s_waitcnt vmcnt(0)
	v_cndmask_b32_e64 v17, v16, v15, s[12:13]
	v_cndmask_b32_e32 v16, v2, v4, vcc
	v_cndmask_b32_e64 v16, v16, v6, s[4:5]
	ds_read_b64 v[20:21], v49
	v_cndmask_b32_e64 v16, v16, v8, s[6:7]
	v_cndmask_b32_e64 v16, v16, v10, s[8:9]
	;; [unrolled: 1-line block ×4, first 2 shown]
	s_waitcnt lgkmcnt(0)
	v_mul_f64 v[16:17], v[16:17], v[20:21]
	s_cbranch_execz .LBB6_92
	s_branch .LBB6_93
.LBB6_91:
                                        ; implicit-def: $vgpr16_vgpr17
.LBB6_92:
	ds_read_b64 v[16:17], v49
.LBB6_93:
	s_and_saveexec_b64 s[16:17], s[2:3]
	s_cbranch_execz .LBB6_95
; %bb.94:
	v_cmp_eq_u32_e32 vcc, 1, v18
	s_waitcnt vmcnt(1)
	v_cndmask_b32_e32 v19, v3, v5, vcc
	v_cmp_eq_u32_e64 s[4:5], 2, v18
	v_cndmask_b32_e64 v7, v19, v7, s[4:5]
	v_cndmask_b32_e32 v19, v2, v4, vcc
	v_cmp_eq_u32_e64 s[6:7], 3, v18
	v_cndmask_b32_e64 v6, v19, v6, s[4:5]
	ds_read_b64 v[20:21], v49 offset:8
	v_cndmask_b32_e64 v7, v7, v9, s[6:7]
	v_cmp_eq_u32_e64 s[8:9], 4, v18
	v_cndmask_b32_e64 v6, v6, v8, s[6:7]
	v_cndmask_b32_e64 v7, v7, v11, s[8:9]
	v_cmp_eq_u32_e64 s[10:11], 5, v18
	v_cndmask_b32_e64 v6, v6, v10, s[8:9]
	;; [unrolled: 3-line block ×3, first 2 shown]
	s_waitcnt vmcnt(0)
	v_cndmask_b32_e64 v7, v7, v15, s[12:13]
	v_cndmask_b32_e64 v6, v6, v14, s[12:13]
	s_waitcnt lgkmcnt(0)
	v_fmac_f64_e32 v[16:17], v[6:7], v[20:21]
.LBB6_95:
	s_or_b64 exec, exec, s[16:17]
	v_mov_b32_e32 v6, 0
	ds_read_b64 v[6:7], v6 offset:16
	s_waitcnt lgkmcnt(0)
	v_mul_f64 v[6:7], v[16:17], v[6:7]
.LBB6_96:
	s_or_b64 exec, exec, s[14:15]
	v_cmp_gt_u32_e32 vcc, 3, v0
	s_waitcnt vmcnt(4)
	ds_write_b64 v49, v[8:9]
	s_waitcnt lgkmcnt(0)
	; wave barrier
	s_waitcnt lgkmcnt(0)
	s_and_saveexec_b64 s[14:15], vcc
	s_cbranch_execz .LBB6_104
; %bb.97:
	s_and_b64 vcc, exec, s[0:1]
	s_cbranch_vccnz .LBB6_99
; %bb.98:
	v_cmp_eq_u32_e32 vcc, 1, v0
	s_waitcnt vmcnt(1)
	v_cndmask_b32_e32 v16, v3, v5, vcc
	v_cmp_eq_u32_e64 s[4:5], 2, v0
	v_cndmask_b32_e64 v16, v16, v7, s[4:5]
	v_cmp_eq_u32_e64 s[6:7], 3, v0
	v_cndmask_b32_e64 v16, v16, v9, s[6:7]
	;; [unrolled: 2-line block ×4, first 2 shown]
	v_cmp_eq_u32_e64 s[12:13], 6, v0
	s_waitcnt vmcnt(0)
	v_cndmask_b32_e64 v17, v16, v15, s[12:13]
	v_cndmask_b32_e32 v16, v2, v4, vcc
	v_cndmask_b32_e64 v16, v16, v6, s[4:5]
	ds_read_b64 v[20:21], v49
	v_cndmask_b32_e64 v16, v16, v8, s[6:7]
	v_cndmask_b32_e64 v16, v16, v10, s[8:9]
	;; [unrolled: 1-line block ×4, first 2 shown]
	s_waitcnt lgkmcnt(0)
	v_mul_f64 v[16:17], v[16:17], v[20:21]
	s_cbranch_execz .LBB6_100
	s_branch .LBB6_101
.LBB6_99:
                                        ; implicit-def: $vgpr16_vgpr17
.LBB6_100:
	ds_read_b64 v[16:17], v49
.LBB6_101:
	v_cmp_ne_u32_e32 vcc, 2, v0
	s_and_saveexec_b64 s[16:17], vcc
	s_cbranch_execz .LBB6_103
; %bb.102:
	v_cmp_eq_u32_e32 vcc, 1, v18
	s_waitcnt vmcnt(1)
	v_cndmask_b32_e32 v19, v3, v5, vcc
	v_cmp_eq_u32_e64 s[4:5], 2, v18
	v_cmp_eq_u32_e64 s[6:7], 3, v18
	;; [unrolled: 1-line block ×5, first 2 shown]
	v_cndmask_b32_e32 v18, v2, v4, vcc
	v_cndmask_b32_e64 v19, v19, v7, s[4:5]
	v_cndmask_b32_e64 v18, v18, v6, s[4:5]
	v_mov_b32_e32 v20, 0
	v_cndmask_b32_e64 v9, v19, v9, s[6:7]
	v_cndmask_b32_e64 v8, v18, v8, s[6:7]
	ds_read_b64 v[18:19], v49 offset:8
	ds_read_b64 v[20:21], v20 offset:80
	v_cndmask_b32_e64 v9, v9, v11, s[8:9]
	v_cndmask_b32_e64 v8, v8, v10, s[8:9]
	;; [unrolled: 1-line block ×4, first 2 shown]
	s_waitcnt vmcnt(0)
	v_cndmask_b32_e64 v9, v9, v15, s[12:13]
	v_cndmask_b32_e64 v8, v8, v14, s[12:13]
	s_waitcnt lgkmcnt(1)
	v_fmac_f64_e32 v[16:17], v[8:9], v[18:19]
	s_waitcnt lgkmcnt(0)
	v_fma_f64 v[8:9], v[6:7], v[20:21], v[16:17]
	v_cndmask_b32_e64 v17, v17, v9, s[2:3]
	v_cndmask_b32_e64 v16, v16, v8, s[2:3]
.LBB6_103:
	s_or_b64 exec, exec, s[16:17]
	v_mov_b32_e32 v8, 0
	ds_read_b64 v[8:9], v8 offset:24
	s_waitcnt lgkmcnt(0)
	v_mul_f64 v[8:9], v[16:17], v[8:9]
.LBB6_104:
	s_or_b64 exec, exec, s[14:15]
	v_cmp_gt_u32_e32 vcc, 4, v0
	s_waitcnt vmcnt(3)
	ds_write_b64 v49, v[10:11]
	s_waitcnt lgkmcnt(0)
	; wave barrier
	s_waitcnt lgkmcnt(0)
	s_and_saveexec_b64 s[12:13], vcc
	s_cbranch_execz .LBB6_114
; %bb.105:
	s_and_b64 vcc, exec, s[0:1]
	s_cbranch_vccnz .LBB6_107
; %bb.106:
	v_cmp_eq_u32_e32 vcc, 1, v0
	s_waitcnt vmcnt(1)
	v_cndmask_b32_e32 v16, v3, v5, vcc
	v_cmp_eq_u32_e64 s[2:3], 2, v0
	v_cndmask_b32_e64 v16, v16, v7, s[2:3]
	v_cmp_eq_u32_e64 s[4:5], 3, v0
	v_cndmask_b32_e64 v16, v16, v9, s[4:5]
	;; [unrolled: 2-line block ×4, first 2 shown]
	v_cmp_eq_u32_e64 s[10:11], 6, v0
	s_waitcnt vmcnt(0)
	v_cndmask_b32_e64 v17, v16, v15, s[10:11]
	v_cndmask_b32_e32 v16, v2, v4, vcc
	v_cndmask_b32_e64 v16, v16, v6, s[2:3]
	ds_read_b64 v[18:19], v49
	v_cndmask_b32_e64 v16, v16, v8, s[4:5]
	v_cndmask_b32_e64 v16, v16, v10, s[6:7]
	;; [unrolled: 1-line block ×4, first 2 shown]
	s_waitcnt lgkmcnt(0)
	v_mul_f64 v[16:17], v[16:17], v[18:19]
	s_cbranch_execz .LBB6_108
	s_branch .LBB6_109
.LBB6_107:
                                        ; implicit-def: $vgpr16_vgpr17
.LBB6_108:
	ds_read_b64 v[16:17], v49
.LBB6_109:
	v_cmp_ne_u32_e32 vcc, 3, v0
	s_and_saveexec_b64 s[6:7], vcc
	s_cbranch_execz .LBB6_113
; %bb.110:
	v_mov_b32_e32 v18, 0x48
	v_lshl_add_u32 v20, v0, 3, v18
	s_mov_b64 s[8:9], 0
	v_pk_mov_b32 v[18:19], v[0:1], v[0:1] op_sel:[0,1]
.LBB6_111:                              ; =>This Inner Loop Header: Depth=1
	v_add_co_u32_e32 v18, vcc, 1, v18
	v_addc_co_u32_e32 v19, vcc, 0, v19, vcc
	v_cmp_eq_u32_e32 vcc, 1, v18
	s_waitcnt vmcnt(1)
	v_cndmask_b32_e32 v21, v3, v5, vcc
	v_cmp_eq_u32_e64 s[4:5], 2, v18
	v_cmp_lt_u32_e64 s[2:3], 2, v18
	v_cndmask_b32_e64 v21, v21, v7, s[4:5]
	v_cndmask_b32_e32 v24, v2, v4, vcc
	v_cmp_eq_u32_e32 vcc, 3, v18
	ds_read_b64 v[22:23], v20
	s_or_b64 s[8:9], s[2:3], s[8:9]
	v_cndmask_b32_e32 v21, v21, v9, vcc
	v_cndmask_b32_e64 v24, v24, v6, s[4:5]
	v_cmp_eq_u32_e64 s[2:3], 4, v18
	v_cndmask_b32_e64 v21, v21, v11, s[2:3]
	v_cndmask_b32_e32 v24, v24, v8, vcc
	v_cmp_eq_u32_e32 vcc, 5, v18
	v_cndmask_b32_e32 v21, v21, v13, vcc
	v_cndmask_b32_e64 v24, v24, v10, s[2:3]
	v_cmp_eq_u32_e64 s[2:3], 6, v18
	s_waitcnt vmcnt(0)
	v_cndmask_b32_e64 v25, v21, v15, s[2:3]
	v_cndmask_b32_e32 v21, v24, v12, vcc
	v_cndmask_b32_e64 v24, v21, v14, s[2:3]
	v_add_u32_e32 v20, 8, v20
	s_waitcnt lgkmcnt(0)
	v_fmac_f64_e32 v[16:17], v[24:25], v[22:23]
	s_andn2_b64 exec, exec, s[8:9]
	s_cbranch_execnz .LBB6_111
; %bb.112:
	s_or_b64 exec, exec, s[8:9]
.LBB6_113:
	s_or_b64 exec, exec, s[6:7]
	v_mov_b32_e32 v10, 0
	ds_read_b64 v[10:11], v10 offset:32
	s_waitcnt lgkmcnt(0)
	v_mul_f64 v[10:11], v[16:17], v[10:11]
.LBB6_114:
	s_or_b64 exec, exec, s[12:13]
	v_cmp_gt_u32_e64 s[2:3], 5, v0
	s_waitcnt vmcnt(2)
	ds_write_b64 v49, v[12:13]
	s_waitcnt lgkmcnt(0)
	; wave barrier
	s_waitcnt lgkmcnt(0)
	s_and_saveexec_b64 s[14:15], s[2:3]
	s_cbranch_execz .LBB6_124
; %bb.115:
	s_and_b64 vcc, exec, s[0:1]
	s_cbranch_vccnz .LBB6_117
; %bb.116:
	v_cmp_eq_u32_e32 vcc, 1, v0
	s_waitcnt vmcnt(1)
	v_cndmask_b32_e32 v16, v3, v5, vcc
	v_cmp_eq_u32_e64 s[4:5], 2, v0
	v_cndmask_b32_e64 v16, v16, v7, s[4:5]
	v_cmp_eq_u32_e64 s[6:7], 3, v0
	v_cndmask_b32_e64 v16, v16, v9, s[6:7]
	;; [unrolled: 2-line block ×4, first 2 shown]
	v_cmp_eq_u32_e64 s[12:13], 6, v0
	s_waitcnt vmcnt(0)
	v_cndmask_b32_e64 v17, v16, v15, s[12:13]
	v_cndmask_b32_e32 v16, v2, v4, vcc
	v_cndmask_b32_e64 v16, v16, v6, s[4:5]
	ds_read_b64 v[18:19], v49
	v_cndmask_b32_e64 v16, v16, v8, s[6:7]
	v_cndmask_b32_e64 v16, v16, v10, s[8:9]
	v_cndmask_b32_e64 v16, v16, v12, s[10:11]
	v_cndmask_b32_e64 v16, v16, v14, s[12:13]
	s_waitcnt lgkmcnt(0)
	v_mul_f64 v[16:17], v[16:17], v[18:19]
	s_cbranch_execz .LBB6_118
	s_branch .LBB6_119
.LBB6_117:
                                        ; implicit-def: $vgpr16_vgpr17
.LBB6_118:
	ds_read_b64 v[16:17], v49
.LBB6_119:
	v_cmp_ne_u32_e32 vcc, 4, v0
	s_and_saveexec_b64 s[8:9], vcc
	s_cbranch_execz .LBB6_123
; %bb.120:
	v_mov_b32_e32 v18, 0x48
	v_lshl_add_u32 v20, v0, 3, v18
	s_mov_b64 s[10:11], 0
	v_pk_mov_b32 v[18:19], v[0:1], v[0:1] op_sel:[0,1]
.LBB6_121:                              ; =>This Inner Loop Header: Depth=1
	v_add_co_u32_e32 v18, vcc, 1, v18
	v_addc_co_u32_e32 v19, vcc, 0, v19, vcc
	v_cmp_eq_u32_e32 vcc, 1, v18
	s_waitcnt vmcnt(1)
	v_cndmask_b32_e32 v21, v3, v5, vcc
	v_cmp_eq_u32_e64 s[6:7], 2, v18
	v_cmp_lt_u32_e64 s[4:5], 3, v18
	v_cndmask_b32_e64 v21, v21, v7, s[6:7]
	v_cndmask_b32_e32 v24, v2, v4, vcc
	v_cmp_eq_u32_e32 vcc, 3, v18
	ds_read_b64 v[22:23], v20
	s_or_b64 s[10:11], s[4:5], s[10:11]
	v_cndmask_b32_e32 v21, v21, v9, vcc
	v_cndmask_b32_e64 v24, v24, v6, s[6:7]
	v_cmp_eq_u32_e64 s[4:5], 4, v18
	v_cndmask_b32_e64 v21, v21, v11, s[4:5]
	v_cndmask_b32_e32 v24, v24, v8, vcc
	v_cmp_eq_u32_e32 vcc, 5, v18
	v_cndmask_b32_e32 v21, v21, v13, vcc
	v_cndmask_b32_e64 v24, v24, v10, s[4:5]
	v_cmp_eq_u32_e64 s[4:5], 6, v18
	s_waitcnt vmcnt(0)
	v_cndmask_b32_e64 v25, v21, v15, s[4:5]
	v_cndmask_b32_e32 v21, v24, v12, vcc
	v_cndmask_b32_e64 v24, v21, v14, s[4:5]
	v_add_u32_e32 v20, 8, v20
	s_waitcnt lgkmcnt(0)
	v_fmac_f64_e32 v[16:17], v[24:25], v[22:23]
	s_andn2_b64 exec, exec, s[10:11]
	s_cbranch_execnz .LBB6_121
; %bb.122:
	s_or_b64 exec, exec, s[10:11]
.LBB6_123:
	s_or_b64 exec, exec, s[8:9]
	v_mov_b32_e32 v12, 0
	ds_read_b64 v[12:13], v12 offset:40
	s_waitcnt lgkmcnt(0)
	v_mul_f64 v[12:13], v[16:17], v[12:13]
.LBB6_124:
	s_or_b64 exec, exec, s[14:15]
	v_cmp_ne_u32_e32 vcc, 6, v0
	s_waitcnt vmcnt(0)
	ds_write_b64 v49, v[14:15]
	s_waitcnt lgkmcnt(0)
	; wave barrier
	s_waitcnt lgkmcnt(0)
	s_and_saveexec_b64 s[12:13], vcc
	s_cbranch_execz .LBB6_134
; %bb.125:
	s_and_b64 vcc, exec, s[0:1]
	s_cbranch_vccnz .LBB6_127
; %bb.126:
	v_cmp_eq_u32_e32 vcc, 1, v0
	v_cndmask_b32_e32 v16, v3, v5, vcc
	v_cmp_eq_u32_e64 s[0:1], 2, v0
	v_cndmask_b32_e64 v16, v16, v7, s[0:1]
	v_cmp_eq_u32_e64 s[4:5], 3, v0
	v_cndmask_b32_e64 v16, v16, v9, s[4:5]
	;; [unrolled: 2-line block ×5, first 2 shown]
	v_cndmask_b32_e32 v16, v2, v4, vcc
	v_cndmask_b32_e64 v16, v16, v6, s[0:1]
	ds_read_b64 v[18:19], v49
	v_cndmask_b32_e64 v16, v16, v8, s[4:5]
	v_cndmask_b32_e64 v16, v16, v10, s[6:7]
	;; [unrolled: 1-line block ×4, first 2 shown]
	s_waitcnt lgkmcnt(0)
	v_mul_f64 v[16:17], v[16:17], v[18:19]
	s_cbranch_execz .LBB6_128
	s_branch .LBB6_129
.LBB6_127:
                                        ; implicit-def: $vgpr16_vgpr17
.LBB6_128:
	ds_read_b64 v[16:17], v49
.LBB6_129:
	s_and_saveexec_b64 s[4:5], s[2:3]
	s_cbranch_execz .LBB6_133
; %bb.130:
	v_mov_b32_e32 v18, 0x48
	v_lshl_add_u32 v18, v0, 3, v18
	s_mov_b64 s[6:7], 0
.LBB6_131:                              ; =>This Inner Loop Header: Depth=1
	v_add_co_u32_e32 v0, vcc, 1, v0
	v_addc_co_u32_e32 v1, vcc, 0, v1, vcc
	v_cmp_eq_u32_e32 vcc, 1, v0
	v_cndmask_b32_e32 v19, v3, v5, vcc
	v_cmp_eq_u32_e64 s[2:3], 2, v0
	v_cmp_lt_u32_e64 s[0:1], 4, v0
	v_cndmask_b32_e64 v19, v19, v7, s[2:3]
	v_cndmask_b32_e32 v22, v2, v4, vcc
	v_cmp_eq_u32_e32 vcc, 3, v0
	ds_read_b64 v[20:21], v18
	s_or_b64 s[6:7], s[0:1], s[6:7]
	v_cndmask_b32_e32 v19, v19, v9, vcc
	v_cndmask_b32_e64 v22, v22, v6, s[2:3]
	v_cmp_eq_u32_e64 s[0:1], 4, v0
	v_cndmask_b32_e64 v19, v19, v11, s[0:1]
	v_cndmask_b32_e32 v22, v22, v8, vcc
	v_cmp_eq_u32_e32 vcc, 5, v0
	v_cndmask_b32_e32 v19, v19, v13, vcc
	v_cndmask_b32_e64 v22, v22, v10, s[0:1]
	v_cmp_eq_u32_e64 s[0:1], 6, v0
	v_cndmask_b32_e64 v23, v19, v15, s[0:1]
	v_cndmask_b32_e32 v19, v22, v12, vcc
	v_cndmask_b32_e64 v22, v19, v14, s[0:1]
	v_add_u32_e32 v18, 8, v18
	s_waitcnt lgkmcnt(0)
	v_fmac_f64_e32 v[16:17], v[22:23], v[20:21]
	s_andn2_b64 exec, exec, s[6:7]
	s_cbranch_execnz .LBB6_131
; %bb.132:
	s_or_b64 exec, exec, s[6:7]
.LBB6_133:
	s_or_b64 exec, exec, s[4:5]
	v_mov_b32_e32 v0, 0
	ds_read_b64 v[0:1], v0 offset:48
	s_waitcnt lgkmcnt(0)
	v_mul_f64 v[14:15], v[16:17], v[0:1]
.LBB6_134:
	s_or_b64 exec, exec, s[12:13]
	v_pk_mov_b32 v[30:31], v[16:17], v[16:17] op_sel:[0,1]
	v_pk_mov_b32 v[28:29], v[14:15], v[14:15] op_sel:[0,1]
	;; [unrolled: 1-line block ×8, first 2 shown]
.LBB6_135:
	global_store_dwordx2 v[32:33], v[16:17], off
	global_store_dwordx2 v[34:35], v[18:19], off
	;; [unrolled: 1-line block ×7, first 2 shown]
.LBB6_136:
	s_endpgm
	.section	.rodata,"a",@progbits
	.p2align	6, 0x0
	.amdhsa_kernel _ZN9rocsolver6v33100L18trti2_kernel_smallILi7EdPdEEv13rocblas_fill_17rocblas_diagonal_T1_iil
		.amdhsa_group_segment_fixed_size 120
		.amdhsa_private_segment_fixed_size 0
		.amdhsa_kernarg_size 32
		.amdhsa_user_sgpr_count 6
		.amdhsa_user_sgpr_private_segment_buffer 1
		.amdhsa_user_sgpr_dispatch_ptr 0
		.amdhsa_user_sgpr_queue_ptr 0
		.amdhsa_user_sgpr_kernarg_segment_ptr 1
		.amdhsa_user_sgpr_dispatch_id 0
		.amdhsa_user_sgpr_flat_scratch_init 0
		.amdhsa_user_sgpr_kernarg_preload_length 0
		.amdhsa_user_sgpr_kernarg_preload_offset 0
		.amdhsa_user_sgpr_private_segment_size 0
		.amdhsa_uses_dynamic_stack 0
		.amdhsa_system_sgpr_private_segment_wavefront_offset 0
		.amdhsa_system_sgpr_workgroup_id_x 1
		.amdhsa_system_sgpr_workgroup_id_y 0
		.amdhsa_system_sgpr_workgroup_id_z 0
		.amdhsa_system_sgpr_workgroup_info 0
		.amdhsa_system_vgpr_workitem_id 0
		.amdhsa_next_free_vgpr 70
		.amdhsa_next_free_sgpr 30
		.amdhsa_accum_offset 72
		.amdhsa_reserve_vcc 1
		.amdhsa_reserve_flat_scratch 0
		.amdhsa_float_round_mode_32 0
		.amdhsa_float_round_mode_16_64 0
		.amdhsa_float_denorm_mode_32 3
		.amdhsa_float_denorm_mode_16_64 3
		.amdhsa_dx10_clamp 1
		.amdhsa_ieee_mode 1
		.amdhsa_fp16_overflow 0
		.amdhsa_tg_split 0
		.amdhsa_exception_fp_ieee_invalid_op 0
		.amdhsa_exception_fp_denorm_src 0
		.amdhsa_exception_fp_ieee_div_zero 0
		.amdhsa_exception_fp_ieee_overflow 0
		.amdhsa_exception_fp_ieee_underflow 0
		.amdhsa_exception_fp_ieee_inexact 0
		.amdhsa_exception_int_div_zero 0
	.end_amdhsa_kernel
	.section	.text._ZN9rocsolver6v33100L18trti2_kernel_smallILi7EdPdEEv13rocblas_fill_17rocblas_diagonal_T1_iil,"axG",@progbits,_ZN9rocsolver6v33100L18trti2_kernel_smallILi7EdPdEEv13rocblas_fill_17rocblas_diagonal_T1_iil,comdat
.Lfunc_end6:
	.size	_ZN9rocsolver6v33100L18trti2_kernel_smallILi7EdPdEEv13rocblas_fill_17rocblas_diagonal_T1_iil, .Lfunc_end6-_ZN9rocsolver6v33100L18trti2_kernel_smallILi7EdPdEEv13rocblas_fill_17rocblas_diagonal_T1_iil
                                        ; -- End function
	.section	.AMDGPU.csdata,"",@progbits
; Kernel info:
; codeLenInByte = 7472
; NumSgprs: 34
; NumVgprs: 70
; NumAgprs: 0
; TotalNumVgprs: 70
; ScratchSize: 0
; MemoryBound: 0
; FloatMode: 240
; IeeeMode: 1
; LDSByteSize: 120 bytes/workgroup (compile time only)
; SGPRBlocks: 4
; VGPRBlocks: 8
; NumSGPRsForWavesPerEU: 34
; NumVGPRsForWavesPerEU: 70
; AccumOffset: 72
; Occupancy: 7
; WaveLimiterHint : 0
; COMPUTE_PGM_RSRC2:SCRATCH_EN: 0
; COMPUTE_PGM_RSRC2:USER_SGPR: 6
; COMPUTE_PGM_RSRC2:TRAP_HANDLER: 0
; COMPUTE_PGM_RSRC2:TGID_X_EN: 1
; COMPUTE_PGM_RSRC2:TGID_Y_EN: 0
; COMPUTE_PGM_RSRC2:TGID_Z_EN: 0
; COMPUTE_PGM_RSRC2:TIDIG_COMP_CNT: 0
; COMPUTE_PGM_RSRC3_GFX90A:ACCUM_OFFSET: 17
; COMPUTE_PGM_RSRC3_GFX90A:TG_SPLIT: 0
	.section	.text._ZN9rocsolver6v33100L18trti2_kernel_smallILi8EdPdEEv13rocblas_fill_17rocblas_diagonal_T1_iil,"axG",@progbits,_ZN9rocsolver6v33100L18trti2_kernel_smallILi8EdPdEEv13rocblas_fill_17rocblas_diagonal_T1_iil,comdat
	.globl	_ZN9rocsolver6v33100L18trti2_kernel_smallILi8EdPdEEv13rocblas_fill_17rocblas_diagonal_T1_iil ; -- Begin function _ZN9rocsolver6v33100L18trti2_kernel_smallILi8EdPdEEv13rocblas_fill_17rocblas_diagonal_T1_iil
	.p2align	8
	.type	_ZN9rocsolver6v33100L18trti2_kernel_smallILi8EdPdEEv13rocblas_fill_17rocblas_diagonal_T1_iil,@function
_ZN9rocsolver6v33100L18trti2_kernel_smallILi8EdPdEEv13rocblas_fill_17rocblas_diagonal_T1_iil: ; @_ZN9rocsolver6v33100L18trti2_kernel_smallILi8EdPdEEv13rocblas_fill_17rocblas_diagonal_T1_iil
; %bb.0:
	v_cmp_gt_u32_e32 vcc, 8, v0
	s_and_saveexec_b64 s[0:1], vcc
	s_cbranch_execz .LBB7_162
; %bb.1:
	s_load_dwordx8 s[16:23], s[4:5], 0x0
	s_ashr_i32 s2, s6, 31
	v_lshlrev_b32_e32 v20, 3, v0
	v_mov_b32_e32 v18, 0
	v_mov_b32_e32 v19, 0xbff00000
	s_waitcnt lgkmcnt(0)
	s_mul_i32 s3, s6, s23
	s_mul_hi_u32 s4, s6, s22
	s_add_i32 s3, s4, s3
	s_mul_i32 s2, s2, s22
	s_add_i32 s3, s3, s2
	s_mul_i32 s2, s6, s22
	s_ashr_i32 s1, s20, 31
	s_lshl_b64 s[2:3], s[2:3], 3
	s_mov_b32 s0, s20
	s_add_u32 s2, s18, s2
	s_addc_u32 s3, s19, s3
	s_lshl_b64 s[0:1], s[0:1], 3
	s_add_u32 s0, s2, s0
	s_addc_u32 s1, s3, s1
	v_mov_b32_e32 v1, s1
	v_add_co_u32_e32 v34, vcc, s0, v20
	s_ashr_i32 s3, s21, 31
	s_mov_b32 s2, s21
	v_addc_co_u32_e32 v35, vcc, 0, v1, vcc
	s_lshl_b64 s[2:3], s[2:3], 3
	v_add_co_u32_e32 v36, vcc, s2, v34
	s_add_i32 s2, s21, s21
	v_add_u32_e32 v2, s2, v0
	v_mov_b32_e32 v1, s3
	v_ashrrev_i32_e32 v3, 31, v2
	v_addc_co_u32_e32 v37, vcc, v35, v1, vcc
	v_lshlrev_b64 v[4:5], 3, v[2:3]
	v_add_u32_e32 v2, s21, v2
	v_mov_b32_e32 v1, s1
	v_add_co_u32_e32 v38, vcc, s0, v4
	v_ashrrev_i32_e32 v3, 31, v2
	v_addc_co_u32_e32 v39, vcc, v1, v5, vcc
	v_lshlrev_b64 v[4:5], 3, v[2:3]
	v_add_u32_e32 v2, s21, v2
	v_add_co_u32_e32 v40, vcc, s0, v4
	v_ashrrev_i32_e32 v3, 31, v2
	v_addc_co_u32_e32 v41, vcc, v1, v5, vcc
	v_lshlrev_b64 v[4:5], 3, v[2:3]
	v_add_u32_e32 v2, s21, v2
	;; [unrolled: 5-line block ×4, first 2 shown]
	v_add_co_u32_e32 v46, vcc, s0, v12
	v_ashrrev_i32_e32 v3, 31, v2
	global_load_dwordx2 v[4:5], v[36:37], off
	global_load_dwordx2 v[6:7], v[38:39], off
	;; [unrolled: 1-line block ×4, first 2 shown]
	v_addc_co_u32_e32 v47, vcc, v1, v13, vcc
	v_lshlrev_b64 v[2:3], 3, v[2:3]
	v_add_co_u32_e32 v48, vcc, s0, v2
	global_load_dwordx2 v[12:13], v[44:45], off
	global_load_dwordx2 v[14:15], v[46:47], off
	v_addc_co_u32_e32 v49, vcc, v1, v3, vcc
	global_load_dwordx2 v[2:3], v20, s[0:1]
	global_load_dwordx2 v[16:17], v[48:49], off
	s_cmpk_lg_i32 s17, 0x84
	v_mov_b32_e32 v1, 0
	s_cselect_b64 s[18:19], -1, 0
	s_cmpk_eq_i32 s17, 0x84
	v_cmp_eq_u32_e64 s[0:1], 0, v0
	s_cbranch_scc1 .LBB7_3
; %bb.2:
	v_cmp_eq_u32_e64 s[2:3], 1, v0
	s_waitcnt vmcnt(1)
	v_cndmask_b32_e64 v18, v3, v5, s[2:3]
	v_cmp_eq_u32_e64 s[4:5], 2, v0
	v_cndmask_b32_e64 v18, v18, v7, s[4:5]
	v_cmp_eq_u32_e64 s[6:7], 3, v0
	;; [unrolled: 2-line block ×6, first 2 shown]
	s_waitcnt vmcnt(0)
	v_cndmask_b32_e64 v19, v18, v17, s[14:15]
	v_cndmask_b32_e64 v18, v2, v4, s[2:3]
	;; [unrolled: 1-line block ×8, first 2 shown]
	v_div_scale_f64 v[22:23], s[20:21], v[18:19], v[18:19], 1.0
	v_rcp_f64_e32 v[24:25], v[22:23]
	v_fma_f64 v[26:27], -v[22:23], v[24:25], 1.0
	v_fmac_f64_e32 v[24:25], v[24:25], v[26:27]
	v_fma_f64 v[26:27], -v[22:23], v[24:25], 1.0
	v_fmac_f64_e32 v[24:25], v[24:25], v[26:27]
	v_div_scale_f64 v[26:27], vcc, 1.0, v[18:19], 1.0
	v_mul_f64 v[28:29], v[26:27], v[24:25]
	v_fma_f64 v[22:23], -v[22:23], v[28:29], v[26:27]
	s_nop 1
	v_div_fmas_f64 v[22:23], v[22:23], v[24:25], v[28:29]
	v_div_fixup_f64 v[18:19], v[22:23], v[18:19], 1.0
	v_cndmask_b32_e64 v17, v17, v19, s[14:15]
	v_cndmask_b32_e64 v16, v16, v18, s[14:15]
	;; [unrolled: 1-line block ×16, first 2 shown]
	v_xor_b32_e32 v19, 0x80000000, v19
.LBB7_3:
	s_cmpk_eq_i32 s16, 0x79
	v_add_u32_e32 v55, 64, v20
	ds_write_b64 v20, v[18:19]
	s_cbranch_scc1 .LBB7_7
; %bb.4:
	s_waitcnt vmcnt(0)
	v_pk_mov_b32 v[32:33], v[16:17], v[16:17] op_sel:[0,1]
	v_cmp_eq_u32_e64 s[0:1], 7, v0
	v_pk_mov_b32 v[30:31], v[14:15], v[14:15] op_sel:[0,1]
	v_pk_mov_b32 v[28:29], v[12:13], v[12:13] op_sel:[0,1]
	v_pk_mov_b32 v[26:27], v[10:11], v[10:11] op_sel:[0,1]
	v_pk_mov_b32 v[24:25], v[8:9], v[8:9] op_sel:[0,1]
	v_pk_mov_b32 v[22:23], v[6:7], v[6:7] op_sel:[0,1]
	v_pk_mov_b32 v[20:21], v[4:5], v[4:5] op_sel:[0,1]
	v_pk_mov_b32 v[18:19], v[2:3], v[2:3] op_sel:[0,1]
	ds_write_b64 v55, v[14:15]
	s_waitcnt lgkmcnt(0)
	; wave barrier
	s_waitcnt lgkmcnt(0)
	s_and_saveexec_b64 s[14:15], s[0:1]
	s_cbranch_execz .LBB7_11
; %bb.5:
	s_and_b64 vcc, exec, s[18:19]
	s_cbranch_vccz .LBB7_8
; %bb.6:
	v_cmp_eq_u32_e32 vcc, 1, v0
	v_cndmask_b32_e32 v18, v3, v5, vcc
	v_cmp_eq_u32_e64 s[2:3], 2, v0
	v_cndmask_b32_e64 v18, v18, v7, s[2:3]
	v_cmp_eq_u32_e64 s[4:5], 3, v0
	v_cndmask_b32_e64 v18, v18, v9, s[4:5]
	;; [unrolled: 2-line block ×6, first 2 shown]
	v_cndmask_b32_e32 v18, v2, v4, vcc
	v_cndmask_b32_e64 v18, v18, v6, s[2:3]
	v_cndmask_b32_e64 v18, v18, v8, s[4:5]
	ds_read_b64 v[20:21], v55
	v_cndmask_b32_e64 v18, v18, v10, s[6:7]
	v_cndmask_b32_e64 v18, v18, v12, s[8:9]
	;; [unrolled: 1-line block ×4, first 2 shown]
	s_waitcnt lgkmcnt(0)
	v_mul_f64 v[50:51], v[18:19], v[20:21]
	s_cbranch_execz .LBB7_9
	s_branch .LBB7_10
.LBB7_7:
                                        ; implicit-def: $vgpr18_vgpr19_vgpr20_vgpr21_vgpr22_vgpr23_vgpr24_vgpr25_vgpr26_vgpr27_vgpr28_vgpr29_vgpr30_vgpr31_vgpr32_vgpr33
	s_cbranch_execnz .LBB7_98
	s_branch .LBB7_161
.LBB7_8:
                                        ; implicit-def: $vgpr50_vgpr51
.LBB7_9:
	ds_read_b64 v[50:51], v55
.LBB7_10:
	v_mov_b32_e32 v18, 0
	ds_read_b64 v[52:53], v18 offset:48
	v_pk_mov_b32 v[32:33], v[16:17], v[16:17] op_sel:[0,1]
	v_pk_mov_b32 v[30:31], v[14:15], v[14:15] op_sel:[0,1]
	;; [unrolled: 1-line block ×8, first 2 shown]
	s_waitcnt lgkmcnt(0)
	v_mul_f64 v[30:31], v[50:51], v[52:53]
.LBB7_11:
	s_or_b64 exec, exec, s[14:15]
	v_cmp_lt_u32_e64 s[2:3], 5, v0
	ds_write_b64 v55, v[28:29]
	s_waitcnt lgkmcnt(0)
	; wave barrier
	s_waitcnt lgkmcnt(0)
	s_and_saveexec_b64 s[16:17], s[2:3]
	s_cbranch_execz .LBB7_17
; %bb.12:
	s_andn2_b64 vcc, exec, s[18:19]
	s_cbranch_vccnz .LBB7_14
; %bb.13:
	v_cmp_eq_u32_e32 vcc, 1, v0
	v_cndmask_b32_e32 v50, v19, v21, vcc
	v_cmp_eq_u32_e64 s[4:5], 2, v0
	v_cndmask_b32_e64 v50, v50, v23, s[4:5]
	v_cmp_eq_u32_e64 s[6:7], 3, v0
	v_cndmask_b32_e64 v50, v50, v25, s[6:7]
	v_cmp_eq_u32_e64 s[8:9], 4, v0
	v_cndmask_b32_e64 v50, v50, v27, s[8:9]
	v_cmp_eq_u32_e64 s[10:11], 5, v0
	v_cndmask_b32_e64 v29, v50, v29, s[10:11]
	v_cndmask_b32_e32 v50, v18, v20, vcc
	v_cndmask_b32_e64 v50, v50, v22, s[4:5]
	v_cndmask_b32_e64 v52, v50, v24, s[6:7]
	ds_read_b64 v[50:51], v55
	v_cndmask_b32_e64 v52, v52, v26, s[8:9]
	v_cmp_eq_u32_e64 s[12:13], 6, v0
	v_cndmask_b32_e64 v28, v52, v28, s[10:11]
	v_cndmask_b32_e64 v29, v29, v31, s[12:13]
	v_cmp_eq_u32_e64 s[14:15], 7, v0
	v_cndmask_b32_e64 v28, v28, v30, s[12:13]
	v_cndmask_b32_e64 v29, v29, v33, s[14:15]
	;; [unrolled: 1-line block ×3, first 2 shown]
	s_waitcnt lgkmcnt(0)
	v_mul_f64 v[28:29], v[28:29], v[50:51]
	s_cbranch_execz .LBB7_15
	s_branch .LBB7_16
.LBB7_14:
                                        ; implicit-def: $vgpr28_vgpr29
.LBB7_15:
	ds_read_b64 v[28:29], v55
.LBB7_16:
	v_mov_b32_e32 v50, 0
	ds_read2_b64 v[50:53], v50 offset0:5 offset1:14
	s_waitcnt lgkmcnt(0)
	v_fma_f64 v[52:53], v[30:31], v[52:53], v[28:29]
	v_cndmask_b32_e64 v29, v29, v53, s[0:1]
	v_cndmask_b32_e64 v28, v28, v52, s[0:1]
	v_mul_f64 v[28:29], v[28:29], v[50:51]
.LBB7_17:
	s_or_b64 exec, exec, s[16:17]
	v_cmp_lt_u32_e64 s[0:1], 4, v0
	ds_write_b64 v55, v[26:27]
	s_waitcnt lgkmcnt(0)
	; wave barrier
	s_waitcnt lgkmcnt(0)
	s_and_saveexec_b64 s[16:17], s[0:1]
	s_cbranch_execz .LBB7_33
; %bb.18:
	s_andn2_b64 vcc, exec, s[18:19]
	s_cbranch_vccnz .LBB7_20
; %bb.19:
	v_cmp_eq_u32_e32 vcc, 1, v0
	v_cndmask_b32_e32 v50, v19, v21, vcc
	v_cmp_eq_u32_e64 s[4:5], 2, v0
	v_cndmask_b32_e64 v50, v50, v23, s[4:5]
	v_cmp_eq_u32_e64 s[6:7], 3, v0
	v_cndmask_b32_e64 v50, v50, v25, s[6:7]
	;; [unrolled: 2-line block ×6, first 2 shown]
	v_cndmask_b32_e32 v50, v18, v20, vcc
	v_cndmask_b32_e64 v50, v50, v22, s[4:5]
	v_cndmask_b32_e64 v50, v50, v24, s[6:7]
	ds_read_b64 v[52:53], v55
	v_cndmask_b32_e64 v50, v50, v26, s[8:9]
	v_cndmask_b32_e64 v50, v50, v28, s[10:11]
	;; [unrolled: 1-line block ×4, first 2 shown]
	s_waitcnt lgkmcnt(0)
	v_mul_f64 v[50:51], v[50:51], v[52:53]
	s_cbranch_execz .LBB7_21
	s_branch .LBB7_22
.LBB7_20:
                                        ; implicit-def: $vgpr50_vgpr51
.LBB7_21:
	ds_read_b64 v[50:51], v55
.LBB7_22:
	s_and_saveexec_b64 s[6:7], s[2:3]
	s_cbranch_execz .LBB7_32
; %bb.23:
	v_add_u32_e32 v52, -6, v0
	v_add_u32_e32 v53, -5, v0
	v_cmp_lt_u32_e32 vcc, 6, v52
	v_mov_b32_e32 v54, 5
	s_and_saveexec_b64 s[2:3], vcc
	s_cbranch_execz .LBB7_27
; %bb.24:
	v_and_b32_e32 v52, -8, v53
	v_sub_u32_e32 v52, 0, v52
	s_mov_b64 s[4:5], 12
	s_movk_i32 s10, 0x68
	s_mov_b64 s[8:9], 0
.LBB7_25:                               ; =>This Inner Loop Header: Depth=1
	s_lshl_b32 s11, s4, 1
	s_add_i32 s12, s11, -13
	s_set_gpr_idx_on s12, gpr_idx(SRC0)
	v_mov_b32_e32 v61, v18
	s_set_gpr_idx_off
	s_add_i32 s12, s11, -14
	v_mov_b32_e32 v54, s10
	s_set_gpr_idx_on s12, gpr_idx(SRC0)
	v_mov_b32_e32 v60, v18
	s_set_gpr_idx_off
	ds_read2_b64 v[56:59], v54 offset1:1
	s_add_i32 s12, s11, -11
	s_waitcnt lgkmcnt(0)
	v_fmac_f64_e32 v[50:51], v[60:61], v[56:57]
	s_set_gpr_idx_on s12, gpr_idx(SRC0)
	v_mov_b32_e32 v57, v18
	s_set_gpr_idx_off
	s_add_i32 s12, s11, -12
	s_set_gpr_idx_on s12, gpr_idx(SRC0)
	v_mov_b32_e32 v56, v18
	s_set_gpr_idx_off
	s_add_i32 s12, s11, -9
	v_fmac_f64_e32 v[50:51], v[56:57], v[58:59]
	s_set_gpr_idx_on s12, gpr_idx(SRC0)
	v_mov_b32_e32 v61, v18
	s_set_gpr_idx_off
	s_add_i32 s12, s11, -10
	s_set_gpr_idx_on s12, gpr_idx(SRC0)
	v_mov_b32_e32 v60, v18
	s_set_gpr_idx_off
	ds_read2_b64 v[56:59], v54 offset0:2 offset1:3
	s_add_i32 s12, s11, -7
	s_waitcnt lgkmcnt(0)
	v_fmac_f64_e32 v[50:51], v[60:61], v[56:57]
	s_set_gpr_idx_on s12, gpr_idx(SRC0)
	v_mov_b32_e32 v57, v18
	s_set_gpr_idx_off
	s_add_i32 s12, s11, -8
	s_set_gpr_idx_on s12, gpr_idx(SRC0)
	v_mov_b32_e32 v56, v18
	s_set_gpr_idx_off
	s_add_i32 s12, s11, -5
	v_fmac_f64_e32 v[50:51], v[56:57], v[58:59]
	s_set_gpr_idx_on s12, gpr_idx(SRC0)
	v_mov_b32_e32 v61, v18
	s_set_gpr_idx_off
	s_add_i32 s12, s11, -6
	s_set_gpr_idx_on s12, gpr_idx(SRC0)
	v_mov_b32_e32 v60, v18
	s_set_gpr_idx_off
	ds_read2_b64 v[56:59], v54 offset0:4 offset1:5
	;; [unrolled: 20-line block ×3, first 2 shown]
	s_add_u32 s4, s4, 8
	v_add_u32_e32 v54, s4, v52
	s_addc_u32 s5, s5, 0
	s_add_i32 s10, s10, 64
	s_waitcnt lgkmcnt(0)
	v_fmac_f64_e32 v[50:51], v[60:61], v[56:57]
	s_set_gpr_idx_on s11, gpr_idx(SRC0)
	v_mov_b32_e32 v57, v19
	v_mov_b32_e32 v56, v18
	s_set_gpr_idx_off
	v_cmp_eq_u32_e32 vcc, 12, v54
	s_add_i32 s11, s4, -7
	v_fmac_f64_e32 v[50:51], v[56:57], v[58:59]
	s_or_b64 s[8:9], vcc, s[8:9]
	v_mov_b32_e32 v54, s11
	s_andn2_b64 exec, exec, s[8:9]
	s_cbranch_execnz .LBB7_25
; %bb.26:
	s_or_b64 exec, exec, s[8:9]
.LBB7_27:
	s_or_b64 exec, exec, s[2:3]
	v_and_b32_e32 v52, 7, v53
	v_cmp_ne_u32_e32 vcc, 0, v52
	s_and_saveexec_b64 s[8:9], vcc
	s_cbranch_execz .LBB7_31
; %bb.28:
	v_lshl_add_u32 v56, v54, 3, 64
	v_mov_b32_e32 v53, 0
	s_mov_b64 s[10:11], 0
.LBB7_29:                               ; =>This Inner Loop Header: Depth=1
	v_cmp_eq_u32_e32 vcc, 1, v54
	v_cndmask_b32_e32 v57, v19, v21, vcc
	v_add_u32_e32 v52, -1, v52
	v_cmp_eq_u32_e64 s[2:3], 2, v54
	v_cndmask_b32_e64 v57, v57, v23, s[2:3]
	v_cndmask_b32_e32 v60, v18, v20, vcc
	v_cmp_eq_u32_e32 vcc, 0, v52
	v_cmp_eq_u32_e64 s[4:5], 3, v54
	v_cndmask_b32_e64 v57, v57, v25, s[4:5]
	v_cndmask_b32_e64 v60, v60, v22, s[2:3]
	s_or_b64 s[10:11], vcc, s[10:11]
	v_cmp_eq_u32_e32 vcc, 4, v54
	ds_read_b64 v[58:59], v56
	v_cndmask_b32_e32 v57, v57, v27, vcc
	v_cndmask_b32_e64 v60, v60, v24, s[4:5]
	v_cmp_eq_u32_e64 s[2:3], 5, v54
	v_cndmask_b32_e64 v57, v57, v29, s[2:3]
	v_cndmask_b32_e32 v60, v60, v26, vcc
	v_cmp_eq_u32_e32 vcc, 6, v54
	v_cndmask_b32_e32 v57, v57, v31, vcc
	v_cmp_eq_u32_e64 s[4:5], 7, v54
	v_cndmask_b32_e64 v60, v60, v28, s[2:3]
	v_cndmask_b32_e64 v61, v57, v33, s[4:5]
	v_cndmask_b32_e32 v57, v60, v30, vcc
	v_add_co_u32_e64 v54, s[2:3], 1, v54
	v_cndmask_b32_e64 v60, v57, v32, s[4:5]
	v_add_u32_e32 v56, 8, v56
	v_addc_co_u32_e64 v53, s[2:3], 0, v53, s[2:3]
	s_waitcnt lgkmcnt(0)
	v_fmac_f64_e32 v[50:51], v[60:61], v[58:59]
	s_andn2_b64 exec, exec, s[10:11]
	s_cbranch_execnz .LBB7_29
; %bb.30:
	s_or_b64 exec, exec, s[10:11]
.LBB7_31:
	s_or_b64 exec, exec, s[8:9]
.LBB7_32:
	s_or_b64 exec, exec, s[6:7]
	v_mov_b32_e32 v26, 0
	ds_read_b64 v[26:27], v26 offset:32
	s_waitcnt lgkmcnt(0)
	v_mul_f64 v[26:27], v[50:51], v[26:27]
.LBB7_33:
	s_or_b64 exec, exec, s[16:17]
	v_cmp_lt_u32_e64 s[2:3], 3, v0
	ds_write_b64 v55, v[24:25]
	s_waitcnt lgkmcnt(0)
	; wave barrier
	s_waitcnt lgkmcnt(0)
	s_and_saveexec_b64 s[16:17], s[2:3]
	s_cbranch_execz .LBB7_49
; %bb.34:
	s_andn2_b64 vcc, exec, s[18:19]
	s_cbranch_vccnz .LBB7_36
; %bb.35:
	v_cmp_eq_u32_e32 vcc, 1, v0
	v_cndmask_b32_e32 v50, v19, v21, vcc
	v_cmp_eq_u32_e64 s[4:5], 2, v0
	v_cndmask_b32_e64 v50, v50, v23, s[4:5]
	v_cmp_eq_u32_e64 s[6:7], 3, v0
	v_cndmask_b32_e64 v50, v50, v25, s[6:7]
	;; [unrolled: 2-line block ×6, first 2 shown]
	v_cndmask_b32_e32 v50, v18, v20, vcc
	v_cndmask_b32_e64 v50, v50, v22, s[4:5]
	v_cndmask_b32_e64 v50, v50, v24, s[6:7]
	ds_read_b64 v[52:53], v55
	v_cndmask_b32_e64 v50, v50, v26, s[8:9]
	v_cndmask_b32_e64 v50, v50, v28, s[10:11]
	;; [unrolled: 1-line block ×4, first 2 shown]
	s_waitcnt lgkmcnt(0)
	v_mul_f64 v[50:51], v[50:51], v[52:53]
	s_cbranch_execz .LBB7_37
	s_branch .LBB7_38
.LBB7_36:
                                        ; implicit-def: $vgpr50_vgpr51
.LBB7_37:
	ds_read_b64 v[50:51], v55
.LBB7_38:
	s_and_saveexec_b64 s[6:7], s[0:1]
	s_cbranch_execz .LBB7_48
; %bb.39:
	v_add_u32_e32 v52, -5, v0
	v_add_u32_e32 v53, -4, v0
	v_cmp_lt_u32_e32 vcc, 6, v52
	v_mov_b32_e32 v54, 4
	s_and_saveexec_b64 s[0:1], vcc
	s_cbranch_execz .LBB7_43
; %bb.40:
	v_and_b32_e32 v52, -8, v53
	v_sub_u32_e32 v52, 0, v52
	s_mov_b64 s[4:5], 5
	s_movk_i32 s10, 0x60
	s_mov_b64 s[8:9], 0
.LBB7_41:                               ; =>This Inner Loop Header: Depth=1
	s_lshl_b32 s11, s4, 1
	s_add_i32 s12, s11, -1
	s_add_i32 s13, s11, -2
	s_set_gpr_idx_on s12, gpr_idx(SRC0)
	v_mov_b32_e32 v73, v18
	s_set_gpr_idx_off
	v_mov_b32_e32 v54, s10
	s_set_gpr_idx_on s13, gpr_idx(SRC0)
	v_mov_b32_e32 v72, v18
	s_set_gpr_idx_off
	ds_read_b128 v[56:59], v54
	ds_read_b128 v[60:63], v54 offset:16
	ds_read_b128 v[64:67], v54 offset:32
	;; [unrolled: 1-line block ×3, first 2 shown]
	s_set_gpr_idx_on s11, gpr_idx(SRC0)
	v_mov_b32_e32 v75, v19
	s_add_i32 s14, s11, 3
	v_mov_b32_e32 v74, v18
	s_set_gpr_idx_off
	s_add_i32 s15, s11, 2
	s_set_gpr_idx_on s14, gpr_idx(SRC0)
	v_mov_b32_e32 v77, v18
	s_set_gpr_idx_off
	s_add_i32 s20, s11, 5
	s_set_gpr_idx_on s15, gpr_idx(SRC0)
	v_mov_b32_e32 v76, v18
	s_set_gpr_idx_off
	s_add_i32 s21, s11, 4
	s_waitcnt lgkmcnt(3)
	v_fmac_f64_e32 v[50:51], v[72:73], v[56:57]
	s_set_gpr_idx_on s20, gpr_idx(SRC0)
	v_mov_b32_e32 v57, v18
	s_set_gpr_idx_off
	s_add_i32 s22, s11, 7
	v_fmac_f64_e32 v[50:51], v[74:75], v[58:59]
	s_set_gpr_idx_on s21, gpr_idx(SRC0)
	v_mov_b32_e32 v56, v18
	s_set_gpr_idx_off
	s_add_i32 s23, s11, 6
	s_waitcnt lgkmcnt(2)
	v_fmac_f64_e32 v[50:51], v[76:77], v[60:61]
	s_set_gpr_idx_on s22, gpr_idx(SRC0)
	v_mov_b32_e32 v59, v18
	s_set_gpr_idx_off
	s_add_i32 s24, s11, 9
	v_fmac_f64_e32 v[50:51], v[56:57], v[62:63]
	s_set_gpr_idx_on s23, gpr_idx(SRC0)
	v_mov_b32_e32 v58, v18
	s_set_gpr_idx_off
	s_add_i32 s25, s11, 8
	s_waitcnt lgkmcnt(1)
	v_fmac_f64_e32 v[50:51], v[58:59], v[64:65]
	s_set_gpr_idx_on s24, gpr_idx(SRC0)
	v_mov_b32_e32 v57, v18
	s_set_gpr_idx_off
	s_add_i32 s26, s11, 11
	s_set_gpr_idx_on s25, gpr_idx(SRC0)
	v_mov_b32_e32 v56, v18
	s_set_gpr_idx_off
	s_add_i32 s27, s11, 10
	s_add_i32 s28, s11, 13
	;; [unrolled: 1-line block ×3, first 2 shown]
	v_fmac_f64_e32 v[50:51], v[56:57], v[66:67]
	s_set_gpr_idx_on s26, gpr_idx(SRC0)
	v_mov_b32_e32 v57, v18
	s_set_gpr_idx_off
	s_add_u32 s4, s4, 8
	s_set_gpr_idx_on s27, gpr_idx(SRC0)
	v_mov_b32_e32 v56, v18
	s_set_gpr_idx_off
	v_add_u32_e32 v54, s4, v52
	s_waitcnt lgkmcnt(0)
	v_fmac_f64_e32 v[50:51], v[56:57], v[68:69]
	s_set_gpr_idx_on s28, gpr_idx(SRC0)
	v_mov_b32_e32 v57, v18
	s_set_gpr_idx_off
	s_addc_u32 s5, s5, 0
	s_add_i32 s10, s10, 64
	s_add_i32 s12, s4, -1
	v_cmp_eq_u32_e32 vcc, 5, v54
	s_set_gpr_idx_on s29, gpr_idx(SRC0)
	v_mov_b32_e32 v56, v18
	s_set_gpr_idx_off
	v_mov_b32_e32 v54, s12
	s_or_b64 s[8:9], vcc, s[8:9]
	v_fmac_f64_e32 v[50:51], v[56:57], v[70:71]
	s_andn2_b64 exec, exec, s[8:9]
	s_cbranch_execnz .LBB7_41
; %bb.42:
	s_or_b64 exec, exec, s[8:9]
.LBB7_43:
	s_or_b64 exec, exec, s[0:1]
	v_and_b32_e32 v52, 7, v53
	v_cmp_ne_u32_e32 vcc, 0, v52
	s_and_saveexec_b64 s[8:9], vcc
	s_cbranch_execz .LBB7_47
; %bb.44:
	v_lshl_add_u32 v56, v54, 3, 64
	v_mov_b32_e32 v53, 0
	s_mov_b64 s[10:11], 0
.LBB7_45:                               ; =>This Inner Loop Header: Depth=1
	v_cmp_eq_u32_e32 vcc, 1, v54
	v_cndmask_b32_e32 v57, v19, v21, vcc
	v_add_u32_e32 v52, -1, v52
	v_cmp_eq_u32_e64 s[0:1], 2, v54
	v_cndmask_b32_e64 v57, v57, v23, s[0:1]
	v_cndmask_b32_e32 v60, v18, v20, vcc
	v_cmp_eq_u32_e32 vcc, 0, v52
	v_cmp_eq_u32_e64 s[4:5], 3, v54
	v_cndmask_b32_e64 v57, v57, v25, s[4:5]
	v_cndmask_b32_e64 v60, v60, v22, s[0:1]
	s_or_b64 s[10:11], vcc, s[10:11]
	v_cmp_eq_u32_e32 vcc, 4, v54
	ds_read_b64 v[58:59], v56
	v_cndmask_b32_e32 v57, v57, v27, vcc
	v_cndmask_b32_e64 v60, v60, v24, s[4:5]
	v_cmp_eq_u32_e64 s[0:1], 5, v54
	v_cndmask_b32_e64 v57, v57, v29, s[0:1]
	v_cndmask_b32_e32 v60, v60, v26, vcc
	v_cmp_eq_u32_e32 vcc, 6, v54
	v_cndmask_b32_e32 v57, v57, v31, vcc
	v_cmp_eq_u32_e64 s[4:5], 7, v54
	v_cndmask_b32_e64 v60, v60, v28, s[0:1]
	v_cndmask_b32_e64 v61, v57, v33, s[4:5]
	v_cndmask_b32_e32 v57, v60, v30, vcc
	v_add_co_u32_e64 v54, s[0:1], 1, v54
	v_cndmask_b32_e64 v60, v57, v32, s[4:5]
	v_add_u32_e32 v56, 8, v56
	v_addc_co_u32_e64 v53, s[0:1], 0, v53, s[0:1]
	s_waitcnt lgkmcnt(0)
	v_fmac_f64_e32 v[50:51], v[60:61], v[58:59]
	s_andn2_b64 exec, exec, s[10:11]
	s_cbranch_execnz .LBB7_45
; %bb.46:
	s_or_b64 exec, exec, s[10:11]
.LBB7_47:
	s_or_b64 exec, exec, s[8:9]
.LBB7_48:
	s_or_b64 exec, exec, s[6:7]
	v_mov_b32_e32 v24, 0
	ds_read_b64 v[24:25], v24 offset:24
	s_waitcnt lgkmcnt(0)
	v_mul_f64 v[24:25], v[50:51], v[24:25]
.LBB7_49:
	s_or_b64 exec, exec, s[16:17]
	v_cmp_lt_u32_e64 s[0:1], 2, v0
	ds_write_b64 v55, v[22:23]
	s_waitcnt lgkmcnt(0)
	; wave barrier
	s_waitcnt lgkmcnt(0)
	s_and_saveexec_b64 s[16:17], s[0:1]
	s_cbranch_execz .LBB7_65
; %bb.50:
	s_andn2_b64 vcc, exec, s[18:19]
	s_cbranch_vccnz .LBB7_52
; %bb.51:
	v_cmp_eq_u32_e32 vcc, 1, v0
	v_cndmask_b32_e32 v50, v19, v21, vcc
	v_cmp_eq_u32_e64 s[4:5], 2, v0
	v_cndmask_b32_e64 v50, v50, v23, s[4:5]
	v_cmp_eq_u32_e64 s[6:7], 3, v0
	v_cndmask_b32_e64 v50, v50, v25, s[6:7]
	;; [unrolled: 2-line block ×6, first 2 shown]
	v_cndmask_b32_e32 v50, v18, v20, vcc
	v_cndmask_b32_e64 v50, v50, v22, s[4:5]
	v_cndmask_b32_e64 v50, v50, v24, s[6:7]
	ds_read_b64 v[52:53], v55
	v_cndmask_b32_e64 v50, v50, v26, s[8:9]
	v_cndmask_b32_e64 v50, v50, v28, s[10:11]
	;; [unrolled: 1-line block ×4, first 2 shown]
	s_waitcnt lgkmcnt(0)
	v_mul_f64 v[50:51], v[50:51], v[52:53]
	s_cbranch_execz .LBB7_53
	s_branch .LBB7_54
.LBB7_52:
                                        ; implicit-def: $vgpr50_vgpr51
.LBB7_53:
	ds_read_b64 v[50:51], v55
.LBB7_54:
	s_and_saveexec_b64 s[6:7], s[2:3]
	s_cbranch_execz .LBB7_64
; %bb.55:
	v_add_u32_e32 v52, -4, v0
	v_add_u32_e32 v53, -3, v0
	v_cmp_lt_u32_e32 vcc, 6, v52
	v_mov_b32_e32 v54, 3
	s_and_saveexec_b64 s[2:3], vcc
	s_cbranch_execz .LBB7_59
; %bb.56:
	v_and_b32_e32 v52, -8, v53
	v_sub_u32_e32 v52, 0, v52
	s_mov_b64 s[4:5], 10
	s_movk_i32 s10, 0x58
	s_mov_b64 s[8:9], 0
.LBB7_57:                               ; =>This Inner Loop Header: Depth=1
	s_lshl_b32 s11, s4, 1
	s_add_i32 s12, s11, -13
	v_mov_b32_e32 v70, s10
	s_add_i32 s13, s11, -14
	s_set_gpr_idx_on s12, gpr_idx(SRC0)
	v_mov_b32_e32 v65, v18
	s_set_gpr_idx_off
	s_add_i32 s14, s11, -11
	s_set_gpr_idx_on s13, gpr_idx(SRC0)
	v_mov_b32_e32 v64, v18
	s_set_gpr_idx_off
	ds_read2_b64 v[56:59], v70 offset1:1
	s_add_i32 s15, s11, -12
	s_set_gpr_idx_on s14, gpr_idx(SRC0)
	v_mov_b32_e32 v67, v18
	s_set_gpr_idx_off
	s_add_i32 s20, s11, -9
	s_set_gpr_idx_on s15, gpr_idx(SRC0)
	v_mov_b32_e32 v66, v18
	s_set_gpr_idx_off
	;; [unrolled: 4-line block ×4, first 2 shown]
	ds_read2_b64 v[60:63], v70 offset0:2 offset1:3
	s_add_i32 s23, s11, -8
	s_waitcnt lgkmcnt(1)
	v_fmac_f64_e32 v[50:51], v[64:65], v[56:57]
	s_set_gpr_idx_on s22, gpr_idx(SRC0)
	v_mov_b32_e32 v65, v18
	s_set_gpr_idx_off
	s_add_i32 s24, s11, -5
	v_fmac_f64_e32 v[50:51], v[66:67], v[58:59]
	s_set_gpr_idx_on s23, gpr_idx(SRC0)
	v_mov_b32_e32 v64, v18
	s_set_gpr_idx_off
	s_add_i32 s25, s11, -6
	s_set_gpr_idx_on s24, gpr_idx(SRC0)
	v_mov_b32_e32 v67, v18
	s_set_gpr_idx_off
	s_add_i32 s26, s11, -3
	;; [unrolled: 4-line block ×3, first 2 shown]
	ds_read2_b64 v[56:59], v70 offset0:4 offset1:5
	s_waitcnt lgkmcnt(1)
	v_fmac_f64_e32 v[50:51], v[68:69], v[60:61]
	s_set_gpr_idx_on s26, gpr_idx(SRC0)
	v_mov_b32_e32 v69, v18
	s_set_gpr_idx_off
	s_add_i32 s28, s11, -1
	v_fmac_f64_e32 v[50:51], v[64:65], v[62:63]
	s_set_gpr_idx_on s27, gpr_idx(SRC0)
	v_mov_b32_e32 v68, v18
	s_set_gpr_idx_off
	s_add_i32 s29, s11, -2
	s_set_gpr_idx_on s28, gpr_idx(SRC0)
	v_mov_b32_e32 v65, v18
	s_set_gpr_idx_off
	s_set_gpr_idx_on s29, gpr_idx(SRC0)
	v_mov_b32_e32 v64, v18
	s_set_gpr_idx_off
	ds_read2_b64 v[60:63], v70 offset0:6 offset1:7
	s_add_u32 s4, s4, 8
	s_waitcnt lgkmcnt(1)
	v_fmac_f64_e32 v[50:51], v[66:67], v[56:57]
	s_set_gpr_idx_on s11, gpr_idx(SRC0)
	v_mov_b32_e32 v57, v19
	s_set_gpr_idx_off
	v_add_u32_e32 v54, s4, v52
	v_fmac_f64_e32 v[50:51], v[68:69], v[58:59]
	s_set_gpr_idx_on s11, gpr_idx(SRC0)
	v_mov_b32_e32 v56, v18
	s_set_gpr_idx_off
	s_addc_u32 s5, s5, 0
	s_add_i32 s10, s10, 64
	s_add_i32 s12, s4, -7
	v_cmp_eq_u32_e32 vcc, 10, v54
	s_waitcnt lgkmcnt(0)
	v_fmac_f64_e32 v[50:51], v[64:65], v[60:61]
	v_mov_b32_e32 v54, s12
	s_or_b64 s[8:9], vcc, s[8:9]
	v_fmac_f64_e32 v[50:51], v[56:57], v[62:63]
	s_andn2_b64 exec, exec, s[8:9]
	s_cbranch_execnz .LBB7_57
; %bb.58:
	s_or_b64 exec, exec, s[8:9]
.LBB7_59:
	s_or_b64 exec, exec, s[2:3]
	v_and_b32_e32 v52, 7, v53
	v_cmp_ne_u32_e32 vcc, 0, v52
	s_and_saveexec_b64 s[8:9], vcc
	s_cbranch_execz .LBB7_63
; %bb.60:
	v_lshl_add_u32 v56, v54, 3, 64
	v_mov_b32_e32 v53, 0
	s_mov_b64 s[10:11], 0
.LBB7_61:                               ; =>This Inner Loop Header: Depth=1
	v_cmp_eq_u32_e32 vcc, 1, v54
	v_cndmask_b32_e32 v57, v19, v21, vcc
	v_add_u32_e32 v52, -1, v52
	v_cmp_eq_u32_e64 s[2:3], 2, v54
	v_cndmask_b32_e64 v57, v57, v23, s[2:3]
	v_cndmask_b32_e32 v60, v18, v20, vcc
	v_cmp_eq_u32_e32 vcc, 0, v52
	v_cmp_eq_u32_e64 s[4:5], 3, v54
	v_cndmask_b32_e64 v57, v57, v25, s[4:5]
	v_cndmask_b32_e64 v60, v60, v22, s[2:3]
	s_or_b64 s[10:11], vcc, s[10:11]
	v_cmp_eq_u32_e32 vcc, 4, v54
	ds_read_b64 v[58:59], v56
	v_cndmask_b32_e32 v57, v57, v27, vcc
	v_cndmask_b32_e64 v60, v60, v24, s[4:5]
	v_cmp_eq_u32_e64 s[2:3], 5, v54
	v_cndmask_b32_e64 v57, v57, v29, s[2:3]
	v_cndmask_b32_e32 v60, v60, v26, vcc
	v_cmp_eq_u32_e32 vcc, 6, v54
	v_cndmask_b32_e32 v57, v57, v31, vcc
	v_cmp_eq_u32_e64 s[4:5], 7, v54
	v_cndmask_b32_e64 v60, v60, v28, s[2:3]
	v_cndmask_b32_e64 v61, v57, v33, s[4:5]
	v_cndmask_b32_e32 v57, v60, v30, vcc
	v_add_co_u32_e64 v54, s[2:3], 1, v54
	v_cndmask_b32_e64 v60, v57, v32, s[4:5]
	v_add_u32_e32 v56, 8, v56
	v_addc_co_u32_e64 v53, s[2:3], 0, v53, s[2:3]
	s_waitcnt lgkmcnt(0)
	v_fmac_f64_e32 v[50:51], v[60:61], v[58:59]
	s_andn2_b64 exec, exec, s[10:11]
	s_cbranch_execnz .LBB7_61
; %bb.62:
	s_or_b64 exec, exec, s[10:11]
.LBB7_63:
	s_or_b64 exec, exec, s[8:9]
.LBB7_64:
	s_or_b64 exec, exec, s[6:7]
	v_mov_b32_e32 v22, 0
	ds_read_b64 v[22:23], v22 offset:16
	s_waitcnt lgkmcnt(0)
	v_mul_f64 v[22:23], v[50:51], v[22:23]
.LBB7_65:
	s_or_b64 exec, exec, s[16:17]
	v_cmp_lt_u32_e64 s[2:3], 1, v0
	ds_write_b64 v55, v[20:21]
	s_waitcnt lgkmcnt(0)
	; wave barrier
	s_waitcnt lgkmcnt(0)
	s_and_saveexec_b64 s[16:17], s[2:3]
	s_cbranch_execz .LBB7_81
; %bb.66:
	s_andn2_b64 vcc, exec, s[18:19]
	s_cbranch_vccnz .LBB7_68
; %bb.67:
	v_cmp_eq_u32_e32 vcc, 1, v0
	v_cndmask_b32_e32 v50, v19, v21, vcc
	v_cmp_eq_u32_e64 s[4:5], 2, v0
	v_cndmask_b32_e64 v50, v50, v23, s[4:5]
	v_cmp_eq_u32_e64 s[6:7], 3, v0
	v_cndmask_b32_e64 v50, v50, v25, s[6:7]
	;; [unrolled: 2-line block ×6, first 2 shown]
	v_cndmask_b32_e32 v50, v18, v20, vcc
	v_cndmask_b32_e64 v50, v50, v22, s[4:5]
	v_cndmask_b32_e64 v50, v50, v24, s[6:7]
	ds_read_b64 v[52:53], v55
	v_cndmask_b32_e64 v50, v50, v26, s[8:9]
	v_cndmask_b32_e64 v50, v50, v28, s[10:11]
	v_cndmask_b32_e64 v50, v50, v30, s[12:13]
	v_cndmask_b32_e64 v50, v50, v32, s[14:15]
	s_waitcnt lgkmcnt(0)
	v_mul_f64 v[50:51], v[50:51], v[52:53]
	s_cbranch_execz .LBB7_69
	s_branch .LBB7_70
.LBB7_68:
                                        ; implicit-def: $vgpr50_vgpr51
.LBB7_69:
	ds_read_b64 v[50:51], v55
.LBB7_70:
	s_and_saveexec_b64 s[6:7], s[0:1]
	s_cbranch_execz .LBB7_80
; %bb.71:
	v_add_u32_e32 v52, -3, v0
	v_add_u32_e32 v53, -2, v0
	v_cmp_lt_u32_e32 vcc, 6, v52
	v_mov_b32_e32 v54, 2
	s_and_saveexec_b64 s[0:1], vcc
	s_cbranch_execz .LBB7_75
; %bb.72:
	v_and_b32_e32 v52, -8, v53
	v_sub_u32_e32 v52, 0, v52
	s_mov_b64 s[4:5], 9
	s_movk_i32 s10, 0x50
	s_mov_b64 s[8:9], 0
.LBB7_73:                               ; =>This Inner Loop Header: Depth=1
	s_lshl_b32 s11, s4, 1
	s_add_i32 s12, s11, -13
	s_add_i32 s13, s11, -14
	s_set_gpr_idx_on s12, gpr_idx(SRC0)
	v_mov_b32_e32 v73, v18
	s_set_gpr_idx_off
	v_mov_b32_e32 v54, s10
	s_add_i32 s14, s11, -11
	s_set_gpr_idx_on s13, gpr_idx(SRC0)
	v_mov_b32_e32 v72, v18
	s_set_gpr_idx_off
	s_add_i32 s15, s11, -12
	ds_read_b128 v[56:59], v54
	ds_read_b128 v[60:63], v54 offset:16
	ds_read_b128 v[64:67], v54 offset:32
	;; [unrolled: 1-line block ×3, first 2 shown]
	s_set_gpr_idx_on s14, gpr_idx(SRC0)
	v_mov_b32_e32 v75, v18
	s_set_gpr_idx_off
	s_add_i32 s20, s11, -9
	s_set_gpr_idx_on s15, gpr_idx(SRC0)
	v_mov_b32_e32 v74, v18
	s_set_gpr_idx_off
	s_add_i32 s21, s11, -10
	;; [unrolled: 4-line block ×4, first 2 shown]
	s_waitcnt lgkmcnt(3)
	v_fmac_f64_e32 v[50:51], v[72:73], v[56:57]
	s_set_gpr_idx_on s22, gpr_idx(SRC0)
	v_mov_b32_e32 v57, v18
	s_set_gpr_idx_off
	s_add_i32 s24, s11, -5
	v_fmac_f64_e32 v[50:51], v[74:75], v[58:59]
	s_set_gpr_idx_on s23, gpr_idx(SRC0)
	v_mov_b32_e32 v56, v18
	s_set_gpr_idx_off
	s_add_i32 s25, s11, -6
	s_waitcnt lgkmcnt(2)
	v_fmac_f64_e32 v[50:51], v[76:77], v[60:61]
	s_set_gpr_idx_on s24, gpr_idx(SRC0)
	v_mov_b32_e32 v59, v18
	s_set_gpr_idx_off
	s_add_i32 s26, s11, -3
	v_fmac_f64_e32 v[50:51], v[56:57], v[62:63]
	s_set_gpr_idx_on s25, gpr_idx(SRC0)
	v_mov_b32_e32 v58, v18
	s_set_gpr_idx_off
	s_add_i32 s27, s11, -4
	s_waitcnt lgkmcnt(1)
	v_fmac_f64_e32 v[50:51], v[58:59], v[64:65]
	s_set_gpr_idx_on s26, gpr_idx(SRC0)
	v_mov_b32_e32 v57, v18
	s_set_gpr_idx_off
	s_add_i32 s28, s11, -1
	s_set_gpr_idx_on s27, gpr_idx(SRC0)
	v_mov_b32_e32 v56, v18
	s_set_gpr_idx_off
	s_add_i32 s29, s11, -2
	v_fmac_f64_e32 v[50:51], v[56:57], v[66:67]
	s_set_gpr_idx_on s28, gpr_idx(SRC0)
	v_mov_b32_e32 v57, v18
	s_set_gpr_idx_off
	s_add_u32 s4, s4, 8
	s_set_gpr_idx_on s29, gpr_idx(SRC0)
	v_mov_b32_e32 v56, v18
	s_set_gpr_idx_off
	v_add_u32_e32 v54, s4, v52
	s_waitcnt lgkmcnt(0)
	v_fmac_f64_e32 v[50:51], v[56:57], v[68:69]
	s_set_gpr_idx_on s11, gpr_idx(SRC0)
	v_mov_b32_e32 v57, v19
	s_set_gpr_idx_off
	s_addc_u32 s5, s5, 0
	s_add_i32 s10, s10, 64
	s_add_i32 s12, s4, -7
	v_cmp_eq_u32_e32 vcc, 9, v54
	s_set_gpr_idx_on s11, gpr_idx(SRC0)
	v_mov_b32_e32 v56, v18
	s_set_gpr_idx_off
	v_mov_b32_e32 v54, s12
	s_or_b64 s[8:9], vcc, s[8:9]
	v_fmac_f64_e32 v[50:51], v[56:57], v[70:71]
	s_andn2_b64 exec, exec, s[8:9]
	s_cbranch_execnz .LBB7_73
; %bb.74:
	s_or_b64 exec, exec, s[8:9]
.LBB7_75:
	s_or_b64 exec, exec, s[0:1]
	v_and_b32_e32 v52, 7, v53
	v_cmp_ne_u32_e32 vcc, 0, v52
	s_and_saveexec_b64 s[8:9], vcc
	s_cbranch_execz .LBB7_79
; %bb.76:
	v_lshl_add_u32 v56, v54, 3, 64
	v_mov_b32_e32 v53, 0
	s_mov_b64 s[10:11], 0
.LBB7_77:                               ; =>This Inner Loop Header: Depth=1
	v_cmp_eq_u32_e32 vcc, 1, v54
	v_cndmask_b32_e32 v57, v19, v21, vcc
	v_add_u32_e32 v52, -1, v52
	v_cmp_eq_u32_e64 s[0:1], 2, v54
	v_cndmask_b32_e64 v57, v57, v23, s[0:1]
	v_cndmask_b32_e32 v60, v18, v20, vcc
	v_cmp_eq_u32_e32 vcc, 0, v52
	v_cmp_eq_u32_e64 s[4:5], 3, v54
	v_cndmask_b32_e64 v57, v57, v25, s[4:5]
	v_cndmask_b32_e64 v60, v60, v22, s[0:1]
	s_or_b64 s[10:11], vcc, s[10:11]
	v_cmp_eq_u32_e32 vcc, 4, v54
	ds_read_b64 v[58:59], v56
	v_cndmask_b32_e32 v57, v57, v27, vcc
	v_cndmask_b32_e64 v60, v60, v24, s[4:5]
	v_cmp_eq_u32_e64 s[0:1], 5, v54
	v_cndmask_b32_e64 v57, v57, v29, s[0:1]
	v_cndmask_b32_e32 v60, v60, v26, vcc
	v_cmp_eq_u32_e32 vcc, 6, v54
	v_cndmask_b32_e32 v57, v57, v31, vcc
	v_cmp_eq_u32_e64 s[4:5], 7, v54
	v_cndmask_b32_e64 v60, v60, v28, s[0:1]
	v_cndmask_b32_e64 v61, v57, v33, s[4:5]
	v_cndmask_b32_e32 v57, v60, v30, vcc
	v_add_co_u32_e64 v54, s[0:1], 1, v54
	v_cndmask_b32_e64 v60, v57, v32, s[4:5]
	v_add_u32_e32 v56, 8, v56
	v_addc_co_u32_e64 v53, s[0:1], 0, v53, s[0:1]
	s_waitcnt lgkmcnt(0)
	v_fmac_f64_e32 v[50:51], v[60:61], v[58:59]
	s_andn2_b64 exec, exec, s[10:11]
	s_cbranch_execnz .LBB7_77
; %bb.78:
	s_or_b64 exec, exec, s[10:11]
.LBB7_79:
	s_or_b64 exec, exec, s[8:9]
.LBB7_80:
	s_or_b64 exec, exec, s[6:7]
	v_mov_b32_e32 v20, 0
	ds_read_b64 v[20:21], v20 offset:8
	s_waitcnt lgkmcnt(0)
	v_mul_f64 v[20:21], v[50:51], v[20:21]
.LBB7_81:
	s_or_b64 exec, exec, s[16:17]
	v_cmp_ne_u32_e32 vcc, 0, v0
	ds_write_b64 v55, v[18:19]
	s_waitcnt lgkmcnt(0)
	; wave barrier
	s_waitcnt lgkmcnt(0)
	s_and_saveexec_b64 s[14:15], vcc
	s_cbranch_execz .LBB7_97
; %bb.82:
	s_andn2_b64 vcc, exec, s[18:19]
	s_cbranch_vccnz .LBB7_84
; %bb.83:
	v_cmp_eq_u32_e32 vcc, 1, v0
	v_cndmask_b32_e32 v50, v19, v21, vcc
	v_cmp_eq_u32_e64 s[0:1], 2, v0
	v_cndmask_b32_e64 v50, v50, v23, s[0:1]
	v_cmp_eq_u32_e64 s[4:5], 3, v0
	v_cndmask_b32_e64 v50, v50, v25, s[4:5]
	;; [unrolled: 2-line block ×6, first 2 shown]
	v_cndmask_b32_e32 v50, v18, v20, vcc
	v_cndmask_b32_e64 v50, v50, v22, s[0:1]
	v_cndmask_b32_e64 v50, v50, v24, s[4:5]
	ds_read_b64 v[52:53], v55
	v_cndmask_b32_e64 v50, v50, v26, s[6:7]
	v_cndmask_b32_e64 v50, v50, v28, s[8:9]
	v_cndmask_b32_e64 v50, v50, v30, s[10:11]
	v_cndmask_b32_e64 v50, v50, v32, s[12:13]
	s_waitcnt lgkmcnt(0)
	v_mul_f64 v[50:51], v[50:51], v[52:53]
	s_cbranch_execz .LBB7_85
	s_branch .LBB7_86
.LBB7_84:
                                        ; implicit-def: $vgpr50_vgpr51
.LBB7_85:
	ds_read_b64 v[50:51], v55
.LBB7_86:
	s_and_saveexec_b64 s[4:5], s[2:3]
	s_cbranch_execz .LBB7_96
; %bb.87:
	v_add_u32_e32 v52, -2, v0
	v_add_u32_e32 v53, -1, v0
	v_cmp_lt_u32_e32 vcc, 6, v52
	v_mov_b32_e32 v54, 1
	s_and_saveexec_b64 s[0:1], vcc
	s_cbranch_execz .LBB7_91
; %bb.88:
	v_and_b32_e32 v52, -8, v53
	v_sub_u32_e32 v52, 0, v52
	s_mov_b64 s[2:3], 8
	s_movk_i32 s8, 0x48
	s_mov_b64 s[6:7], 0
.LBB7_89:                               ; =>This Inner Loop Header: Depth=1
	s_lshl_b32 s9, s2, 1
	s_add_i32 s10, s9, -13
	v_mov_b32_e32 v70, s8
	s_add_i32 s11, s9, -14
	s_set_gpr_idx_on s10, gpr_idx(SRC0)
	v_mov_b32_e32 v65, v18
	s_set_gpr_idx_off
	s_add_i32 s12, s9, -11
	s_set_gpr_idx_on s11, gpr_idx(SRC0)
	v_mov_b32_e32 v64, v18
	s_set_gpr_idx_off
	ds_read2_b64 v[56:59], v70 offset1:1
	s_add_i32 s13, s9, -12
	s_set_gpr_idx_on s12, gpr_idx(SRC0)
	v_mov_b32_e32 v67, v18
	s_set_gpr_idx_off
	s_add_i32 s16, s9, -9
	s_set_gpr_idx_on s13, gpr_idx(SRC0)
	v_mov_b32_e32 v66, v18
	s_set_gpr_idx_off
	;; [unrolled: 4-line block ×4, first 2 shown]
	ds_read2_b64 v[60:63], v70 offset0:2 offset1:3
	s_add_i32 s21, s9, -8
	s_waitcnt lgkmcnt(1)
	v_fmac_f64_e32 v[50:51], v[64:65], v[56:57]
	s_set_gpr_idx_on s20, gpr_idx(SRC0)
	v_mov_b32_e32 v65, v18
	s_set_gpr_idx_off
	s_add_i32 s22, s9, -5
	v_fmac_f64_e32 v[50:51], v[66:67], v[58:59]
	s_set_gpr_idx_on s21, gpr_idx(SRC0)
	v_mov_b32_e32 v64, v18
	s_set_gpr_idx_off
	s_add_i32 s23, s9, -6
	s_set_gpr_idx_on s22, gpr_idx(SRC0)
	v_mov_b32_e32 v67, v18
	s_set_gpr_idx_off
	s_add_i32 s24, s9, -3
	;; [unrolled: 4-line block ×3, first 2 shown]
	ds_read2_b64 v[56:59], v70 offset0:4 offset1:5
	s_waitcnt lgkmcnt(1)
	v_fmac_f64_e32 v[50:51], v[68:69], v[60:61]
	s_set_gpr_idx_on s24, gpr_idx(SRC0)
	v_mov_b32_e32 v69, v18
	s_set_gpr_idx_off
	s_add_i32 s26, s9, -1
	v_fmac_f64_e32 v[50:51], v[64:65], v[62:63]
	s_set_gpr_idx_on s25, gpr_idx(SRC0)
	v_mov_b32_e32 v68, v18
	s_set_gpr_idx_off
	s_add_i32 s27, s9, -2
	s_set_gpr_idx_on s26, gpr_idx(SRC0)
	v_mov_b32_e32 v65, v18
	s_set_gpr_idx_off
	s_set_gpr_idx_on s27, gpr_idx(SRC0)
	v_mov_b32_e32 v64, v18
	s_set_gpr_idx_off
	ds_read2_b64 v[60:63], v70 offset0:6 offset1:7
	s_add_u32 s2, s2, 8
	s_waitcnt lgkmcnt(1)
	v_fmac_f64_e32 v[50:51], v[66:67], v[56:57]
	s_set_gpr_idx_on s9, gpr_idx(SRC0)
	v_mov_b32_e32 v57, v19
	s_set_gpr_idx_off
	v_add_u32_e32 v54, s2, v52
	v_fmac_f64_e32 v[50:51], v[68:69], v[58:59]
	s_set_gpr_idx_on s9, gpr_idx(SRC0)
	v_mov_b32_e32 v56, v18
	s_set_gpr_idx_off
	s_addc_u32 s3, s3, 0
	s_add_i32 s8, s8, 64
	s_add_i32 s10, s2, -7
	v_cmp_eq_u32_e32 vcc, 8, v54
	s_waitcnt lgkmcnt(0)
	v_fmac_f64_e32 v[50:51], v[64:65], v[60:61]
	v_mov_b32_e32 v54, s10
	s_or_b64 s[6:7], vcc, s[6:7]
	v_fmac_f64_e32 v[50:51], v[56:57], v[62:63]
	s_andn2_b64 exec, exec, s[6:7]
	s_cbranch_execnz .LBB7_89
; %bb.90:
	s_or_b64 exec, exec, s[6:7]
.LBB7_91:
	s_or_b64 exec, exec, s[0:1]
	v_and_b32_e32 v52, 7, v53
	v_cmp_ne_u32_e32 vcc, 0, v52
	s_and_saveexec_b64 s[6:7], vcc
	s_cbranch_execz .LBB7_95
; %bb.92:
	v_lshl_add_u32 v56, v54, 3, 64
	v_mov_b32_e32 v53, 0
	s_mov_b64 s[8:9], 0
.LBB7_93:                               ; =>This Inner Loop Header: Depth=1
	v_cmp_eq_u32_e32 vcc, 1, v54
	v_cndmask_b32_e32 v57, v19, v21, vcc
	v_add_u32_e32 v52, -1, v52
	v_cmp_eq_u32_e64 s[0:1], 2, v54
	v_cndmask_b32_e64 v57, v57, v23, s[0:1]
	v_cndmask_b32_e32 v60, v18, v20, vcc
	v_cmp_eq_u32_e32 vcc, 0, v52
	v_cmp_eq_u32_e64 s[2:3], 3, v54
	v_cndmask_b32_e64 v57, v57, v25, s[2:3]
	v_cndmask_b32_e64 v60, v60, v22, s[0:1]
	s_or_b64 s[8:9], vcc, s[8:9]
	v_cmp_eq_u32_e32 vcc, 4, v54
	ds_read_b64 v[58:59], v56
	v_cndmask_b32_e32 v57, v57, v27, vcc
	v_cndmask_b32_e64 v60, v60, v24, s[2:3]
	v_cmp_eq_u32_e64 s[0:1], 5, v54
	v_cndmask_b32_e64 v57, v57, v29, s[0:1]
	v_cndmask_b32_e32 v60, v60, v26, vcc
	v_cmp_eq_u32_e32 vcc, 6, v54
	v_cndmask_b32_e32 v57, v57, v31, vcc
	v_cmp_eq_u32_e64 s[2:3], 7, v54
	v_cndmask_b32_e64 v60, v60, v28, s[0:1]
	v_cndmask_b32_e64 v61, v57, v33, s[2:3]
	v_cndmask_b32_e32 v57, v60, v30, vcc
	v_add_co_u32_e64 v54, s[0:1], 1, v54
	v_cndmask_b32_e64 v60, v57, v32, s[2:3]
	v_add_u32_e32 v56, 8, v56
	v_addc_co_u32_e64 v53, s[0:1], 0, v53, s[0:1]
	s_waitcnt lgkmcnt(0)
	v_fmac_f64_e32 v[50:51], v[60:61], v[58:59]
	s_andn2_b64 exec, exec, s[8:9]
	s_cbranch_execnz .LBB7_93
; %bb.94:
	s_or_b64 exec, exec, s[8:9]
.LBB7_95:
	s_or_b64 exec, exec, s[6:7]
.LBB7_96:
	s_or_b64 exec, exec, s[4:5]
	v_mov_b32_e32 v18, 0
	ds_read_b64 v[18:19], v18
	s_waitcnt lgkmcnt(0)
	v_mul_f64 v[18:19], v[50:51], v[18:19]
.LBB7_97:
	s_or_b64 exec, exec, s[14:15]
	s_branch .LBB7_161
.LBB7_98:
	v_cmp_eq_u32_e64 s[2:3], 0, v0
	s_waitcnt vmcnt(7)
	ds_write_b64 v55, v[4:5]
	s_waitcnt lgkmcnt(0)
	; wave barrier
	s_waitcnt lgkmcnt(0)
	s_and_saveexec_b64 s[14:15], s[2:3]
	s_cbranch_execz .LBB7_104
; %bb.99:
	s_and_b64 vcc, exec, s[18:19]
	s_cbranch_vccz .LBB7_101
; %bb.100:
	v_cmp_eq_u32_e32 vcc, 1, v0
	s_waitcnt vmcnt(1)
	v_cndmask_b32_e32 v5, v3, v5, vcc
	v_cmp_eq_u32_e64 s[0:1], 2, v0
	v_cndmask_b32_e32 v4, v2, v4, vcc
	v_cndmask_b32_e64 v5, v5, v7, s[0:1]
	v_cmp_eq_u32_e64 s[4:5], 3, v0
	v_cndmask_b32_e64 v4, v4, v6, s[0:1]
	v_cndmask_b32_e64 v5, v5, v9, s[4:5]
	v_cmp_eq_u32_e64 s[6:7], 4, v0
	v_cndmask_b32_e64 v4, v4, v8, s[4:5]
	ds_read_b64 v[18:19], v55
	v_cndmask_b32_e64 v5, v5, v11, s[6:7]
	v_cmp_eq_u32_e64 s[8:9], 5, v0
	v_cndmask_b32_e64 v4, v4, v10, s[6:7]
	v_cndmask_b32_e64 v5, v5, v13, s[8:9]
	v_cmp_eq_u32_e64 s[10:11], 6, v0
	v_cndmask_b32_e64 v4, v4, v12, s[8:9]
	;; [unrolled: 3-line block ×3, first 2 shown]
	s_waitcnt vmcnt(0)
	v_cndmask_b32_e64 v5, v5, v17, s[12:13]
	v_cndmask_b32_e64 v4, v4, v16, s[12:13]
	s_waitcnt lgkmcnt(0)
	v_mul_f64 v[4:5], v[4:5], v[18:19]
	s_cbranch_execz .LBB7_102
	s_branch .LBB7_103
.LBB7_101:
                                        ; implicit-def: $vgpr4_vgpr5
.LBB7_102:
	ds_read_b64 v[4:5], v55
.LBB7_103:
	v_mov_b32_e32 v18, 0
	ds_read_b64 v[18:19], v18 offset:8
	s_waitcnt lgkmcnt(0)
	v_mul_f64 v[4:5], v[4:5], v[18:19]
.LBB7_104:
	s_or_b64 exec, exec, s[14:15]
	v_cndmask_b32_e64 v18, 0, 1, s[18:19]
	v_add_u32_e32 v20, 1, v0
	v_cmp_gt_u32_e32 vcc, 2, v0
	v_cmp_ne_u32_e64 s[0:1], 1, v18
	s_waitcnt vmcnt(6)
	ds_write_b64 v55, v[6:7]
	s_waitcnt lgkmcnt(0)
	; wave barrier
	s_waitcnt lgkmcnt(0)
	s_and_saveexec_b64 s[16:17], vcc
	s_cbranch_execz .LBB7_112
; %bb.105:
	s_and_b64 vcc, exec, s[0:1]
	s_cbranch_vccnz .LBB7_107
; %bb.106:
	v_cmp_eq_u32_e32 vcc, 1, v0
	s_waitcnt vmcnt(1)
	v_cndmask_b32_e32 v18, v3, v5, vcc
	v_cmp_eq_u32_e64 s[4:5], 2, v0
	v_cndmask_b32_e64 v18, v18, v7, s[4:5]
	v_cmp_eq_u32_e64 s[6:7], 3, v0
	v_cndmask_b32_e64 v18, v18, v9, s[6:7]
	;; [unrolled: 2-line block ×5, first 2 shown]
	v_cmp_eq_u32_e64 s[14:15], 7, v0
	s_waitcnt vmcnt(0)
	v_cndmask_b32_e64 v19, v18, v17, s[14:15]
	v_cndmask_b32_e32 v18, v2, v4, vcc
	v_cndmask_b32_e64 v18, v18, v6, s[4:5]
	v_cndmask_b32_e64 v18, v18, v8, s[6:7]
	ds_read_b64 v[22:23], v55
	v_cndmask_b32_e64 v18, v18, v10, s[8:9]
	v_cndmask_b32_e64 v18, v18, v12, s[10:11]
	;; [unrolled: 1-line block ×4, first 2 shown]
	s_waitcnt lgkmcnt(0)
	v_mul_f64 v[18:19], v[18:19], v[22:23]
	s_cbranch_execz .LBB7_108
	s_branch .LBB7_109
.LBB7_107:
                                        ; implicit-def: $vgpr18_vgpr19
.LBB7_108:
	ds_read_b64 v[18:19], v55
.LBB7_109:
	s_and_saveexec_b64 s[18:19], s[2:3]
	s_cbranch_execz .LBB7_111
; %bb.110:
	v_cmp_eq_u32_e32 vcc, 1, v20
	s_waitcnt vmcnt(1)
	v_cndmask_b32_e32 v21, v3, v5, vcc
	v_cmp_eq_u32_e64 s[4:5], 2, v20
	v_cndmask_b32_e64 v7, v21, v7, s[4:5]
	v_cndmask_b32_e32 v21, v2, v4, vcc
	v_cmp_eq_u32_e64 s[6:7], 3, v20
	v_cndmask_b32_e64 v6, v21, v6, s[4:5]
	v_cndmask_b32_e64 v7, v7, v9, s[6:7]
	v_cmp_eq_u32_e64 s[8:9], 4, v20
	v_cndmask_b32_e64 v6, v6, v8, s[6:7]
	ds_read_b64 v[22:23], v55 offset:8
	v_cndmask_b32_e64 v7, v7, v11, s[8:9]
	v_cmp_eq_u32_e64 s[10:11], 5, v20
	v_cndmask_b32_e64 v6, v6, v10, s[8:9]
	v_cndmask_b32_e64 v7, v7, v13, s[10:11]
	v_cmp_eq_u32_e64 s[12:13], 6, v20
	v_cndmask_b32_e64 v6, v6, v12, s[10:11]
	;; [unrolled: 3-line block ×3, first 2 shown]
	s_waitcnt vmcnt(0)
	v_cndmask_b32_e64 v7, v7, v17, s[14:15]
	v_cndmask_b32_e64 v6, v6, v16, s[14:15]
	s_waitcnt lgkmcnt(0)
	v_fmac_f64_e32 v[18:19], v[6:7], v[22:23]
.LBB7_111:
	s_or_b64 exec, exec, s[18:19]
	v_mov_b32_e32 v6, 0
	ds_read_b64 v[6:7], v6 offset:16
	s_waitcnt lgkmcnt(0)
	v_mul_f64 v[6:7], v[18:19], v[6:7]
.LBB7_112:
	s_or_b64 exec, exec, s[16:17]
	v_cmp_gt_u32_e32 vcc, 3, v0
	s_waitcnt vmcnt(5)
	ds_write_b64 v55, v[8:9]
	s_waitcnt lgkmcnt(0)
	; wave barrier
	s_waitcnt lgkmcnt(0)
	s_and_saveexec_b64 s[16:17], vcc
	s_cbranch_execz .LBB7_120
; %bb.113:
	s_and_b64 vcc, exec, s[0:1]
	s_cbranch_vccnz .LBB7_115
; %bb.114:
	v_cmp_eq_u32_e32 vcc, 1, v0
	s_waitcnt vmcnt(1)
	v_cndmask_b32_e32 v18, v3, v5, vcc
	v_cmp_eq_u32_e64 s[4:5], 2, v0
	v_cndmask_b32_e64 v18, v18, v7, s[4:5]
	v_cmp_eq_u32_e64 s[6:7], 3, v0
	v_cndmask_b32_e64 v18, v18, v9, s[6:7]
	;; [unrolled: 2-line block ×5, first 2 shown]
	v_cmp_eq_u32_e64 s[14:15], 7, v0
	s_waitcnt vmcnt(0)
	v_cndmask_b32_e64 v19, v18, v17, s[14:15]
	v_cndmask_b32_e32 v18, v2, v4, vcc
	v_cndmask_b32_e64 v18, v18, v6, s[4:5]
	v_cndmask_b32_e64 v18, v18, v8, s[6:7]
	ds_read_b64 v[22:23], v55
	v_cndmask_b32_e64 v18, v18, v10, s[8:9]
	v_cndmask_b32_e64 v18, v18, v12, s[10:11]
	;; [unrolled: 1-line block ×4, first 2 shown]
	s_waitcnt lgkmcnt(0)
	v_mul_f64 v[18:19], v[18:19], v[22:23]
	s_cbranch_execz .LBB7_116
	s_branch .LBB7_117
.LBB7_115:
                                        ; implicit-def: $vgpr18_vgpr19
.LBB7_116:
	ds_read_b64 v[18:19], v55
.LBB7_117:
	v_cmp_ne_u32_e32 vcc, 2, v0
	s_and_saveexec_b64 s[18:19], vcc
	s_cbranch_execz .LBB7_119
; %bb.118:
	v_cmp_eq_u32_e32 vcc, 1, v20
	s_waitcnt vmcnt(1)
	v_cndmask_b32_e32 v21, v3, v5, vcc
	v_cmp_eq_u32_e64 s[4:5], 2, v20
	v_cmp_eq_u32_e64 s[6:7], 3, v20
	;; [unrolled: 1-line block ×6, first 2 shown]
	v_cndmask_b32_e32 v20, v2, v4, vcc
	v_cndmask_b32_e64 v21, v21, v7, s[4:5]
	v_cndmask_b32_e64 v20, v20, v6, s[4:5]
	v_cndmask_b32_e64 v9, v21, v9, s[6:7]
	v_cndmask_b32_e64 v8, v20, v8, s[6:7]
	v_mov_b32_e32 v22, 0
	v_cndmask_b32_e64 v9, v9, v11, s[8:9]
	v_cndmask_b32_e64 v8, v8, v10, s[8:9]
	ds_read_b64 v[20:21], v55 offset:8
	ds_read_b64 v[22:23], v22 offset:80
	v_cndmask_b32_e64 v9, v9, v13, s[10:11]
	v_cndmask_b32_e64 v8, v8, v12, s[10:11]
	;; [unrolled: 1-line block ×4, first 2 shown]
	s_waitcnt vmcnt(0)
	v_cndmask_b32_e64 v9, v9, v17, s[14:15]
	v_cndmask_b32_e64 v8, v8, v16, s[14:15]
	s_waitcnt lgkmcnt(1)
	v_fmac_f64_e32 v[18:19], v[8:9], v[20:21]
	s_waitcnt lgkmcnt(0)
	v_fma_f64 v[8:9], v[6:7], v[22:23], v[18:19]
	v_cndmask_b32_e64 v19, v19, v9, s[2:3]
	v_cndmask_b32_e64 v18, v18, v8, s[2:3]
.LBB7_119:
	s_or_b64 exec, exec, s[18:19]
	v_mov_b32_e32 v8, 0
	ds_read_b64 v[8:9], v8 offset:24
	s_waitcnt lgkmcnt(0)
	v_mul_f64 v[8:9], v[18:19], v[8:9]
.LBB7_120:
	s_or_b64 exec, exec, s[16:17]
	v_cmp_gt_u32_e32 vcc, 4, v0
	s_waitcnt vmcnt(4)
	ds_write_b64 v55, v[10:11]
	s_waitcnt lgkmcnt(0)
	; wave barrier
	s_waitcnt lgkmcnt(0)
	s_and_saveexec_b64 s[14:15], vcc
	s_cbranch_execz .LBB7_130
; %bb.121:
	s_and_b64 vcc, exec, s[0:1]
	s_cbranch_vccnz .LBB7_123
; %bb.122:
	v_cmp_eq_u32_e32 vcc, 1, v0
	s_waitcnt vmcnt(1)
	v_cndmask_b32_e32 v18, v3, v5, vcc
	v_cmp_eq_u32_e64 s[2:3], 2, v0
	v_cndmask_b32_e64 v18, v18, v7, s[2:3]
	v_cmp_eq_u32_e64 s[4:5], 3, v0
	v_cndmask_b32_e64 v18, v18, v9, s[4:5]
	;; [unrolled: 2-line block ×5, first 2 shown]
	v_cmp_eq_u32_e64 s[12:13], 7, v0
	s_waitcnt vmcnt(0)
	v_cndmask_b32_e64 v19, v18, v17, s[12:13]
	v_cndmask_b32_e32 v18, v2, v4, vcc
	v_cndmask_b32_e64 v18, v18, v6, s[2:3]
	v_cndmask_b32_e64 v18, v18, v8, s[4:5]
	ds_read_b64 v[20:21], v55
	v_cndmask_b32_e64 v18, v18, v10, s[6:7]
	v_cndmask_b32_e64 v18, v18, v12, s[8:9]
	;; [unrolled: 1-line block ×4, first 2 shown]
	s_waitcnt lgkmcnt(0)
	v_mul_f64 v[18:19], v[18:19], v[20:21]
	s_cbranch_execz .LBB7_124
	s_branch .LBB7_125
.LBB7_123:
                                        ; implicit-def: $vgpr18_vgpr19
.LBB7_124:
	ds_read_b64 v[18:19], v55
.LBB7_125:
	v_cmp_ne_u32_e32 vcc, 3, v0
	s_and_saveexec_b64 s[6:7], vcc
	s_cbranch_execz .LBB7_129
; %bb.126:
	v_mov_b32_e32 v20, 0x48
	v_lshl_add_u32 v22, v0, 3, v20
	s_mov_b64 s[8:9], 0
	v_pk_mov_b32 v[20:21], v[0:1], v[0:1] op_sel:[0,1]
.LBB7_127:                              ; =>This Inner Loop Header: Depth=1
	v_add_co_u32_e32 v20, vcc, 1, v20
	v_addc_co_u32_e32 v21, vcc, 0, v21, vcc
	v_cmp_eq_u32_e32 vcc, 1, v20
	s_waitcnt vmcnt(1)
	v_cndmask_b32_e32 v23, v3, v5, vcc
	v_cmp_eq_u32_e64 s[4:5], 2, v20
	v_cmp_lt_u32_e64 s[2:3], 2, v20
	v_cndmask_b32_e64 v23, v23, v7, s[4:5]
	v_cndmask_b32_e32 v26, v2, v4, vcc
	v_cmp_eq_u32_e32 vcc, 3, v20
	s_or_b64 s[8:9], s[2:3], s[8:9]
	v_cndmask_b32_e32 v23, v23, v9, vcc
	v_cndmask_b32_e64 v26, v26, v6, s[4:5]
	v_cmp_eq_u32_e64 s[2:3], 4, v20
	ds_read_b64 v[24:25], v22
	v_cndmask_b32_e64 v23, v23, v11, s[2:3]
	v_cndmask_b32_e32 v26, v26, v8, vcc
	v_cmp_eq_u32_e32 vcc, 5, v20
	v_cndmask_b32_e32 v23, v23, v13, vcc
	v_cndmask_b32_e64 v26, v26, v10, s[2:3]
	v_cmp_eq_u32_e64 s[2:3], 6, v20
	v_cndmask_b32_e64 v23, v23, v15, s[2:3]
	v_cndmask_b32_e32 v26, v26, v12, vcc
	v_cmp_eq_u32_e32 vcc, 7, v20
	s_waitcnt vmcnt(0)
	v_cndmask_b32_e32 v27, v23, v17, vcc
	v_cndmask_b32_e64 v23, v26, v14, s[2:3]
	v_cndmask_b32_e32 v26, v23, v16, vcc
	v_add_u32_e32 v22, 8, v22
	s_waitcnt lgkmcnt(0)
	v_fmac_f64_e32 v[18:19], v[26:27], v[24:25]
	s_andn2_b64 exec, exec, s[8:9]
	s_cbranch_execnz .LBB7_127
; %bb.128:
	s_or_b64 exec, exec, s[8:9]
.LBB7_129:
	s_or_b64 exec, exec, s[6:7]
	v_mov_b32_e32 v10, 0
	ds_read_b64 v[10:11], v10 offset:32
	s_waitcnt lgkmcnt(0)
	v_mul_f64 v[10:11], v[18:19], v[10:11]
.LBB7_130:
	s_or_b64 exec, exec, s[14:15]
	v_cmp_gt_u32_e32 vcc, 5, v0
	s_waitcnt vmcnt(3)
	ds_write_b64 v55, v[12:13]
	s_waitcnt lgkmcnt(0)
	; wave barrier
	s_waitcnt lgkmcnt(0)
	s_and_saveexec_b64 s[14:15], vcc
	s_cbranch_execz .LBB7_140
; %bb.131:
	s_and_b64 vcc, exec, s[0:1]
	s_cbranch_vccnz .LBB7_133
; %bb.132:
	v_cmp_eq_u32_e32 vcc, 1, v0
	s_waitcnt vmcnt(1)
	v_cndmask_b32_e32 v18, v3, v5, vcc
	v_cmp_eq_u32_e64 s[2:3], 2, v0
	v_cndmask_b32_e64 v18, v18, v7, s[2:3]
	v_cmp_eq_u32_e64 s[4:5], 3, v0
	v_cndmask_b32_e64 v18, v18, v9, s[4:5]
	v_cmp_eq_u32_e64 s[6:7], 4, v0
	v_cndmask_b32_e64 v18, v18, v11, s[6:7]
	v_cmp_eq_u32_e64 s[8:9], 5, v0
	v_cndmask_b32_e64 v18, v18, v13, s[8:9]
	v_cmp_eq_u32_e64 s[10:11], 6, v0
	v_cndmask_b32_e64 v18, v18, v15, s[10:11]
	v_cmp_eq_u32_e64 s[12:13], 7, v0
	s_waitcnt vmcnt(0)
	v_cndmask_b32_e64 v19, v18, v17, s[12:13]
	v_cndmask_b32_e32 v18, v2, v4, vcc
	v_cndmask_b32_e64 v18, v18, v6, s[2:3]
	v_cndmask_b32_e64 v18, v18, v8, s[4:5]
	ds_read_b64 v[20:21], v55
	v_cndmask_b32_e64 v18, v18, v10, s[6:7]
	v_cndmask_b32_e64 v18, v18, v12, s[8:9]
	;; [unrolled: 1-line block ×4, first 2 shown]
	s_waitcnt lgkmcnt(0)
	v_mul_f64 v[18:19], v[18:19], v[20:21]
	s_cbranch_execz .LBB7_134
	s_branch .LBB7_135
.LBB7_133:
                                        ; implicit-def: $vgpr18_vgpr19
.LBB7_134:
	ds_read_b64 v[18:19], v55
.LBB7_135:
	v_cmp_ne_u32_e32 vcc, 4, v0
	s_and_saveexec_b64 s[6:7], vcc
	s_cbranch_execz .LBB7_139
; %bb.136:
	v_mov_b32_e32 v20, 0x48
	v_lshl_add_u32 v22, v0, 3, v20
	s_mov_b64 s[8:9], 0
	v_pk_mov_b32 v[20:21], v[0:1], v[0:1] op_sel:[0,1]
.LBB7_137:                              ; =>This Inner Loop Header: Depth=1
	v_add_co_u32_e32 v20, vcc, 1, v20
	v_addc_co_u32_e32 v21, vcc, 0, v21, vcc
	v_cmp_eq_u32_e32 vcc, 1, v20
	s_waitcnt vmcnt(1)
	v_cndmask_b32_e32 v23, v3, v5, vcc
	v_cmp_eq_u32_e64 s[4:5], 2, v20
	v_cmp_lt_u32_e64 s[2:3], 3, v20
	v_cndmask_b32_e64 v23, v23, v7, s[4:5]
	v_cndmask_b32_e32 v26, v2, v4, vcc
	v_cmp_eq_u32_e32 vcc, 3, v20
	s_or_b64 s[8:9], s[2:3], s[8:9]
	v_cndmask_b32_e32 v23, v23, v9, vcc
	v_cndmask_b32_e64 v26, v26, v6, s[4:5]
	v_cmp_eq_u32_e64 s[2:3], 4, v20
	ds_read_b64 v[24:25], v22
	v_cndmask_b32_e64 v23, v23, v11, s[2:3]
	v_cndmask_b32_e32 v26, v26, v8, vcc
	v_cmp_eq_u32_e32 vcc, 5, v20
	v_cndmask_b32_e32 v23, v23, v13, vcc
	v_cndmask_b32_e64 v26, v26, v10, s[2:3]
	v_cmp_eq_u32_e64 s[2:3], 6, v20
	v_cndmask_b32_e64 v23, v23, v15, s[2:3]
	v_cndmask_b32_e32 v26, v26, v12, vcc
	v_cmp_eq_u32_e32 vcc, 7, v20
	s_waitcnt vmcnt(0)
	v_cndmask_b32_e32 v27, v23, v17, vcc
	v_cndmask_b32_e64 v23, v26, v14, s[2:3]
	v_cndmask_b32_e32 v26, v23, v16, vcc
	v_add_u32_e32 v22, 8, v22
	s_waitcnt lgkmcnt(0)
	v_fmac_f64_e32 v[18:19], v[26:27], v[24:25]
	s_andn2_b64 exec, exec, s[8:9]
	s_cbranch_execnz .LBB7_137
; %bb.138:
	s_or_b64 exec, exec, s[8:9]
.LBB7_139:
	s_or_b64 exec, exec, s[6:7]
	v_mov_b32_e32 v12, 0
	ds_read_b64 v[12:13], v12 offset:40
	s_waitcnt lgkmcnt(0)
	v_mul_f64 v[12:13], v[18:19], v[12:13]
.LBB7_140:
	s_or_b64 exec, exec, s[14:15]
	v_cmp_gt_u32_e64 s[2:3], 6, v0
	s_waitcnt vmcnt(2)
	ds_write_b64 v55, v[14:15]
	s_waitcnt lgkmcnt(0)
	; wave barrier
	s_waitcnt lgkmcnt(0)
	s_and_saveexec_b64 s[16:17], s[2:3]
	s_cbranch_execz .LBB7_150
; %bb.141:
	s_and_b64 vcc, exec, s[0:1]
	s_cbranch_vccnz .LBB7_143
; %bb.142:
	v_cmp_eq_u32_e32 vcc, 1, v0
	s_waitcnt vmcnt(1)
	v_cndmask_b32_e32 v18, v3, v5, vcc
	v_cmp_eq_u32_e64 s[4:5], 2, v0
	v_cndmask_b32_e64 v18, v18, v7, s[4:5]
	v_cmp_eq_u32_e64 s[6:7], 3, v0
	v_cndmask_b32_e64 v18, v18, v9, s[6:7]
	;; [unrolled: 2-line block ×5, first 2 shown]
	v_cmp_eq_u32_e64 s[14:15], 7, v0
	s_waitcnt vmcnt(0)
	v_cndmask_b32_e64 v19, v18, v17, s[14:15]
	v_cndmask_b32_e32 v18, v2, v4, vcc
	v_cndmask_b32_e64 v18, v18, v6, s[4:5]
	v_cndmask_b32_e64 v18, v18, v8, s[6:7]
	ds_read_b64 v[20:21], v55
	v_cndmask_b32_e64 v18, v18, v10, s[8:9]
	v_cndmask_b32_e64 v18, v18, v12, s[10:11]
	v_cndmask_b32_e64 v18, v18, v14, s[12:13]
	v_cndmask_b32_e64 v18, v18, v16, s[14:15]
	s_waitcnt lgkmcnt(0)
	v_mul_f64 v[18:19], v[18:19], v[20:21]
	s_cbranch_execz .LBB7_144
	s_branch .LBB7_145
.LBB7_143:
                                        ; implicit-def: $vgpr18_vgpr19
.LBB7_144:
	ds_read_b64 v[18:19], v55
.LBB7_145:
	v_cmp_ne_u32_e32 vcc, 5, v0
	s_and_saveexec_b64 s[8:9], vcc
	s_cbranch_execz .LBB7_149
; %bb.146:
	v_mov_b32_e32 v20, 0x48
	v_lshl_add_u32 v22, v0, 3, v20
	s_mov_b64 s[10:11], 0
	v_pk_mov_b32 v[20:21], v[0:1], v[0:1] op_sel:[0,1]
.LBB7_147:                              ; =>This Inner Loop Header: Depth=1
	v_add_co_u32_e32 v20, vcc, 1, v20
	v_addc_co_u32_e32 v21, vcc, 0, v21, vcc
	v_cmp_eq_u32_e32 vcc, 1, v20
	s_waitcnt vmcnt(1)
	v_cndmask_b32_e32 v23, v3, v5, vcc
	v_cmp_eq_u32_e64 s[6:7], 2, v20
	v_cmp_lt_u32_e64 s[4:5], 4, v20
	v_cndmask_b32_e64 v23, v23, v7, s[6:7]
	v_cndmask_b32_e32 v26, v2, v4, vcc
	v_cmp_eq_u32_e32 vcc, 3, v20
	s_or_b64 s[10:11], s[4:5], s[10:11]
	v_cndmask_b32_e32 v23, v23, v9, vcc
	v_cndmask_b32_e64 v26, v26, v6, s[6:7]
	v_cmp_eq_u32_e64 s[4:5], 4, v20
	ds_read_b64 v[24:25], v22
	v_cndmask_b32_e64 v23, v23, v11, s[4:5]
	v_cndmask_b32_e32 v26, v26, v8, vcc
	v_cmp_eq_u32_e32 vcc, 5, v20
	v_cndmask_b32_e32 v23, v23, v13, vcc
	v_cndmask_b32_e64 v26, v26, v10, s[4:5]
	v_cmp_eq_u32_e64 s[4:5], 6, v20
	v_cndmask_b32_e64 v23, v23, v15, s[4:5]
	v_cndmask_b32_e32 v26, v26, v12, vcc
	v_cmp_eq_u32_e32 vcc, 7, v20
	s_waitcnt vmcnt(0)
	v_cndmask_b32_e32 v27, v23, v17, vcc
	v_cndmask_b32_e64 v23, v26, v14, s[4:5]
	v_cndmask_b32_e32 v26, v23, v16, vcc
	v_add_u32_e32 v22, 8, v22
	s_waitcnt lgkmcnt(0)
	v_fmac_f64_e32 v[18:19], v[26:27], v[24:25]
	s_andn2_b64 exec, exec, s[10:11]
	s_cbranch_execnz .LBB7_147
; %bb.148:
	s_or_b64 exec, exec, s[10:11]
.LBB7_149:
	s_or_b64 exec, exec, s[8:9]
	v_mov_b32_e32 v14, 0
	ds_read_b64 v[14:15], v14 offset:48
	s_waitcnt lgkmcnt(0)
	v_mul_f64 v[14:15], v[18:19], v[14:15]
.LBB7_150:
	s_or_b64 exec, exec, s[16:17]
	v_cmp_ne_u32_e32 vcc, 7, v0
	s_waitcnt vmcnt(0)
	ds_write_b64 v55, v[16:17]
	s_waitcnt lgkmcnt(0)
	; wave barrier
	s_waitcnt lgkmcnt(0)
	s_and_saveexec_b64 s[14:15], vcc
	s_cbranch_execz .LBB7_160
; %bb.151:
	s_and_b64 vcc, exec, s[0:1]
	s_cbranch_vccnz .LBB7_153
; %bb.152:
	v_cmp_eq_u32_e32 vcc, 1, v0
	v_cndmask_b32_e32 v18, v3, v5, vcc
	v_cmp_eq_u32_e64 s[0:1], 2, v0
	v_cndmask_b32_e64 v18, v18, v7, s[0:1]
	v_cmp_eq_u32_e64 s[4:5], 3, v0
	v_cndmask_b32_e64 v18, v18, v9, s[4:5]
	;; [unrolled: 2-line block ×6, first 2 shown]
	v_cndmask_b32_e32 v18, v2, v4, vcc
	v_cndmask_b32_e64 v18, v18, v6, s[0:1]
	v_cndmask_b32_e64 v18, v18, v8, s[4:5]
	ds_read_b64 v[20:21], v55
	v_cndmask_b32_e64 v18, v18, v10, s[6:7]
	v_cndmask_b32_e64 v18, v18, v12, s[8:9]
	;; [unrolled: 1-line block ×4, first 2 shown]
	s_waitcnt lgkmcnt(0)
	v_mul_f64 v[18:19], v[18:19], v[20:21]
	s_cbranch_execz .LBB7_154
	s_branch .LBB7_155
.LBB7_153:
                                        ; implicit-def: $vgpr18_vgpr19
.LBB7_154:
	ds_read_b64 v[18:19], v55
.LBB7_155:
	s_and_saveexec_b64 s[4:5], s[2:3]
	s_cbranch_execz .LBB7_159
; %bb.156:
	v_mov_b32_e32 v20, 0x48
	v_lshl_add_u32 v20, v0, 3, v20
	s_mov_b64 s[6:7], 0
.LBB7_157:                              ; =>This Inner Loop Header: Depth=1
	v_add_co_u32_e32 v0, vcc, 1, v0
	v_addc_co_u32_e32 v1, vcc, 0, v1, vcc
	v_cmp_eq_u32_e32 vcc, 1, v0
	v_cndmask_b32_e32 v21, v3, v5, vcc
	v_cmp_eq_u32_e64 s[2:3], 2, v0
	v_cmp_lt_u32_e64 s[0:1], 5, v0
	v_cndmask_b32_e64 v21, v21, v7, s[2:3]
	v_cndmask_b32_e32 v24, v2, v4, vcc
	v_cmp_eq_u32_e32 vcc, 3, v0
	s_or_b64 s[6:7], s[0:1], s[6:7]
	v_cndmask_b32_e32 v21, v21, v9, vcc
	v_cndmask_b32_e64 v24, v24, v6, s[2:3]
	v_cmp_eq_u32_e64 s[0:1], 4, v0
	ds_read_b64 v[22:23], v20
	v_cndmask_b32_e64 v21, v21, v11, s[0:1]
	v_cndmask_b32_e32 v24, v24, v8, vcc
	v_cmp_eq_u32_e32 vcc, 5, v0
	v_cndmask_b32_e32 v21, v21, v13, vcc
	v_cndmask_b32_e64 v24, v24, v10, s[0:1]
	v_cmp_eq_u32_e64 s[0:1], 6, v0
	v_cndmask_b32_e64 v21, v21, v15, s[0:1]
	v_cndmask_b32_e32 v24, v24, v12, vcc
	v_cmp_eq_u32_e32 vcc, 7, v0
	v_cndmask_b32_e32 v25, v21, v17, vcc
	v_cndmask_b32_e64 v21, v24, v14, s[0:1]
	v_cndmask_b32_e32 v24, v21, v16, vcc
	v_add_u32_e32 v20, 8, v20
	s_waitcnt lgkmcnt(0)
	v_fmac_f64_e32 v[18:19], v[24:25], v[22:23]
	s_andn2_b64 exec, exec, s[6:7]
	s_cbranch_execnz .LBB7_157
; %bb.158:
	s_or_b64 exec, exec, s[6:7]
.LBB7_159:
	s_or_b64 exec, exec, s[4:5]
	v_mov_b32_e32 v0, 0
	ds_read_b64 v[0:1], v0 offset:56
	s_waitcnt lgkmcnt(0)
	v_mul_f64 v[16:17], v[18:19], v[0:1]
.LBB7_160:
	s_or_b64 exec, exec, s[14:15]
	v_pk_mov_b32 v[32:33], v[16:17], v[16:17] op_sel:[0,1]
	v_pk_mov_b32 v[30:31], v[14:15], v[14:15] op_sel:[0,1]
	;; [unrolled: 1-line block ×8, first 2 shown]
.LBB7_161:
	global_store_dwordx2 v[34:35], v[18:19], off
	global_store_dwordx2 v[36:37], v[20:21], off
	;; [unrolled: 1-line block ×8, first 2 shown]
.LBB7_162:
	s_endpgm
	.section	.rodata,"a",@progbits
	.p2align	6, 0x0
	.amdhsa_kernel _ZN9rocsolver6v33100L18trti2_kernel_smallILi8EdPdEEv13rocblas_fill_17rocblas_diagonal_T1_iil
		.amdhsa_group_segment_fixed_size 128
		.amdhsa_private_segment_fixed_size 0
		.amdhsa_kernarg_size 32
		.amdhsa_user_sgpr_count 6
		.amdhsa_user_sgpr_private_segment_buffer 1
		.amdhsa_user_sgpr_dispatch_ptr 0
		.amdhsa_user_sgpr_queue_ptr 0
		.amdhsa_user_sgpr_kernarg_segment_ptr 1
		.amdhsa_user_sgpr_dispatch_id 0
		.amdhsa_user_sgpr_flat_scratch_init 0
		.amdhsa_user_sgpr_kernarg_preload_length 0
		.amdhsa_user_sgpr_kernarg_preload_offset 0
		.amdhsa_user_sgpr_private_segment_size 0
		.amdhsa_uses_dynamic_stack 0
		.amdhsa_system_sgpr_private_segment_wavefront_offset 0
		.amdhsa_system_sgpr_workgroup_id_x 1
		.amdhsa_system_sgpr_workgroup_id_y 0
		.amdhsa_system_sgpr_workgroup_id_z 0
		.amdhsa_system_sgpr_workgroup_info 0
		.amdhsa_system_vgpr_workitem_id 0
		.amdhsa_next_free_vgpr 78
		.amdhsa_next_free_sgpr 30
		.amdhsa_accum_offset 80
		.amdhsa_reserve_vcc 1
		.amdhsa_reserve_flat_scratch 0
		.amdhsa_float_round_mode_32 0
		.amdhsa_float_round_mode_16_64 0
		.amdhsa_float_denorm_mode_32 3
		.amdhsa_float_denorm_mode_16_64 3
		.amdhsa_dx10_clamp 1
		.amdhsa_ieee_mode 1
		.amdhsa_fp16_overflow 0
		.amdhsa_tg_split 0
		.amdhsa_exception_fp_ieee_invalid_op 0
		.amdhsa_exception_fp_denorm_src 0
		.amdhsa_exception_fp_ieee_div_zero 0
		.amdhsa_exception_fp_ieee_overflow 0
		.amdhsa_exception_fp_ieee_underflow 0
		.amdhsa_exception_fp_ieee_inexact 0
		.amdhsa_exception_int_div_zero 0
	.end_amdhsa_kernel
	.section	.text._ZN9rocsolver6v33100L18trti2_kernel_smallILi8EdPdEEv13rocblas_fill_17rocblas_diagonal_T1_iil,"axG",@progbits,_ZN9rocsolver6v33100L18trti2_kernel_smallILi8EdPdEEv13rocblas_fill_17rocblas_diagonal_T1_iil,comdat
.Lfunc_end7:
	.size	_ZN9rocsolver6v33100L18trti2_kernel_smallILi8EdPdEEv13rocblas_fill_17rocblas_diagonal_T1_iil, .Lfunc_end7-_ZN9rocsolver6v33100L18trti2_kernel_smallILi8EdPdEEv13rocblas_fill_17rocblas_diagonal_T1_iil
                                        ; -- End function
	.section	.AMDGPU.csdata,"",@progbits
; Kernel info:
; codeLenInByte = 9432
; NumSgprs: 34
; NumVgprs: 78
; NumAgprs: 0
; TotalNumVgprs: 78
; ScratchSize: 0
; MemoryBound: 0
; FloatMode: 240
; IeeeMode: 1
; LDSByteSize: 128 bytes/workgroup (compile time only)
; SGPRBlocks: 4
; VGPRBlocks: 9
; NumSGPRsForWavesPerEU: 34
; NumVGPRsForWavesPerEU: 78
; AccumOffset: 80
; Occupancy: 6
; WaveLimiterHint : 0
; COMPUTE_PGM_RSRC2:SCRATCH_EN: 0
; COMPUTE_PGM_RSRC2:USER_SGPR: 6
; COMPUTE_PGM_RSRC2:TRAP_HANDLER: 0
; COMPUTE_PGM_RSRC2:TGID_X_EN: 1
; COMPUTE_PGM_RSRC2:TGID_Y_EN: 0
; COMPUTE_PGM_RSRC2:TGID_Z_EN: 0
; COMPUTE_PGM_RSRC2:TIDIG_COMP_CNT: 0
; COMPUTE_PGM_RSRC3_GFX90A:ACCUM_OFFSET: 19
; COMPUTE_PGM_RSRC3_GFX90A:TG_SPLIT: 0
	.section	.text._ZN9rocsolver6v33100L18trti2_kernel_smallILi9EdPdEEv13rocblas_fill_17rocblas_diagonal_T1_iil,"axG",@progbits,_ZN9rocsolver6v33100L18trti2_kernel_smallILi9EdPdEEv13rocblas_fill_17rocblas_diagonal_T1_iil,comdat
	.globl	_ZN9rocsolver6v33100L18trti2_kernel_smallILi9EdPdEEv13rocblas_fill_17rocblas_diagonal_T1_iil ; -- Begin function _ZN9rocsolver6v33100L18trti2_kernel_smallILi9EdPdEEv13rocblas_fill_17rocblas_diagonal_T1_iil
	.p2align	8
	.type	_ZN9rocsolver6v33100L18trti2_kernel_smallILi9EdPdEEv13rocblas_fill_17rocblas_diagonal_T1_iil,@function
_ZN9rocsolver6v33100L18trti2_kernel_smallILi9EdPdEEv13rocblas_fill_17rocblas_diagonal_T1_iil: ; @_ZN9rocsolver6v33100L18trti2_kernel_smallILi9EdPdEEv13rocblas_fill_17rocblas_diagonal_T1_iil
; %bb.0:
	v_cmp_gt_u32_e32 vcc, 9, v0
	s_and_saveexec_b64 s[0:1], vcc
	s_cbranch_execz .LBB8_188
; %bb.1:
	s_load_dwordx8 s[20:27], s[4:5], 0x0
	s_ashr_i32 s2, s6, 31
	v_lshlrev_b32_e32 v36, 3, v0
	v_mov_b32_e32 v34, 0
	v_mov_b32_e32 v35, 0xbff00000
	s_waitcnt lgkmcnt(0)
	s_mul_i32 s3, s6, s27
	s_mul_hi_u32 s4, s6, s26
	s_add_i32 s3, s4, s3
	s_mul_i32 s2, s2, s26
	s_add_i32 s3, s3, s2
	s_mul_i32 s2, s6, s26
	s_ashr_i32 s1, s24, 31
	s_lshl_b64 s[2:3], s[2:3], 3
	s_mov_b32 s0, s24
	s_add_u32 s2, s22, s2
	s_addc_u32 s3, s23, s3
	s_lshl_b64 s[0:1], s[0:1], 3
	s_add_u32 s0, s2, s0
	s_addc_u32 s1, s3, s1
	v_mov_b32_e32 v1, s1
	v_add_co_u32_e32 v66, vcc, s0, v36
	s_ashr_i32 s3, s25, 31
	s_mov_b32 s2, s25
	v_addc_co_u32_e32 v67, vcc, 0, v1, vcc
	s_lshl_b64 s[2:3], s[2:3], 3
	v_add_co_u32_e32 v68, vcc, s2, v66
	s_add_i32 s2, s25, s25
	v_add_u32_e32 v4, s2, v0
	v_mov_b32_e32 v1, s3
	v_ashrrev_i32_e32 v5, 31, v4
	v_addc_co_u32_e32 v69, vcc, v67, v1, vcc
	v_lshlrev_b64 v[6:7], 3, v[4:5]
	v_add_u32_e32 v4, s25, v4
	v_mov_b32_e32 v1, s1
	v_add_co_u32_e32 v70, vcc, s0, v6
	v_ashrrev_i32_e32 v5, 31, v4
	v_addc_co_u32_e32 v71, vcc, v1, v7, vcc
	v_lshlrev_b64 v[6:7], 3, v[4:5]
	v_add_u32_e32 v12, s25, v4
	v_add_co_u32_e32 v72, vcc, s0, v6
	v_ashrrev_i32_e32 v13, 31, v12
	v_addc_co_u32_e32 v73, vcc, v1, v7, vcc
	v_lshlrev_b64 v[4:5], 3, v[12:13]
	v_add_u32_e32 v12, s25, v12
	;; [unrolled: 5-line block ×5, first 2 shown]
	v_add_co_u32_e32 v80, vcc, s0, v14
	v_ashrrev_i32_e32 v13, 31, v12
	v_addc_co_u32_e32 v81, vcc, v1, v15, vcc
	v_lshlrev_b64 v[12:13], 3, v[12:13]
	v_add_co_u32_e32 v82, vcc, s0, v12
	global_load_dwordx2 v[2:3], v36, s[0:1]
	global_load_dwordx2 v[4:5], v[68:69], off
	global_load_dwordx2 v[6:7], v[70:71], off
	;; [unrolled: 1-line block ×4, first 2 shown]
	v_addc_co_u32_e32 v83, vcc, v1, v13, vcc
	global_load_dwordx2 v[12:13], v[76:77], off
	global_load_dwordx2 v[14:15], v[78:79], off
	;; [unrolled: 1-line block ×4, first 2 shown]
	s_cmpk_lg_i32 s21, 0x84
	v_mov_b32_e32 v1, 0
	s_cselect_b64 s[18:19], -1, 0
	s_cmpk_eq_i32 s21, 0x84
	v_cmp_eq_u32_e64 s[0:1], 0, v0
	s_cbranch_scc1 .LBB8_3
; %bb.2:
	v_cmp_eq_u32_e64 s[2:3], 1, v0
	s_waitcnt vmcnt(7)
	v_cndmask_b32_e64 v20, v3, v5, s[2:3]
	v_cmp_eq_u32_e64 s[4:5], 2, v0
	s_waitcnt vmcnt(6)
	v_cndmask_b32_e64 v20, v20, v7, s[4:5]
	;; [unrolled: 3-line block ×8, first 2 shown]
	v_cndmask_b32_e64 v20, v2, v4, s[2:3]
	v_cndmask_b32_e64 v20, v20, v6, s[4:5]
	;; [unrolled: 1-line block ×8, first 2 shown]
	v_div_scale_f64 v[22:23], s[22:23], v[20:21], v[20:21], 1.0
	v_rcp_f64_e32 v[24:25], v[22:23]
	v_fma_f64 v[26:27], -v[22:23], v[24:25], 1.0
	v_fmac_f64_e32 v[24:25], v[24:25], v[26:27]
	v_fma_f64 v[26:27], -v[22:23], v[24:25], 1.0
	v_fmac_f64_e32 v[24:25], v[24:25], v[26:27]
	v_div_scale_f64 v[26:27], vcc, 1.0, v[20:21], 1.0
	v_mul_f64 v[28:29], v[26:27], v[24:25]
	v_fma_f64 v[22:23], -v[22:23], v[28:29], v[26:27]
	s_nop 1
	v_div_fmas_f64 v[22:23], v[22:23], v[24:25], v[28:29]
	v_div_fixup_f64 v[34:35], v[22:23], v[20:21], 1.0
	v_cndmask_b32_e64 v19, v19, v35, s[16:17]
	v_cndmask_b32_e64 v18, v18, v34, s[16:17]
	v_cndmask_b32_e64 v17, v17, v35, s[14:15]
	v_cndmask_b32_e64 v16, v16, v34, s[14:15]
	v_cndmask_b32_e64 v15, v15, v35, s[12:13]
	v_cndmask_b32_e64 v14, v14, v34, s[12:13]
	v_cndmask_b32_e64 v13, v13, v35, s[10:11]
	v_cndmask_b32_e64 v12, v12, v34, s[10:11]
	v_cndmask_b32_e64 v11, v11, v35, s[8:9]
	v_cndmask_b32_e64 v10, v10, v34, s[8:9]
	v_cndmask_b32_e64 v9, v9, v35, s[6:7]
	v_cndmask_b32_e64 v8, v8, v34, s[6:7]
	v_cndmask_b32_e64 v7, v7, v35, s[4:5]
	v_cndmask_b32_e64 v6, v6, v34, s[4:5]
	v_cndmask_b32_e64 v5, v5, v35, s[2:3]
	v_cndmask_b32_e64 v4, v4, v34, s[2:3]
	v_cndmask_b32_e64 v3, v3, v35, s[0:1]
	v_cndmask_b32_e64 v2, v2, v34, s[0:1]
	v_xor_b32_e32 v35, 0x80000000, v35
.LBB8_3:
	s_cmpk_eq_i32 s20, 0x79
	v_add_u32_e32 v87, 0x50, v36
	ds_write_b64 v36, v[34:35]
	s_cbranch_scc1 .LBB8_7
; %bb.4:
	s_waitcnt vmcnt(0)
	v_pk_mov_b32 v[64:65], v[32:33], v[32:33] op_sel:[0,1]
	v_cmp_eq_u32_e64 s[0:1], 8, v0
	v_pk_mov_b32 v[62:63], v[30:31], v[30:31] op_sel:[0,1]
	v_pk_mov_b32 v[60:61], v[28:29], v[28:29] op_sel:[0,1]
	;; [unrolled: 1-line block ×15, first 2 shown]
	ds_write_b64 v87, v[16:17]
	s_waitcnt lgkmcnt(0)
	; wave barrier
	s_waitcnt lgkmcnt(0)
	s_and_saveexec_b64 s[16:17], s[0:1]
	s_cbranch_execz .LBB8_11
; %bb.5:
	s_and_b64 vcc, exec, s[18:19]
	s_cbranch_vccz .LBB8_8
; %bb.6:
	v_cmp_eq_u32_e32 vcc, 1, v0
	v_cndmask_b32_e32 v34, v3, v5, vcc
	v_cmp_eq_u32_e64 s[2:3], 2, v0
	v_cndmask_b32_e64 v34, v34, v7, s[2:3]
	v_cmp_eq_u32_e64 s[4:5], 3, v0
	v_cndmask_b32_e64 v34, v34, v9, s[4:5]
	;; [unrolled: 2-line block ×7, first 2 shown]
	v_cndmask_b32_e32 v34, v2, v4, vcc
	v_cndmask_b32_e64 v34, v34, v6, s[2:3]
	v_cndmask_b32_e64 v34, v34, v8, s[4:5]
	;; [unrolled: 1-line block ×3, first 2 shown]
	ds_read_b64 v[36:37], v87
	v_cndmask_b32_e64 v34, v34, v12, s[8:9]
	v_cndmask_b32_e64 v34, v34, v14, s[10:11]
	v_cndmask_b32_e64 v34, v34, v16, s[12:13]
	v_cndmask_b32_e64 v34, v34, v18, s[14:15]
	s_waitcnt lgkmcnt(0)
	v_mul_f64 v[38:39], v[34:35], v[36:37]
	s_cbranch_execz .LBB8_9
	s_branch .LBB8_10
.LBB8_7:
                                        ; implicit-def: $vgpr34_vgpr35_vgpr36_vgpr37_vgpr38_vgpr39_vgpr40_vgpr41_vgpr42_vgpr43_vgpr44_vgpr45_vgpr46_vgpr47_vgpr48_vgpr49_vgpr50_vgpr51_vgpr52_vgpr53_vgpr54_vgpr55_vgpr56_vgpr57_vgpr58_vgpr59_vgpr60_vgpr61_vgpr62_vgpr63_vgpr64_vgpr65
	s_cbranch_execnz .LBB8_114
	s_branch .LBB8_187
.LBB8_8:
                                        ; implicit-def: $vgpr38_vgpr39
.LBB8_9:
	ds_read_b64 v[38:39], v87
.LBB8_10:
	v_mov_b32_e32 v34, 0
	ds_read_b64 v[40:41], v34 offset:56
	v_mov_b32_e32 v34, v2
	v_mov_b32_e32 v35, v3
	;; [unrolled: 1-line block ×4, first 2 shown]
	s_waitcnt lgkmcnt(0)
	v_mul_f64 v[48:49], v[38:39], v[40:41]
	v_mov_b32_e32 v38, v6
	v_mov_b32_e32 v39, v7
	;; [unrolled: 1-line block ×12, first 2 shown]
.LBB8_11:
	s_or_b64 exec, exec, s[16:17]
	v_cmp_lt_u32_e64 s[2:3], 6, v0
	ds_write_b64 v87, v[46:47]
	s_waitcnt lgkmcnt(0)
	; wave barrier
	s_waitcnt lgkmcnt(0)
	s_and_saveexec_b64 s[20:21], s[2:3]
	s_cbranch_execz .LBB8_17
; %bb.12:
	s_andn2_b64 vcc, exec, s[18:19]
	s_cbranch_vccnz .LBB8_14
; %bb.13:
	v_cmp_eq_u32_e32 vcc, 1, v0
	v_cndmask_b32_e32 v52, v35, v37, vcc
	v_cmp_eq_u32_e64 s[4:5], 2, v0
	v_cndmask_b32_e64 v52, v52, v39, s[4:5]
	v_cmp_eq_u32_e64 s[6:7], 3, v0
	v_cndmask_b32_e64 v52, v52, v41, s[6:7]
	;; [unrolled: 2-line block ×5, first 2 shown]
	v_cndmask_b32_e32 v52, v34, v36, vcc
	v_cndmask_b32_e64 v52, v52, v38, s[4:5]
	v_cndmask_b32_e64 v52, v52, v40, s[6:7]
	;; [unrolled: 1-line block ×3, first 2 shown]
	ds_read_b64 v[52:53], v87
	v_cndmask_b32_e64 v54, v54, v44, s[10:11]
	v_cmp_eq_u32_e64 s[14:15], 7, v0
	v_cndmask_b32_e64 v46, v54, v46, s[12:13]
	v_cndmask_b32_e64 v47, v47, v49, s[14:15]
	v_cmp_eq_u32_e64 s[16:17], 8, v0
	v_cndmask_b32_e64 v46, v46, v48, s[14:15]
	v_cndmask_b32_e64 v47, v47, v51, s[16:17]
	;; [unrolled: 1-line block ×3, first 2 shown]
	s_waitcnt lgkmcnt(0)
	v_mul_f64 v[46:47], v[46:47], v[52:53]
	s_cbranch_execz .LBB8_15
	s_branch .LBB8_16
.LBB8_14:
                                        ; implicit-def: $vgpr46_vgpr47
.LBB8_15:
	ds_read_b64 v[46:47], v87
.LBB8_16:
	v_mov_b32_e32 v52, 0
	ds_read2_b64 v[52:55], v52 offset0:6 offset1:17
	s_waitcnt lgkmcnt(0)
	v_fma_f64 v[54:55], v[48:49], v[54:55], v[46:47]
	v_cndmask_b32_e64 v47, v47, v55, s[0:1]
	v_cndmask_b32_e64 v46, v46, v54, s[0:1]
	v_mul_f64 v[46:47], v[46:47], v[52:53]
.LBB8_17:
	s_or_b64 exec, exec, s[20:21]
	v_cmp_lt_u32_e64 s[0:1], 5, v0
	ds_write_b64 v87, v[44:45]
	s_waitcnt lgkmcnt(0)
	; wave barrier
	s_waitcnt lgkmcnt(0)
	s_and_saveexec_b64 s[20:21], s[0:1]
	s_cbranch_execz .LBB8_33
; %bb.18:
	s_andn2_b64 vcc, exec, s[18:19]
	s_cbranch_vccnz .LBB8_20
; %bb.19:
	v_cmp_eq_u32_e32 vcc, 1, v0
	v_cndmask_b32_e32 v84, v35, v37, vcc
	v_cmp_eq_u32_e64 s[4:5], 2, v0
	v_cndmask_b32_e64 v84, v84, v39, s[4:5]
	v_cmp_eq_u32_e64 s[6:7], 3, v0
	v_cndmask_b32_e64 v84, v84, v41, s[6:7]
	v_cmp_eq_u32_e64 s[8:9], 4, v0
	v_cndmask_b32_e64 v84, v84, v43, s[8:9]
	v_cmp_eq_u32_e64 s[10:11], 5, v0
	v_cndmask_b32_e64 v84, v84, v45, s[10:11]
	v_cmp_eq_u32_e64 s[12:13], 6, v0
	v_cndmask_b32_e64 v84, v84, v47, s[12:13]
	v_cmp_eq_u32_e64 s[14:15], 7, v0
	v_cndmask_b32_e64 v84, v84, v49, s[14:15]
	v_cmp_eq_u32_e64 s[16:17], 8, v0
	v_cndmask_b32_e64 v85, v84, v51, s[16:17]
	v_cndmask_b32_e32 v84, v34, v36, vcc
	v_cndmask_b32_e64 v84, v84, v38, s[4:5]
	v_cndmask_b32_e64 v84, v84, v40, s[6:7]
	;; [unrolled: 1-line block ×3, first 2 shown]
	ds_read_b64 v[88:89], v87
	v_cndmask_b32_e64 v84, v84, v44, s[10:11]
	v_cndmask_b32_e64 v84, v84, v46, s[12:13]
	;; [unrolled: 1-line block ×4, first 2 shown]
	s_waitcnt lgkmcnt(0)
	v_mul_f64 v[84:85], v[84:85], v[88:89]
	s_cbranch_execz .LBB8_21
	s_branch .LBB8_22
.LBB8_20:
                                        ; implicit-def: $vgpr84_vgpr85
.LBB8_21:
	ds_read_b64 v[84:85], v87
.LBB8_22:
	s_and_saveexec_b64 s[6:7], s[2:3]
	s_cbranch_execz .LBB8_32
; %bb.23:
	v_add_u32_e32 v86, -7, v0
	v_add_u32_e32 v89, -6, v0
	v_cmp_lt_u32_e32 vcc, 6, v86
	v_mov_b32_e32 v88, 6
	s_and_saveexec_b64 s[2:3], vcc
	s_cbranch_execz .LBB8_27
; %bb.24:
	v_and_b32_e32 v86, -8, v89
	v_sub_u32_e32 v86, 0, v86
	s_mov_b64 s[4:5], 13
	s_movk_i32 s10, 0x80
	s_mov_b64 s[8:9], 0
.LBB8_25:                               ; =>This Inner Loop Header: Depth=1
	s_lshl_b32 s11, s4, 1
	s_add_i32 s12, s11, -13
	s_add_i32 s13, s11, -14
	s_set_gpr_idx_on s12, gpr_idx(SRC0)
	v_mov_b32_e32 v107, v34
	s_set_gpr_idx_off
	v_mov_b32_e32 v88, s10
	s_add_i32 s14, s11, -11
	s_set_gpr_idx_on s13, gpr_idx(SRC0)
	v_mov_b32_e32 v106, v34
	s_set_gpr_idx_off
	s_add_i32 s15, s11, -12
	ds_read_b128 v[90:93], v88
	ds_read_b128 v[94:97], v88 offset:16
	ds_read_b128 v[98:101], v88 offset:32
	;; [unrolled: 1-line block ×3, first 2 shown]
	s_set_gpr_idx_on s14, gpr_idx(SRC0)
	v_mov_b32_e32 v109, v34
	s_set_gpr_idx_off
	s_add_i32 s16, s11, -9
	s_set_gpr_idx_on s15, gpr_idx(SRC0)
	v_mov_b32_e32 v108, v34
	s_set_gpr_idx_off
	s_add_i32 s17, s11, -10
	;; [unrolled: 4-line block ×4, first 2 shown]
	s_waitcnt lgkmcnt(3)
	v_fmac_f64_e32 v[84:85], v[106:107], v[90:91]
	s_set_gpr_idx_on s22, gpr_idx(SRC0)
	v_mov_b32_e32 v91, v34
	s_set_gpr_idx_off
	s_add_i32 s24, s11, -5
	v_fmac_f64_e32 v[84:85], v[108:109], v[92:93]
	s_set_gpr_idx_on s23, gpr_idx(SRC0)
	v_mov_b32_e32 v90, v34
	s_set_gpr_idx_off
	s_add_i32 s25, s11, -6
	s_waitcnt lgkmcnt(2)
	v_fmac_f64_e32 v[84:85], v[110:111], v[94:95]
	s_set_gpr_idx_on s24, gpr_idx(SRC0)
	v_mov_b32_e32 v93, v34
	s_set_gpr_idx_off
	s_add_i32 s26, s11, -3
	v_fmac_f64_e32 v[84:85], v[90:91], v[96:97]
	s_set_gpr_idx_on s25, gpr_idx(SRC0)
	v_mov_b32_e32 v92, v34
	s_set_gpr_idx_off
	s_add_i32 s27, s11, -4
	s_waitcnt lgkmcnt(1)
	v_fmac_f64_e32 v[84:85], v[92:93], v[98:99]
	s_set_gpr_idx_on s26, gpr_idx(SRC0)
	v_mov_b32_e32 v91, v34
	s_set_gpr_idx_off
	s_add_i32 s28, s11, -1
	s_set_gpr_idx_on s27, gpr_idx(SRC0)
	v_mov_b32_e32 v90, v34
	s_set_gpr_idx_off
	s_add_i32 s29, s11, -2
	v_fmac_f64_e32 v[84:85], v[90:91], v[100:101]
	s_set_gpr_idx_on s28, gpr_idx(SRC0)
	v_mov_b32_e32 v91, v34
	s_set_gpr_idx_off
	s_add_u32 s4, s4, 8
	s_set_gpr_idx_on s29, gpr_idx(SRC0)
	v_mov_b32_e32 v90, v34
	s_set_gpr_idx_off
	v_add_u32_e32 v88, s4, v86
	s_waitcnt lgkmcnt(0)
	v_fmac_f64_e32 v[84:85], v[90:91], v[102:103]
	s_set_gpr_idx_on s11, gpr_idx(SRC0)
	v_mov_b32_e32 v91, v35
	s_set_gpr_idx_off
	s_addc_u32 s5, s5, 0
	s_add_i32 s10, s10, 64
	s_add_i32 s12, s4, -7
	v_cmp_eq_u32_e32 vcc, 13, v88
	s_set_gpr_idx_on s11, gpr_idx(SRC0)
	v_mov_b32_e32 v90, v34
	s_set_gpr_idx_off
	v_mov_b32_e32 v88, s12
	s_or_b64 s[8:9], vcc, s[8:9]
	v_fmac_f64_e32 v[84:85], v[90:91], v[104:105]
	s_andn2_b64 exec, exec, s[8:9]
	s_cbranch_execnz .LBB8_25
; %bb.26:
	s_or_b64 exec, exec, s[8:9]
.LBB8_27:
	s_or_b64 exec, exec, s[2:3]
	v_and_b32_e32 v52, 7, v89
	v_cmp_ne_u32_e32 vcc, 0, v52
	s_and_saveexec_b64 s[8:9], vcc
	s_cbranch_execz .LBB8_31
; %bb.28:
	v_mov_b32_e32 v53, 0x50
	v_lshl_add_u32 v54, v88, 3, v53
	v_mov_b32_e32 v53, 0
	s_mov_b64 s[10:11], 0
.LBB8_29:                               ; =>This Inner Loop Header: Depth=1
	v_cmp_eq_u32_e32 vcc, 1, v88
	v_cndmask_b32_e32 v55, v35, v37, vcc
	v_add_u32_e32 v52, -1, v52
	v_cmp_eq_u32_e64 s[2:3], 2, v88
	v_cndmask_b32_e64 v55, v55, v39, s[2:3]
	v_cndmask_b32_e32 v58, v34, v36, vcc
	v_cmp_eq_u32_e32 vcc, 0, v52
	v_cmp_eq_u32_e64 s[4:5], 3, v88
	v_cndmask_b32_e64 v55, v55, v41, s[4:5]
	v_cndmask_b32_e64 v58, v58, v38, s[2:3]
	s_or_b64 s[10:11], vcc, s[10:11]
	v_cmp_eq_u32_e32 vcc, 4, v88
	v_cndmask_b32_e32 v55, v55, v43, vcc
	v_cndmask_b32_e64 v58, v58, v40, s[4:5]
	v_cmp_eq_u32_e64 s[2:3], 5, v88
	ds_read_b64 v[56:57], v54
	v_cndmask_b32_e64 v55, v55, v45, s[2:3]
	v_cndmask_b32_e32 v58, v58, v42, vcc
	v_cmp_eq_u32_e32 vcc, 6, v88
	v_cndmask_b32_e32 v55, v55, v47, vcc
	v_cndmask_b32_e64 v58, v58, v44, s[2:3]
	v_cmp_eq_u32_e64 s[2:3], 7, v88
	v_cndmask_b32_e64 v55, v55, v49, s[2:3]
	v_cmp_eq_u32_e64 s[4:5], 8, v88
	v_cndmask_b32_e32 v58, v58, v46, vcc
	v_cndmask_b32_e64 v59, v55, v51, s[4:5]
	v_cndmask_b32_e64 v55, v58, v48, s[2:3]
	v_add_co_u32_e32 v88, vcc, 1, v88
	v_cndmask_b32_e64 v58, v55, v50, s[4:5]
	v_add_u32_e32 v54, 8, v54
	v_addc_co_u32_e32 v53, vcc, 0, v53, vcc
	s_waitcnt lgkmcnt(0)
	v_fmac_f64_e32 v[84:85], v[58:59], v[56:57]
	s_andn2_b64 exec, exec, s[10:11]
	s_cbranch_execnz .LBB8_29
; %bb.30:
	s_or_b64 exec, exec, s[10:11]
.LBB8_31:
	s_or_b64 exec, exec, s[8:9]
.LBB8_32:
	s_or_b64 exec, exec, s[6:7]
	v_mov_b32_e32 v44, 0
	ds_read_b64 v[44:45], v44 offset:40
	s_waitcnt lgkmcnt(0)
	v_mul_f64 v[44:45], v[84:85], v[44:45]
.LBB8_33:
	s_or_b64 exec, exec, s[20:21]
	v_cmp_lt_u32_e64 s[2:3], 4, v0
	ds_write_b64 v87, v[42:43]
	s_waitcnt lgkmcnt(0)
	; wave barrier
	s_waitcnt lgkmcnt(0)
	s_and_saveexec_b64 s[20:21], s[2:3]
	s_cbranch_execz .LBB8_49
; %bb.34:
	s_andn2_b64 vcc, exec, s[18:19]
	s_cbranch_vccnz .LBB8_36
; %bb.35:
	v_cmp_eq_u32_e32 vcc, 1, v0
	v_cndmask_b32_e32 v84, v35, v37, vcc
	v_cmp_eq_u32_e64 s[4:5], 2, v0
	v_cndmask_b32_e64 v84, v84, v39, s[4:5]
	v_cmp_eq_u32_e64 s[6:7], 3, v0
	v_cndmask_b32_e64 v84, v84, v41, s[6:7]
	;; [unrolled: 2-line block ×7, first 2 shown]
	v_cndmask_b32_e32 v84, v34, v36, vcc
	v_cndmask_b32_e64 v84, v84, v38, s[4:5]
	v_cndmask_b32_e64 v84, v84, v40, s[6:7]
	;; [unrolled: 1-line block ×3, first 2 shown]
	ds_read_b64 v[88:89], v87
	v_cndmask_b32_e64 v84, v84, v44, s[10:11]
	v_cndmask_b32_e64 v84, v84, v46, s[12:13]
	;; [unrolled: 1-line block ×4, first 2 shown]
	s_waitcnt lgkmcnt(0)
	v_mul_f64 v[84:85], v[84:85], v[88:89]
	s_cbranch_execz .LBB8_37
	s_branch .LBB8_38
.LBB8_36:
                                        ; implicit-def: $vgpr84_vgpr85
.LBB8_37:
	ds_read_b64 v[84:85], v87
.LBB8_38:
	s_and_saveexec_b64 s[6:7], s[0:1]
	s_cbranch_execz .LBB8_48
; %bb.39:
	v_add_u32_e32 v86, -6, v0
	v_add_u32_e32 v89, -5, v0
	v_cmp_lt_u32_e32 vcc, 6, v86
	v_mov_b32_e32 v88, 5
	s_and_saveexec_b64 s[0:1], vcc
	s_cbranch_execz .LBB8_43
; %bb.40:
	v_and_b32_e32 v86, -8, v89
	v_sub_u32_e32 v86, 0, v86
	s_mov_b64 s[4:5], 12
	s_movk_i32 s10, 0x78
	s_mov_b64 s[8:9], 0
.LBB8_41:                               ; =>This Inner Loop Header: Depth=1
	s_lshl_b32 s11, s4, 1
	s_add_i32 s12, s11, -13
	v_mov_b32_e32 v104, s10
	s_add_i32 s13, s11, -14
	s_set_gpr_idx_on s12, gpr_idx(SRC0)
	v_mov_b32_e32 v99, v34
	s_set_gpr_idx_off
	s_add_i32 s14, s11, -11
	s_set_gpr_idx_on s13, gpr_idx(SRC0)
	v_mov_b32_e32 v98, v34
	s_set_gpr_idx_off
	ds_read2_b64 v[90:93], v104 offset1:1
	s_add_i32 s15, s11, -12
	s_set_gpr_idx_on s14, gpr_idx(SRC0)
	v_mov_b32_e32 v101, v34
	s_set_gpr_idx_off
	s_add_i32 s16, s11, -9
	s_set_gpr_idx_on s15, gpr_idx(SRC0)
	v_mov_b32_e32 v100, v34
	s_set_gpr_idx_off
	;; [unrolled: 4-line block ×4, first 2 shown]
	ds_read2_b64 v[94:97], v104 offset0:2 offset1:3
	s_add_i32 s23, s11, -8
	s_waitcnt lgkmcnt(1)
	v_fmac_f64_e32 v[84:85], v[98:99], v[90:91]
	s_set_gpr_idx_on s22, gpr_idx(SRC0)
	v_mov_b32_e32 v99, v34
	s_set_gpr_idx_off
	s_add_i32 s24, s11, -5
	v_fmac_f64_e32 v[84:85], v[100:101], v[92:93]
	s_set_gpr_idx_on s23, gpr_idx(SRC0)
	v_mov_b32_e32 v98, v34
	s_set_gpr_idx_off
	s_add_i32 s25, s11, -6
	s_set_gpr_idx_on s24, gpr_idx(SRC0)
	v_mov_b32_e32 v101, v34
	s_set_gpr_idx_off
	s_add_i32 s26, s11, -3
	;; [unrolled: 4-line block ×3, first 2 shown]
	ds_read2_b64 v[90:93], v104 offset0:4 offset1:5
	s_waitcnt lgkmcnt(1)
	v_fmac_f64_e32 v[84:85], v[102:103], v[94:95]
	s_set_gpr_idx_on s26, gpr_idx(SRC0)
	v_mov_b32_e32 v103, v34
	s_set_gpr_idx_off
	s_add_i32 s28, s11, -1
	v_fmac_f64_e32 v[84:85], v[98:99], v[96:97]
	s_set_gpr_idx_on s27, gpr_idx(SRC0)
	v_mov_b32_e32 v102, v34
	s_set_gpr_idx_off
	s_add_i32 s29, s11, -2
	s_set_gpr_idx_on s28, gpr_idx(SRC0)
	v_mov_b32_e32 v99, v34
	s_set_gpr_idx_off
	s_set_gpr_idx_on s29, gpr_idx(SRC0)
	v_mov_b32_e32 v98, v34
	s_set_gpr_idx_off
	ds_read2_b64 v[94:97], v104 offset0:6 offset1:7
	s_add_u32 s4, s4, 8
	s_waitcnt lgkmcnt(1)
	v_fmac_f64_e32 v[84:85], v[100:101], v[90:91]
	s_set_gpr_idx_on s11, gpr_idx(SRC0)
	v_mov_b32_e32 v91, v35
	s_set_gpr_idx_off
	v_add_u32_e32 v88, s4, v86
	v_fmac_f64_e32 v[84:85], v[102:103], v[92:93]
	s_set_gpr_idx_on s11, gpr_idx(SRC0)
	v_mov_b32_e32 v90, v34
	s_set_gpr_idx_off
	s_addc_u32 s5, s5, 0
	s_add_i32 s10, s10, 64
	s_add_i32 s12, s4, -7
	v_cmp_eq_u32_e32 vcc, 12, v88
	s_waitcnt lgkmcnt(0)
	v_fmac_f64_e32 v[84:85], v[98:99], v[94:95]
	v_mov_b32_e32 v88, s12
	s_or_b64 s[8:9], vcc, s[8:9]
	v_fmac_f64_e32 v[84:85], v[90:91], v[96:97]
	s_andn2_b64 exec, exec, s[8:9]
	s_cbranch_execnz .LBB8_41
; %bb.42:
	s_or_b64 exec, exec, s[8:9]
.LBB8_43:
	s_or_b64 exec, exec, s[0:1]
	v_and_b32_e32 v52, 7, v89
	v_cmp_ne_u32_e32 vcc, 0, v52
	s_and_saveexec_b64 s[8:9], vcc
	s_cbranch_execz .LBB8_47
; %bb.44:
	v_mov_b32_e32 v53, 0x50
	v_lshl_add_u32 v54, v88, 3, v53
	v_mov_b32_e32 v53, 0
	s_mov_b64 s[10:11], 0
.LBB8_45:                               ; =>This Inner Loop Header: Depth=1
	v_cmp_eq_u32_e32 vcc, 1, v88
	v_cndmask_b32_e32 v55, v35, v37, vcc
	v_add_u32_e32 v52, -1, v52
	v_cmp_eq_u32_e64 s[0:1], 2, v88
	v_cndmask_b32_e64 v55, v55, v39, s[0:1]
	v_cndmask_b32_e32 v58, v34, v36, vcc
	v_cmp_eq_u32_e32 vcc, 0, v52
	v_cmp_eq_u32_e64 s[4:5], 3, v88
	v_cndmask_b32_e64 v55, v55, v41, s[4:5]
	v_cndmask_b32_e64 v58, v58, v38, s[0:1]
	s_or_b64 s[10:11], vcc, s[10:11]
	v_cmp_eq_u32_e32 vcc, 4, v88
	v_cndmask_b32_e32 v55, v55, v43, vcc
	v_cndmask_b32_e64 v58, v58, v40, s[4:5]
	v_cmp_eq_u32_e64 s[0:1], 5, v88
	ds_read_b64 v[56:57], v54
	v_cndmask_b32_e64 v55, v55, v45, s[0:1]
	v_cndmask_b32_e32 v58, v58, v42, vcc
	v_cmp_eq_u32_e32 vcc, 6, v88
	v_cndmask_b32_e32 v55, v55, v47, vcc
	v_cndmask_b32_e64 v58, v58, v44, s[0:1]
	v_cmp_eq_u32_e64 s[0:1], 7, v88
	v_cndmask_b32_e64 v55, v55, v49, s[0:1]
	v_cmp_eq_u32_e64 s[4:5], 8, v88
	v_cndmask_b32_e32 v58, v58, v46, vcc
	v_cndmask_b32_e64 v59, v55, v51, s[4:5]
	v_cndmask_b32_e64 v55, v58, v48, s[0:1]
	v_add_co_u32_e32 v88, vcc, 1, v88
	v_cndmask_b32_e64 v58, v55, v50, s[4:5]
	v_add_u32_e32 v54, 8, v54
	v_addc_co_u32_e32 v53, vcc, 0, v53, vcc
	s_waitcnt lgkmcnt(0)
	v_fmac_f64_e32 v[84:85], v[58:59], v[56:57]
	s_andn2_b64 exec, exec, s[10:11]
	s_cbranch_execnz .LBB8_45
; %bb.46:
	s_or_b64 exec, exec, s[10:11]
.LBB8_47:
	s_or_b64 exec, exec, s[8:9]
.LBB8_48:
	s_or_b64 exec, exec, s[6:7]
	v_mov_b32_e32 v42, 0
	ds_read_b64 v[42:43], v42 offset:32
	s_waitcnt lgkmcnt(0)
	v_mul_f64 v[42:43], v[84:85], v[42:43]
.LBB8_49:
	s_or_b64 exec, exec, s[20:21]
	v_cmp_lt_u32_e64 s[0:1], 3, v0
	ds_write_b64 v87, v[40:41]
	s_waitcnt lgkmcnt(0)
	; wave barrier
	s_waitcnt lgkmcnt(0)
	s_and_saveexec_b64 s[20:21], s[0:1]
	s_cbranch_execz .LBB8_65
; %bb.50:
	s_andn2_b64 vcc, exec, s[18:19]
	s_cbranch_vccnz .LBB8_52
; %bb.51:
	v_cmp_eq_u32_e32 vcc, 1, v0
	v_cndmask_b32_e32 v84, v35, v37, vcc
	v_cmp_eq_u32_e64 s[4:5], 2, v0
	v_cndmask_b32_e64 v84, v84, v39, s[4:5]
	v_cmp_eq_u32_e64 s[6:7], 3, v0
	v_cndmask_b32_e64 v84, v84, v41, s[6:7]
	;; [unrolled: 2-line block ×7, first 2 shown]
	v_cndmask_b32_e32 v84, v34, v36, vcc
	v_cndmask_b32_e64 v84, v84, v38, s[4:5]
	v_cndmask_b32_e64 v84, v84, v40, s[6:7]
	;; [unrolled: 1-line block ×3, first 2 shown]
	ds_read_b64 v[88:89], v87
	v_cndmask_b32_e64 v84, v84, v44, s[10:11]
	v_cndmask_b32_e64 v84, v84, v46, s[12:13]
	;; [unrolled: 1-line block ×4, first 2 shown]
	s_waitcnt lgkmcnt(0)
	v_mul_f64 v[84:85], v[84:85], v[88:89]
	s_cbranch_execz .LBB8_53
	s_branch .LBB8_54
.LBB8_52:
                                        ; implicit-def: $vgpr84_vgpr85
.LBB8_53:
	ds_read_b64 v[84:85], v87
.LBB8_54:
	s_and_saveexec_b64 s[6:7], s[2:3]
	s_cbranch_execz .LBB8_64
; %bb.55:
	v_add_u32_e32 v86, -5, v0
	v_add_u32_e32 v89, -4, v0
	v_cmp_lt_u32_e32 vcc, 6, v86
	v_mov_b32_e32 v88, 4
	s_and_saveexec_b64 s[2:3], vcc
	s_cbranch_execz .LBB8_59
; %bb.56:
	v_and_b32_e32 v86, -8, v89
	v_sub_u32_e32 v86, 0, v86
	s_mov_b64 s[4:5], 5
	s_movk_i32 s10, 0x70
	s_mov_b64 s[8:9], 0
.LBB8_57:                               ; =>This Inner Loop Header: Depth=1
	s_lshl_b32 s11, s4, 1
	s_add_i32 s12, s11, -1
	s_add_i32 s13, s11, -2
	s_set_gpr_idx_on s12, gpr_idx(SRC0)
	v_mov_b32_e32 v107, v34
	s_set_gpr_idx_off
	v_mov_b32_e32 v88, s10
	s_set_gpr_idx_on s13, gpr_idx(SRC0)
	v_mov_b32_e32 v106, v34
	s_set_gpr_idx_off
	ds_read_b128 v[90:93], v88
	ds_read_b128 v[94:97], v88 offset:16
	ds_read_b128 v[98:101], v88 offset:32
	;; [unrolled: 1-line block ×3, first 2 shown]
	s_set_gpr_idx_on s11, gpr_idx(SRC0)
	v_mov_b32_e32 v109, v35
	s_add_i32 s14, s11, 3
	v_mov_b32_e32 v108, v34
	s_set_gpr_idx_off
	s_add_i32 s15, s11, 2
	s_set_gpr_idx_on s14, gpr_idx(SRC0)
	v_mov_b32_e32 v111, v34
	s_set_gpr_idx_off
	s_add_i32 s16, s11, 5
	s_set_gpr_idx_on s15, gpr_idx(SRC0)
	v_mov_b32_e32 v110, v34
	s_set_gpr_idx_off
	s_add_i32 s17, s11, 4
	s_waitcnt lgkmcnt(3)
	v_fmac_f64_e32 v[84:85], v[106:107], v[90:91]
	s_set_gpr_idx_on s16, gpr_idx(SRC0)
	v_mov_b32_e32 v91, v34
	s_set_gpr_idx_off
	s_add_i32 s22, s11, 7
	v_fmac_f64_e32 v[84:85], v[108:109], v[92:93]
	s_set_gpr_idx_on s17, gpr_idx(SRC0)
	v_mov_b32_e32 v90, v34
	s_set_gpr_idx_off
	s_add_i32 s23, s11, 6
	s_waitcnt lgkmcnt(2)
	v_fmac_f64_e32 v[84:85], v[110:111], v[94:95]
	s_set_gpr_idx_on s22, gpr_idx(SRC0)
	v_mov_b32_e32 v93, v34
	s_set_gpr_idx_off
	s_add_i32 s24, s11, 9
	v_fmac_f64_e32 v[84:85], v[90:91], v[96:97]
	s_set_gpr_idx_on s23, gpr_idx(SRC0)
	v_mov_b32_e32 v92, v34
	s_set_gpr_idx_off
	s_add_i32 s25, s11, 8
	s_waitcnt lgkmcnt(1)
	v_fmac_f64_e32 v[84:85], v[92:93], v[98:99]
	s_set_gpr_idx_on s24, gpr_idx(SRC0)
	v_mov_b32_e32 v91, v34
	s_set_gpr_idx_off
	s_add_i32 s26, s11, 11
	s_set_gpr_idx_on s25, gpr_idx(SRC0)
	v_mov_b32_e32 v90, v34
	s_set_gpr_idx_off
	s_add_i32 s27, s11, 10
	s_add_i32 s28, s11, 13
	;; [unrolled: 1-line block ×3, first 2 shown]
	v_fmac_f64_e32 v[84:85], v[90:91], v[100:101]
	s_set_gpr_idx_on s26, gpr_idx(SRC0)
	v_mov_b32_e32 v91, v34
	s_set_gpr_idx_off
	s_add_u32 s4, s4, 8
	s_set_gpr_idx_on s27, gpr_idx(SRC0)
	v_mov_b32_e32 v90, v34
	s_set_gpr_idx_off
	v_add_u32_e32 v88, s4, v86
	s_waitcnt lgkmcnt(0)
	v_fmac_f64_e32 v[84:85], v[90:91], v[102:103]
	s_set_gpr_idx_on s28, gpr_idx(SRC0)
	v_mov_b32_e32 v91, v34
	s_set_gpr_idx_off
	s_addc_u32 s5, s5, 0
	s_add_i32 s10, s10, 64
	s_add_i32 s12, s4, -1
	v_cmp_eq_u32_e32 vcc, 5, v88
	s_set_gpr_idx_on s29, gpr_idx(SRC0)
	v_mov_b32_e32 v90, v34
	s_set_gpr_idx_off
	v_mov_b32_e32 v88, s12
	s_or_b64 s[8:9], vcc, s[8:9]
	v_fmac_f64_e32 v[84:85], v[90:91], v[104:105]
	s_andn2_b64 exec, exec, s[8:9]
	s_cbranch_execnz .LBB8_57
; %bb.58:
	s_or_b64 exec, exec, s[8:9]
.LBB8_59:
	s_or_b64 exec, exec, s[2:3]
	v_and_b32_e32 v52, 7, v89
	v_cmp_ne_u32_e32 vcc, 0, v52
	s_and_saveexec_b64 s[8:9], vcc
	s_cbranch_execz .LBB8_63
; %bb.60:
	v_mov_b32_e32 v53, 0x50
	v_lshl_add_u32 v54, v88, 3, v53
	v_mov_b32_e32 v53, 0
	s_mov_b64 s[10:11], 0
.LBB8_61:                               ; =>This Inner Loop Header: Depth=1
	v_cmp_eq_u32_e32 vcc, 1, v88
	v_cndmask_b32_e32 v55, v35, v37, vcc
	v_add_u32_e32 v52, -1, v52
	v_cmp_eq_u32_e64 s[2:3], 2, v88
	v_cndmask_b32_e64 v55, v55, v39, s[2:3]
	v_cndmask_b32_e32 v58, v34, v36, vcc
	v_cmp_eq_u32_e32 vcc, 0, v52
	v_cmp_eq_u32_e64 s[4:5], 3, v88
	v_cndmask_b32_e64 v55, v55, v41, s[4:5]
	v_cndmask_b32_e64 v58, v58, v38, s[2:3]
	s_or_b64 s[10:11], vcc, s[10:11]
	v_cmp_eq_u32_e32 vcc, 4, v88
	v_cndmask_b32_e32 v55, v55, v43, vcc
	v_cndmask_b32_e64 v58, v58, v40, s[4:5]
	v_cmp_eq_u32_e64 s[2:3], 5, v88
	ds_read_b64 v[56:57], v54
	v_cndmask_b32_e64 v55, v55, v45, s[2:3]
	v_cndmask_b32_e32 v58, v58, v42, vcc
	v_cmp_eq_u32_e32 vcc, 6, v88
	v_cndmask_b32_e32 v55, v55, v47, vcc
	v_cndmask_b32_e64 v58, v58, v44, s[2:3]
	v_cmp_eq_u32_e64 s[2:3], 7, v88
	v_cndmask_b32_e64 v55, v55, v49, s[2:3]
	v_cmp_eq_u32_e64 s[4:5], 8, v88
	v_cndmask_b32_e32 v58, v58, v46, vcc
	v_cndmask_b32_e64 v59, v55, v51, s[4:5]
	v_cndmask_b32_e64 v55, v58, v48, s[2:3]
	v_add_co_u32_e32 v88, vcc, 1, v88
	v_cndmask_b32_e64 v58, v55, v50, s[4:5]
	v_add_u32_e32 v54, 8, v54
	v_addc_co_u32_e32 v53, vcc, 0, v53, vcc
	s_waitcnt lgkmcnt(0)
	v_fmac_f64_e32 v[84:85], v[58:59], v[56:57]
	s_andn2_b64 exec, exec, s[10:11]
	s_cbranch_execnz .LBB8_61
; %bb.62:
	s_or_b64 exec, exec, s[10:11]
.LBB8_63:
	s_or_b64 exec, exec, s[8:9]
.LBB8_64:
	s_or_b64 exec, exec, s[6:7]
	v_mov_b32_e32 v40, 0
	ds_read_b64 v[40:41], v40 offset:24
	s_waitcnt lgkmcnt(0)
	v_mul_f64 v[40:41], v[84:85], v[40:41]
.LBB8_65:
	s_or_b64 exec, exec, s[20:21]
	v_cmp_lt_u32_e64 s[2:3], 2, v0
	ds_write_b64 v87, v[38:39]
	s_waitcnt lgkmcnt(0)
	; wave barrier
	s_waitcnt lgkmcnt(0)
	s_and_saveexec_b64 s[20:21], s[2:3]
	s_cbranch_execz .LBB8_81
; %bb.66:
	s_andn2_b64 vcc, exec, s[18:19]
	s_cbranch_vccnz .LBB8_68
; %bb.67:
	v_cmp_eq_u32_e32 vcc, 1, v0
	v_cndmask_b32_e32 v84, v35, v37, vcc
	v_cmp_eq_u32_e64 s[4:5], 2, v0
	v_cndmask_b32_e64 v84, v84, v39, s[4:5]
	v_cmp_eq_u32_e64 s[6:7], 3, v0
	v_cndmask_b32_e64 v84, v84, v41, s[6:7]
	;; [unrolled: 2-line block ×7, first 2 shown]
	v_cndmask_b32_e32 v84, v34, v36, vcc
	v_cndmask_b32_e64 v84, v84, v38, s[4:5]
	v_cndmask_b32_e64 v84, v84, v40, s[6:7]
	;; [unrolled: 1-line block ×3, first 2 shown]
	ds_read_b64 v[88:89], v87
	v_cndmask_b32_e64 v84, v84, v44, s[10:11]
	v_cndmask_b32_e64 v84, v84, v46, s[12:13]
	;; [unrolled: 1-line block ×4, first 2 shown]
	s_waitcnt lgkmcnt(0)
	v_mul_f64 v[84:85], v[84:85], v[88:89]
	s_cbranch_execz .LBB8_69
	s_branch .LBB8_70
.LBB8_68:
                                        ; implicit-def: $vgpr84_vgpr85
.LBB8_69:
	ds_read_b64 v[84:85], v87
.LBB8_70:
	s_and_saveexec_b64 s[6:7], s[0:1]
	s_cbranch_execz .LBB8_80
; %bb.71:
	v_add_u32_e32 v86, -4, v0
	v_add_u32_e32 v89, -3, v0
	v_cmp_lt_u32_e32 vcc, 6, v86
	v_mov_b32_e32 v88, 3
	s_and_saveexec_b64 s[0:1], vcc
	s_cbranch_execz .LBB8_75
; %bb.72:
	v_and_b32_e32 v86, -8, v89
	v_sub_u32_e32 v86, 0, v86
	s_mov_b64 s[4:5], 10
	s_movk_i32 s10, 0x68
	s_mov_b64 s[8:9], 0
.LBB8_73:                               ; =>This Inner Loop Header: Depth=1
	s_lshl_b32 s11, s4, 1
	s_add_i32 s12, s11, -13
	v_mov_b32_e32 v104, s10
	s_add_i32 s13, s11, -14
	s_set_gpr_idx_on s12, gpr_idx(SRC0)
	v_mov_b32_e32 v99, v34
	s_set_gpr_idx_off
	s_add_i32 s14, s11, -11
	s_set_gpr_idx_on s13, gpr_idx(SRC0)
	v_mov_b32_e32 v98, v34
	s_set_gpr_idx_off
	ds_read2_b64 v[90:93], v104 offset1:1
	s_add_i32 s15, s11, -12
	s_set_gpr_idx_on s14, gpr_idx(SRC0)
	v_mov_b32_e32 v101, v34
	s_set_gpr_idx_off
	s_add_i32 s16, s11, -9
	s_set_gpr_idx_on s15, gpr_idx(SRC0)
	v_mov_b32_e32 v100, v34
	s_set_gpr_idx_off
	;; [unrolled: 4-line block ×4, first 2 shown]
	ds_read2_b64 v[94:97], v104 offset0:2 offset1:3
	s_add_i32 s23, s11, -8
	s_waitcnt lgkmcnt(1)
	v_fmac_f64_e32 v[84:85], v[98:99], v[90:91]
	s_set_gpr_idx_on s22, gpr_idx(SRC0)
	v_mov_b32_e32 v99, v34
	s_set_gpr_idx_off
	s_add_i32 s24, s11, -5
	v_fmac_f64_e32 v[84:85], v[100:101], v[92:93]
	s_set_gpr_idx_on s23, gpr_idx(SRC0)
	v_mov_b32_e32 v98, v34
	s_set_gpr_idx_off
	s_add_i32 s25, s11, -6
	s_set_gpr_idx_on s24, gpr_idx(SRC0)
	v_mov_b32_e32 v101, v34
	s_set_gpr_idx_off
	s_add_i32 s26, s11, -3
	;; [unrolled: 4-line block ×3, first 2 shown]
	ds_read2_b64 v[90:93], v104 offset0:4 offset1:5
	s_waitcnt lgkmcnt(1)
	v_fmac_f64_e32 v[84:85], v[102:103], v[94:95]
	s_set_gpr_idx_on s26, gpr_idx(SRC0)
	v_mov_b32_e32 v103, v34
	s_set_gpr_idx_off
	s_add_i32 s28, s11, -1
	v_fmac_f64_e32 v[84:85], v[98:99], v[96:97]
	s_set_gpr_idx_on s27, gpr_idx(SRC0)
	v_mov_b32_e32 v102, v34
	s_set_gpr_idx_off
	s_add_i32 s29, s11, -2
	s_set_gpr_idx_on s28, gpr_idx(SRC0)
	v_mov_b32_e32 v99, v34
	s_set_gpr_idx_off
	s_set_gpr_idx_on s29, gpr_idx(SRC0)
	v_mov_b32_e32 v98, v34
	s_set_gpr_idx_off
	ds_read2_b64 v[94:97], v104 offset0:6 offset1:7
	s_add_u32 s4, s4, 8
	s_waitcnt lgkmcnt(1)
	v_fmac_f64_e32 v[84:85], v[100:101], v[90:91]
	s_set_gpr_idx_on s11, gpr_idx(SRC0)
	v_mov_b32_e32 v91, v35
	s_set_gpr_idx_off
	v_add_u32_e32 v88, s4, v86
	v_fmac_f64_e32 v[84:85], v[102:103], v[92:93]
	s_set_gpr_idx_on s11, gpr_idx(SRC0)
	v_mov_b32_e32 v90, v34
	s_set_gpr_idx_off
	s_addc_u32 s5, s5, 0
	s_add_i32 s10, s10, 64
	s_add_i32 s12, s4, -7
	v_cmp_eq_u32_e32 vcc, 10, v88
	s_waitcnt lgkmcnt(0)
	v_fmac_f64_e32 v[84:85], v[98:99], v[94:95]
	v_mov_b32_e32 v88, s12
	s_or_b64 s[8:9], vcc, s[8:9]
	v_fmac_f64_e32 v[84:85], v[90:91], v[96:97]
	s_andn2_b64 exec, exec, s[8:9]
	s_cbranch_execnz .LBB8_73
; %bb.74:
	s_or_b64 exec, exec, s[8:9]
.LBB8_75:
	s_or_b64 exec, exec, s[0:1]
	v_and_b32_e32 v52, 7, v89
	v_cmp_ne_u32_e32 vcc, 0, v52
	s_and_saveexec_b64 s[8:9], vcc
	s_cbranch_execz .LBB8_79
; %bb.76:
	v_mov_b32_e32 v53, 0x50
	v_lshl_add_u32 v54, v88, 3, v53
	v_mov_b32_e32 v53, 0
	s_mov_b64 s[10:11], 0
.LBB8_77:                               ; =>This Inner Loop Header: Depth=1
	v_cmp_eq_u32_e32 vcc, 1, v88
	v_cndmask_b32_e32 v55, v35, v37, vcc
	v_add_u32_e32 v52, -1, v52
	v_cmp_eq_u32_e64 s[0:1], 2, v88
	v_cndmask_b32_e64 v55, v55, v39, s[0:1]
	v_cndmask_b32_e32 v58, v34, v36, vcc
	v_cmp_eq_u32_e32 vcc, 0, v52
	v_cmp_eq_u32_e64 s[4:5], 3, v88
	v_cndmask_b32_e64 v55, v55, v41, s[4:5]
	v_cndmask_b32_e64 v58, v58, v38, s[0:1]
	s_or_b64 s[10:11], vcc, s[10:11]
	v_cmp_eq_u32_e32 vcc, 4, v88
	v_cndmask_b32_e32 v55, v55, v43, vcc
	v_cndmask_b32_e64 v58, v58, v40, s[4:5]
	v_cmp_eq_u32_e64 s[0:1], 5, v88
	ds_read_b64 v[56:57], v54
	v_cndmask_b32_e64 v55, v55, v45, s[0:1]
	v_cndmask_b32_e32 v58, v58, v42, vcc
	v_cmp_eq_u32_e32 vcc, 6, v88
	v_cndmask_b32_e32 v55, v55, v47, vcc
	v_cndmask_b32_e64 v58, v58, v44, s[0:1]
	v_cmp_eq_u32_e64 s[0:1], 7, v88
	v_cndmask_b32_e64 v55, v55, v49, s[0:1]
	v_cmp_eq_u32_e64 s[4:5], 8, v88
	v_cndmask_b32_e32 v58, v58, v46, vcc
	v_cndmask_b32_e64 v59, v55, v51, s[4:5]
	v_cndmask_b32_e64 v55, v58, v48, s[0:1]
	v_add_co_u32_e32 v88, vcc, 1, v88
	v_cndmask_b32_e64 v58, v55, v50, s[4:5]
	v_add_u32_e32 v54, 8, v54
	v_addc_co_u32_e32 v53, vcc, 0, v53, vcc
	s_waitcnt lgkmcnt(0)
	v_fmac_f64_e32 v[84:85], v[58:59], v[56:57]
	s_andn2_b64 exec, exec, s[10:11]
	s_cbranch_execnz .LBB8_77
; %bb.78:
	s_or_b64 exec, exec, s[10:11]
.LBB8_79:
	s_or_b64 exec, exec, s[8:9]
.LBB8_80:
	s_or_b64 exec, exec, s[6:7]
	v_mov_b32_e32 v38, 0
	ds_read_b64 v[38:39], v38 offset:16
	s_waitcnt lgkmcnt(0)
	v_mul_f64 v[38:39], v[84:85], v[38:39]
.LBB8_81:
	s_or_b64 exec, exec, s[20:21]
	v_cmp_lt_u32_e64 s[0:1], 1, v0
	ds_write_b64 v87, v[36:37]
	s_waitcnt lgkmcnt(0)
	; wave barrier
	s_waitcnt lgkmcnt(0)
	s_and_saveexec_b64 s[20:21], s[0:1]
	s_cbranch_execz .LBB8_97
; %bb.82:
	s_andn2_b64 vcc, exec, s[18:19]
	s_cbranch_vccnz .LBB8_84
; %bb.83:
	v_cmp_eq_u32_e32 vcc, 1, v0
	v_cndmask_b32_e32 v84, v35, v37, vcc
	v_cmp_eq_u32_e64 s[4:5], 2, v0
	v_cndmask_b32_e64 v84, v84, v39, s[4:5]
	v_cmp_eq_u32_e64 s[6:7], 3, v0
	v_cndmask_b32_e64 v84, v84, v41, s[6:7]
	;; [unrolled: 2-line block ×7, first 2 shown]
	v_cndmask_b32_e32 v84, v34, v36, vcc
	v_cndmask_b32_e64 v84, v84, v38, s[4:5]
	v_cndmask_b32_e64 v84, v84, v40, s[6:7]
	;; [unrolled: 1-line block ×3, first 2 shown]
	ds_read_b64 v[88:89], v87
	v_cndmask_b32_e64 v84, v84, v44, s[10:11]
	v_cndmask_b32_e64 v84, v84, v46, s[12:13]
	;; [unrolled: 1-line block ×4, first 2 shown]
	s_waitcnt lgkmcnt(0)
	v_mul_f64 v[84:85], v[84:85], v[88:89]
	s_cbranch_execz .LBB8_85
	s_branch .LBB8_86
.LBB8_84:
                                        ; implicit-def: $vgpr84_vgpr85
.LBB8_85:
	ds_read_b64 v[84:85], v87
.LBB8_86:
	s_and_saveexec_b64 s[6:7], s[2:3]
	s_cbranch_execz .LBB8_96
; %bb.87:
	v_add_u32_e32 v86, -3, v0
	v_add_u32_e32 v89, -2, v0
	v_cmp_lt_u32_e32 vcc, 6, v86
	v_mov_b32_e32 v88, 2
	s_and_saveexec_b64 s[2:3], vcc
	s_cbranch_execz .LBB8_91
; %bb.88:
	v_and_b32_e32 v86, -8, v89
	v_sub_u32_e32 v86, 0, v86
	s_mov_b64 s[4:5], 9
	s_movk_i32 s10, 0x60
	s_mov_b64 s[8:9], 0
.LBB8_89:                               ; =>This Inner Loop Header: Depth=1
	s_lshl_b32 s11, s4, 1
	s_add_i32 s12, s11, -13
	s_add_i32 s13, s11, -14
	s_set_gpr_idx_on s12, gpr_idx(SRC0)
	v_mov_b32_e32 v107, v34
	s_set_gpr_idx_off
	v_mov_b32_e32 v88, s10
	s_add_i32 s14, s11, -11
	s_set_gpr_idx_on s13, gpr_idx(SRC0)
	v_mov_b32_e32 v106, v34
	s_set_gpr_idx_off
	s_add_i32 s15, s11, -12
	ds_read_b128 v[90:93], v88
	ds_read_b128 v[94:97], v88 offset:16
	ds_read_b128 v[98:101], v88 offset:32
	;; [unrolled: 1-line block ×3, first 2 shown]
	s_set_gpr_idx_on s14, gpr_idx(SRC0)
	v_mov_b32_e32 v109, v34
	s_set_gpr_idx_off
	s_add_i32 s16, s11, -9
	s_set_gpr_idx_on s15, gpr_idx(SRC0)
	v_mov_b32_e32 v108, v34
	s_set_gpr_idx_off
	s_add_i32 s17, s11, -10
	;; [unrolled: 4-line block ×4, first 2 shown]
	s_waitcnt lgkmcnt(3)
	v_fmac_f64_e32 v[84:85], v[106:107], v[90:91]
	s_set_gpr_idx_on s22, gpr_idx(SRC0)
	v_mov_b32_e32 v91, v34
	s_set_gpr_idx_off
	s_add_i32 s24, s11, -5
	v_fmac_f64_e32 v[84:85], v[108:109], v[92:93]
	s_set_gpr_idx_on s23, gpr_idx(SRC0)
	v_mov_b32_e32 v90, v34
	s_set_gpr_idx_off
	s_add_i32 s25, s11, -6
	s_waitcnt lgkmcnt(2)
	v_fmac_f64_e32 v[84:85], v[110:111], v[94:95]
	s_set_gpr_idx_on s24, gpr_idx(SRC0)
	v_mov_b32_e32 v93, v34
	s_set_gpr_idx_off
	s_add_i32 s26, s11, -3
	v_fmac_f64_e32 v[84:85], v[90:91], v[96:97]
	s_set_gpr_idx_on s25, gpr_idx(SRC0)
	v_mov_b32_e32 v92, v34
	s_set_gpr_idx_off
	s_add_i32 s27, s11, -4
	s_waitcnt lgkmcnt(1)
	v_fmac_f64_e32 v[84:85], v[92:93], v[98:99]
	s_set_gpr_idx_on s26, gpr_idx(SRC0)
	v_mov_b32_e32 v91, v34
	s_set_gpr_idx_off
	s_add_i32 s28, s11, -1
	s_set_gpr_idx_on s27, gpr_idx(SRC0)
	v_mov_b32_e32 v90, v34
	s_set_gpr_idx_off
	s_add_i32 s29, s11, -2
	v_fmac_f64_e32 v[84:85], v[90:91], v[100:101]
	s_set_gpr_idx_on s28, gpr_idx(SRC0)
	v_mov_b32_e32 v91, v34
	s_set_gpr_idx_off
	s_add_u32 s4, s4, 8
	s_set_gpr_idx_on s29, gpr_idx(SRC0)
	v_mov_b32_e32 v90, v34
	s_set_gpr_idx_off
	v_add_u32_e32 v88, s4, v86
	s_waitcnt lgkmcnt(0)
	v_fmac_f64_e32 v[84:85], v[90:91], v[102:103]
	s_set_gpr_idx_on s11, gpr_idx(SRC0)
	v_mov_b32_e32 v91, v35
	s_set_gpr_idx_off
	s_addc_u32 s5, s5, 0
	s_add_i32 s10, s10, 64
	s_add_i32 s12, s4, -7
	v_cmp_eq_u32_e32 vcc, 9, v88
	s_set_gpr_idx_on s11, gpr_idx(SRC0)
	v_mov_b32_e32 v90, v34
	s_set_gpr_idx_off
	v_mov_b32_e32 v88, s12
	s_or_b64 s[8:9], vcc, s[8:9]
	v_fmac_f64_e32 v[84:85], v[90:91], v[104:105]
	s_andn2_b64 exec, exec, s[8:9]
	s_cbranch_execnz .LBB8_89
; %bb.90:
	s_or_b64 exec, exec, s[8:9]
.LBB8_91:
	s_or_b64 exec, exec, s[2:3]
	v_and_b32_e32 v52, 7, v89
	v_cmp_ne_u32_e32 vcc, 0, v52
	s_and_saveexec_b64 s[8:9], vcc
	s_cbranch_execz .LBB8_95
; %bb.92:
	v_mov_b32_e32 v53, 0x50
	v_lshl_add_u32 v54, v88, 3, v53
	v_mov_b32_e32 v53, 0
	s_mov_b64 s[10:11], 0
.LBB8_93:                               ; =>This Inner Loop Header: Depth=1
	v_cmp_eq_u32_e32 vcc, 1, v88
	v_cndmask_b32_e32 v55, v35, v37, vcc
	v_add_u32_e32 v52, -1, v52
	v_cmp_eq_u32_e64 s[2:3], 2, v88
	v_cndmask_b32_e64 v55, v55, v39, s[2:3]
	v_cndmask_b32_e32 v58, v34, v36, vcc
	v_cmp_eq_u32_e32 vcc, 0, v52
	v_cmp_eq_u32_e64 s[4:5], 3, v88
	v_cndmask_b32_e64 v55, v55, v41, s[4:5]
	v_cndmask_b32_e64 v58, v58, v38, s[2:3]
	s_or_b64 s[10:11], vcc, s[10:11]
	v_cmp_eq_u32_e32 vcc, 4, v88
	v_cndmask_b32_e32 v55, v55, v43, vcc
	v_cndmask_b32_e64 v58, v58, v40, s[4:5]
	v_cmp_eq_u32_e64 s[2:3], 5, v88
	ds_read_b64 v[56:57], v54
	v_cndmask_b32_e64 v55, v55, v45, s[2:3]
	v_cndmask_b32_e32 v58, v58, v42, vcc
	v_cmp_eq_u32_e32 vcc, 6, v88
	v_cndmask_b32_e32 v55, v55, v47, vcc
	v_cndmask_b32_e64 v58, v58, v44, s[2:3]
	v_cmp_eq_u32_e64 s[2:3], 7, v88
	v_cndmask_b32_e64 v55, v55, v49, s[2:3]
	v_cmp_eq_u32_e64 s[4:5], 8, v88
	v_cndmask_b32_e32 v58, v58, v46, vcc
	v_cndmask_b32_e64 v59, v55, v51, s[4:5]
	v_cndmask_b32_e64 v55, v58, v48, s[2:3]
	v_add_co_u32_e32 v88, vcc, 1, v88
	v_cndmask_b32_e64 v58, v55, v50, s[4:5]
	v_add_u32_e32 v54, 8, v54
	v_addc_co_u32_e32 v53, vcc, 0, v53, vcc
	s_waitcnt lgkmcnt(0)
	v_fmac_f64_e32 v[84:85], v[58:59], v[56:57]
	s_andn2_b64 exec, exec, s[10:11]
	s_cbranch_execnz .LBB8_93
; %bb.94:
	s_or_b64 exec, exec, s[10:11]
.LBB8_95:
	s_or_b64 exec, exec, s[8:9]
.LBB8_96:
	s_or_b64 exec, exec, s[6:7]
	v_mov_b32_e32 v36, 0
	ds_read_b64 v[36:37], v36 offset:8
	s_waitcnt lgkmcnt(0)
	v_mul_f64 v[36:37], v[84:85], v[36:37]
.LBB8_97:
	s_or_b64 exec, exec, s[20:21]
	v_cmp_ne_u32_e32 vcc, 0, v0
	ds_write_b64 v87, v[34:35]
	s_waitcnt lgkmcnt(0)
	; wave barrier
	s_waitcnt lgkmcnt(0)
	s_and_saveexec_b64 s[16:17], vcc
	s_cbranch_execz .LBB8_113
; %bb.98:
	s_andn2_b64 vcc, exec, s[18:19]
	s_cbranch_vccnz .LBB8_100
; %bb.99:
	v_cmp_eq_u32_e32 vcc, 1, v0
	v_cndmask_b32_e32 v84, v35, v37, vcc
	v_cmp_eq_u32_e64 s[2:3], 2, v0
	v_cndmask_b32_e64 v84, v84, v39, s[2:3]
	v_cmp_eq_u32_e64 s[4:5], 3, v0
	v_cndmask_b32_e64 v84, v84, v41, s[4:5]
	;; [unrolled: 2-line block ×7, first 2 shown]
	v_cndmask_b32_e32 v84, v34, v36, vcc
	v_cndmask_b32_e64 v84, v84, v38, s[2:3]
	v_cndmask_b32_e64 v84, v84, v40, s[4:5]
	;; [unrolled: 1-line block ×3, first 2 shown]
	ds_read_b64 v[88:89], v87
	v_cndmask_b32_e64 v84, v84, v44, s[8:9]
	v_cndmask_b32_e64 v84, v84, v46, s[10:11]
	;; [unrolled: 1-line block ×4, first 2 shown]
	s_waitcnt lgkmcnt(0)
	v_mul_f64 v[84:85], v[84:85], v[88:89]
	s_cbranch_execz .LBB8_101
	s_branch .LBB8_102
.LBB8_100:
                                        ; implicit-def: $vgpr84_vgpr85
.LBB8_101:
	ds_read_b64 v[84:85], v87
.LBB8_102:
	s_and_saveexec_b64 s[4:5], s[0:1]
	s_cbranch_execz .LBB8_112
; %bb.103:
	v_add_u32_e32 v86, -2, v0
	v_add_u32_e32 v89, -1, v0
	v_cmp_lt_u32_e32 vcc, 6, v86
	v_mov_b32_e32 v88, 1
	s_and_saveexec_b64 s[0:1], vcc
	s_cbranch_execz .LBB8_107
; %bb.104:
	v_and_b32_e32 v86, -8, v89
	v_sub_u32_e32 v86, 0, v86
	s_mov_b64 s[2:3], 8
	s_movk_i32 s8, 0x58
	s_mov_b64 s[6:7], 0
.LBB8_105:                              ; =>This Inner Loop Header: Depth=1
	s_lshl_b32 s9, s2, 1
	s_add_i32 s10, s9, -13
	v_mov_b32_e32 v104, s8
	s_add_i32 s11, s9, -14
	s_set_gpr_idx_on s10, gpr_idx(SRC0)
	v_mov_b32_e32 v99, v34
	s_set_gpr_idx_off
	s_add_i32 s12, s9, -11
	s_set_gpr_idx_on s11, gpr_idx(SRC0)
	v_mov_b32_e32 v98, v34
	s_set_gpr_idx_off
	ds_read2_b64 v[90:93], v104 offset1:1
	s_add_i32 s13, s9, -12
	s_set_gpr_idx_on s12, gpr_idx(SRC0)
	v_mov_b32_e32 v101, v34
	s_set_gpr_idx_off
	s_add_i32 s14, s9, -9
	s_set_gpr_idx_on s13, gpr_idx(SRC0)
	v_mov_b32_e32 v100, v34
	s_set_gpr_idx_off
	;; [unrolled: 4-line block ×4, first 2 shown]
	ds_read2_b64 v[94:97], v104 offset0:2 offset1:3
	s_add_i32 s21, s9, -8
	s_waitcnt lgkmcnt(1)
	v_fmac_f64_e32 v[84:85], v[98:99], v[90:91]
	s_set_gpr_idx_on s20, gpr_idx(SRC0)
	v_mov_b32_e32 v99, v34
	s_set_gpr_idx_off
	s_add_i32 s22, s9, -5
	v_fmac_f64_e32 v[84:85], v[100:101], v[92:93]
	s_set_gpr_idx_on s21, gpr_idx(SRC0)
	v_mov_b32_e32 v98, v34
	s_set_gpr_idx_off
	s_add_i32 s23, s9, -6
	s_set_gpr_idx_on s22, gpr_idx(SRC0)
	v_mov_b32_e32 v101, v34
	s_set_gpr_idx_off
	s_add_i32 s24, s9, -3
	;; [unrolled: 4-line block ×3, first 2 shown]
	ds_read2_b64 v[90:93], v104 offset0:4 offset1:5
	s_waitcnt lgkmcnt(1)
	v_fmac_f64_e32 v[84:85], v[102:103], v[94:95]
	s_set_gpr_idx_on s24, gpr_idx(SRC0)
	v_mov_b32_e32 v103, v34
	s_set_gpr_idx_off
	s_add_i32 s26, s9, -1
	v_fmac_f64_e32 v[84:85], v[98:99], v[96:97]
	s_set_gpr_idx_on s25, gpr_idx(SRC0)
	v_mov_b32_e32 v102, v34
	s_set_gpr_idx_off
	s_add_i32 s27, s9, -2
	s_set_gpr_idx_on s26, gpr_idx(SRC0)
	v_mov_b32_e32 v99, v34
	s_set_gpr_idx_off
	s_set_gpr_idx_on s27, gpr_idx(SRC0)
	v_mov_b32_e32 v98, v34
	s_set_gpr_idx_off
	ds_read2_b64 v[94:97], v104 offset0:6 offset1:7
	s_add_u32 s2, s2, 8
	s_waitcnt lgkmcnt(1)
	v_fmac_f64_e32 v[84:85], v[100:101], v[90:91]
	s_set_gpr_idx_on s9, gpr_idx(SRC0)
	v_mov_b32_e32 v91, v35
	s_set_gpr_idx_off
	v_add_u32_e32 v88, s2, v86
	v_fmac_f64_e32 v[84:85], v[102:103], v[92:93]
	s_set_gpr_idx_on s9, gpr_idx(SRC0)
	v_mov_b32_e32 v90, v34
	s_set_gpr_idx_off
	s_addc_u32 s3, s3, 0
	s_add_i32 s8, s8, 64
	s_add_i32 s10, s2, -7
	v_cmp_eq_u32_e32 vcc, 8, v88
	s_waitcnt lgkmcnt(0)
	v_fmac_f64_e32 v[84:85], v[98:99], v[94:95]
	v_mov_b32_e32 v88, s10
	s_or_b64 s[6:7], vcc, s[6:7]
	v_fmac_f64_e32 v[84:85], v[90:91], v[96:97]
	s_andn2_b64 exec, exec, s[6:7]
	s_cbranch_execnz .LBB8_105
; %bb.106:
	s_or_b64 exec, exec, s[6:7]
.LBB8_107:
	s_or_b64 exec, exec, s[0:1]
	v_and_b32_e32 v52, 7, v89
	v_cmp_ne_u32_e32 vcc, 0, v52
	s_and_saveexec_b64 s[6:7], vcc
	s_cbranch_execz .LBB8_111
; %bb.108:
	v_mov_b32_e32 v53, 0x50
	v_lshl_add_u32 v54, v88, 3, v53
	v_mov_b32_e32 v53, 0
	s_mov_b64 s[8:9], 0
.LBB8_109:                              ; =>This Inner Loop Header: Depth=1
	v_cmp_eq_u32_e32 vcc, 1, v88
	v_cndmask_b32_e32 v55, v35, v37, vcc
	v_add_u32_e32 v52, -1, v52
	v_cmp_eq_u32_e64 s[0:1], 2, v88
	v_cndmask_b32_e64 v55, v55, v39, s[0:1]
	v_cndmask_b32_e32 v58, v34, v36, vcc
	v_cmp_eq_u32_e32 vcc, 0, v52
	v_cmp_eq_u32_e64 s[2:3], 3, v88
	v_cndmask_b32_e64 v55, v55, v41, s[2:3]
	v_cndmask_b32_e64 v58, v58, v38, s[0:1]
	s_or_b64 s[8:9], vcc, s[8:9]
	v_cmp_eq_u32_e32 vcc, 4, v88
	v_cndmask_b32_e32 v55, v55, v43, vcc
	v_cndmask_b32_e64 v58, v58, v40, s[2:3]
	v_cmp_eq_u32_e64 s[0:1], 5, v88
	ds_read_b64 v[56:57], v54
	v_cndmask_b32_e64 v55, v55, v45, s[0:1]
	v_cndmask_b32_e32 v58, v58, v42, vcc
	v_cmp_eq_u32_e32 vcc, 6, v88
	v_cndmask_b32_e32 v55, v55, v47, vcc
	v_cndmask_b32_e64 v58, v58, v44, s[0:1]
	v_cmp_eq_u32_e64 s[0:1], 7, v88
	v_cndmask_b32_e64 v55, v55, v49, s[0:1]
	v_cmp_eq_u32_e64 s[2:3], 8, v88
	v_cndmask_b32_e32 v58, v58, v46, vcc
	v_cndmask_b32_e64 v59, v55, v51, s[2:3]
	v_cndmask_b32_e64 v55, v58, v48, s[0:1]
	v_add_co_u32_e32 v88, vcc, 1, v88
	v_cndmask_b32_e64 v58, v55, v50, s[2:3]
	v_add_u32_e32 v54, 8, v54
	v_addc_co_u32_e32 v53, vcc, 0, v53, vcc
	s_waitcnt lgkmcnt(0)
	v_fmac_f64_e32 v[84:85], v[58:59], v[56:57]
	s_andn2_b64 exec, exec, s[8:9]
	s_cbranch_execnz .LBB8_109
; %bb.110:
	s_or_b64 exec, exec, s[8:9]
.LBB8_111:
	s_or_b64 exec, exec, s[6:7]
.LBB8_112:
	s_or_b64 exec, exec, s[4:5]
	v_mov_b32_e32 v34, 0
	ds_read_b64 v[34:35], v34
	s_waitcnt lgkmcnt(0)
	v_mul_f64 v[34:35], v[84:85], v[34:35]
.LBB8_113:
	s_or_b64 exec, exec, s[16:17]
	s_branch .LBB8_187
.LBB8_114:
	v_cmp_eq_u32_e64 s[2:3], 0, v0
	s_waitcnt vmcnt(7)
	ds_write_b64 v87, v[4:5]
	s_waitcnt lgkmcnt(0)
	; wave barrier
	s_waitcnt lgkmcnt(0)
	s_and_saveexec_b64 s[16:17], s[2:3]
	s_cbranch_execz .LBB8_120
; %bb.115:
	s_and_b64 vcc, exec, s[18:19]
	s_cbranch_vccz .LBB8_117
; %bb.116:
	v_cmp_eq_u32_e32 vcc, 1, v0
	v_cndmask_b32_e32 v5, v3, v5, vcc
	v_cmp_eq_u32_e64 s[0:1], 2, v0
	v_cndmask_b32_e32 v4, v2, v4, vcc
	s_waitcnt vmcnt(6)
	v_cndmask_b32_e64 v5, v5, v7, s[0:1]
	v_cmp_eq_u32_e64 s[4:5], 3, v0
	v_cndmask_b32_e64 v4, v4, v6, s[0:1]
	s_waitcnt vmcnt(5)
	v_cndmask_b32_e64 v5, v5, v9, s[4:5]
	v_cmp_eq_u32_e64 s[6:7], 4, v0
	v_cndmask_b32_e64 v4, v4, v8, s[4:5]
	;; [unrolled: 4-line block ×3, first 2 shown]
	ds_read_b64 v[20:21], v87
	s_waitcnt vmcnt(3)
	v_cndmask_b32_e64 v5, v5, v13, s[8:9]
	v_cmp_eq_u32_e64 s[10:11], 6, v0
	v_cndmask_b32_e64 v4, v4, v12, s[8:9]
	s_waitcnt vmcnt(2)
	v_cndmask_b32_e64 v5, v5, v15, s[10:11]
	v_cmp_eq_u32_e64 s[12:13], 7, v0
	v_cndmask_b32_e64 v4, v4, v14, s[10:11]
	;; [unrolled: 4-line block ×3, first 2 shown]
	s_waitcnt vmcnt(0)
	v_cndmask_b32_e64 v5, v5, v19, s[14:15]
	v_cndmask_b32_e64 v4, v4, v18, s[14:15]
	s_waitcnt lgkmcnt(0)
	v_mul_f64 v[4:5], v[4:5], v[20:21]
	s_cbranch_execz .LBB8_118
	s_branch .LBB8_119
.LBB8_117:
                                        ; implicit-def: $vgpr4_vgpr5
.LBB8_118:
	ds_read_b64 v[4:5], v87
.LBB8_119:
	v_mov_b32_e32 v20, 0
	ds_read_b64 v[20:21], v20 offset:8
	s_waitcnt lgkmcnt(0)
	v_mul_f64 v[4:5], v[4:5], v[20:21]
.LBB8_120:
	s_or_b64 exec, exec, s[16:17]
	v_cndmask_b32_e64 v35, 0, 1, s[18:19]
	v_add_u32_e32 v34, 1, v0
	v_cmp_gt_u32_e32 vcc, 2, v0
	v_cmp_ne_u32_e64 s[0:1], 1, v35
	s_waitcnt vmcnt(6)
	ds_write_b64 v87, v[6:7]
	s_waitcnt lgkmcnt(0)
	; wave barrier
	s_waitcnt lgkmcnt(0)
	s_and_saveexec_b64 s[18:19], vcc
	s_cbranch_execz .LBB8_128
; %bb.121:
	s_and_b64 vcc, exec, s[0:1]
	s_cbranch_vccnz .LBB8_123
; %bb.122:
	v_cmp_eq_u32_e32 vcc, 1, v0
	v_cndmask_b32_e32 v20, v3, v5, vcc
	v_cmp_eq_u32_e64 s[4:5], 2, v0
	v_cndmask_b32_e64 v20, v20, v7, s[4:5]
	v_cmp_eq_u32_e64 s[6:7], 3, v0
	s_waitcnt vmcnt(5)
	v_cndmask_b32_e64 v20, v20, v9, s[6:7]
	v_cmp_eq_u32_e64 s[8:9], 4, v0
	s_waitcnt vmcnt(4)
	;; [unrolled: 3-line block ×6, first 2 shown]
	v_cndmask_b32_e64 v21, v20, v19, s[16:17]
	v_cndmask_b32_e32 v20, v2, v4, vcc
	v_cndmask_b32_e64 v20, v20, v6, s[4:5]
	v_cndmask_b32_e64 v20, v20, v8, s[6:7]
	;; [unrolled: 1-line block ×3, first 2 shown]
	ds_read_b64 v[22:23], v87
	v_cndmask_b32_e64 v20, v20, v12, s[10:11]
	v_cndmask_b32_e64 v20, v20, v14, s[12:13]
	;; [unrolled: 1-line block ×4, first 2 shown]
	s_waitcnt lgkmcnt(0)
	v_mul_f64 v[20:21], v[20:21], v[22:23]
	s_cbranch_execz .LBB8_124
	s_branch .LBB8_125
.LBB8_123:
                                        ; implicit-def: $vgpr20_vgpr21
.LBB8_124:
	ds_read_b64 v[20:21], v87
.LBB8_125:
	s_and_saveexec_b64 s[20:21], s[2:3]
	s_cbranch_execz .LBB8_127
; %bb.126:
	v_cmp_eq_u32_e32 vcc, 1, v34
	v_cndmask_b32_e32 v22, v3, v5, vcc
	v_cmp_eq_u32_e64 s[4:5], 2, v34
	v_cndmask_b32_e64 v7, v22, v7, s[4:5]
	v_cndmask_b32_e32 v22, v2, v4, vcc
	v_cmp_eq_u32_e64 s[6:7], 3, v34
	v_cndmask_b32_e64 v6, v22, v6, s[4:5]
	s_waitcnt vmcnt(5)
	v_cndmask_b32_e64 v7, v7, v9, s[6:7]
	v_cmp_eq_u32_e64 s[8:9], 4, v34
	v_cndmask_b32_e64 v6, v6, v8, s[6:7]
	s_waitcnt vmcnt(4)
	v_cndmask_b32_e64 v7, v7, v11, s[8:9]
	v_cmp_eq_u32_e64 s[10:11], 5, v34
	v_cndmask_b32_e64 v6, v6, v10, s[8:9]
	ds_read_b64 v[22:23], v87 offset:8
	s_waitcnt vmcnt(3)
	v_cndmask_b32_e64 v7, v7, v13, s[10:11]
	v_cmp_eq_u32_e64 s[12:13], 6, v34
	v_cndmask_b32_e64 v6, v6, v12, s[10:11]
	s_waitcnt vmcnt(2)
	v_cndmask_b32_e64 v7, v7, v15, s[12:13]
	v_cmp_eq_u32_e64 s[14:15], 7, v34
	v_cndmask_b32_e64 v6, v6, v14, s[12:13]
	;; [unrolled: 4-line block ×3, first 2 shown]
	s_waitcnt vmcnt(0)
	v_cndmask_b32_e64 v7, v7, v19, s[16:17]
	v_cndmask_b32_e64 v6, v6, v18, s[16:17]
	s_waitcnt lgkmcnt(0)
	v_fmac_f64_e32 v[20:21], v[6:7], v[22:23]
.LBB8_127:
	s_or_b64 exec, exec, s[20:21]
	v_mov_b32_e32 v6, 0
	ds_read_b64 v[6:7], v6 offset:16
	s_waitcnt lgkmcnt(0)
	v_mul_f64 v[6:7], v[20:21], v[6:7]
.LBB8_128:
	s_or_b64 exec, exec, s[18:19]
	v_cmp_gt_u32_e32 vcc, 3, v0
	s_waitcnt vmcnt(5)
	ds_write_b64 v87, v[8:9]
	s_waitcnt lgkmcnt(0)
	; wave barrier
	s_waitcnt lgkmcnt(0)
	s_and_saveexec_b64 s[18:19], vcc
	s_cbranch_execz .LBB8_136
; %bb.129:
	s_and_b64 vcc, exec, s[0:1]
	s_cbranch_vccnz .LBB8_131
; %bb.130:
	v_cmp_eq_u32_e32 vcc, 1, v0
	v_cndmask_b32_e32 v20, v3, v5, vcc
	v_cmp_eq_u32_e64 s[4:5], 2, v0
	v_cndmask_b32_e64 v20, v20, v7, s[4:5]
	v_cmp_eq_u32_e64 s[6:7], 3, v0
	v_cndmask_b32_e64 v20, v20, v9, s[6:7]
	v_cmp_eq_u32_e64 s[8:9], 4, v0
	s_waitcnt vmcnt(4)
	v_cndmask_b32_e64 v20, v20, v11, s[8:9]
	v_cmp_eq_u32_e64 s[10:11], 5, v0
	s_waitcnt vmcnt(3)
	;; [unrolled: 3-line block ×5, first 2 shown]
	v_cndmask_b32_e64 v21, v20, v19, s[16:17]
	v_cndmask_b32_e32 v20, v2, v4, vcc
	v_cndmask_b32_e64 v20, v20, v6, s[4:5]
	v_cndmask_b32_e64 v20, v20, v8, s[6:7]
	;; [unrolled: 1-line block ×3, first 2 shown]
	ds_read_b64 v[22:23], v87
	v_cndmask_b32_e64 v20, v20, v12, s[10:11]
	v_cndmask_b32_e64 v20, v20, v14, s[12:13]
	;; [unrolled: 1-line block ×4, first 2 shown]
	s_waitcnt lgkmcnt(0)
	v_mul_f64 v[20:21], v[20:21], v[22:23]
	s_cbranch_execz .LBB8_132
	s_branch .LBB8_133
.LBB8_131:
                                        ; implicit-def: $vgpr20_vgpr21
.LBB8_132:
	ds_read_b64 v[20:21], v87
.LBB8_133:
	v_cmp_ne_u32_e32 vcc, 2, v0
	s_and_saveexec_b64 s[20:21], vcc
	s_cbranch_execz .LBB8_135
; %bb.134:
	v_cmp_eq_u32_e32 vcc, 1, v34
	v_cndmask_b32_e32 v22, v3, v5, vcc
	v_cmp_eq_u32_e64 s[4:5], 2, v34
	v_cndmask_b32_e64 v22, v22, v7, s[4:5]
	v_cmp_eq_u32_e64 s[6:7], 3, v34
	v_cndmask_b32_e64 v9, v22, v9, s[6:7]
	v_cndmask_b32_e32 v22, v2, v4, vcc
	v_cndmask_b32_e64 v22, v22, v6, s[4:5]
	v_cmp_eq_u32_e64 s[8:9], 4, v34
	v_cndmask_b32_e64 v8, v22, v8, s[6:7]
	s_waitcnt vmcnt(4)
	v_cndmask_b32_e64 v9, v9, v11, s[8:9]
	v_cmp_eq_u32_e64 s[10:11], 5, v34
	v_cndmask_b32_e64 v8, v8, v10, s[8:9]
	v_mov_b32_e32 v24, 0
	s_waitcnt vmcnt(3)
	v_cndmask_b32_e64 v9, v9, v13, s[10:11]
	v_cmp_eq_u32_e64 s[12:13], 6, v34
	v_cndmask_b32_e64 v8, v8, v12, s[10:11]
	ds_read_b64 v[22:23], v87 offset:8
	ds_read_b64 v[24:25], v24 offset:96
	s_waitcnt vmcnt(2)
	v_cndmask_b32_e64 v9, v9, v15, s[12:13]
	v_cmp_eq_u32_e64 s[14:15], 7, v34
	v_cndmask_b32_e64 v8, v8, v14, s[12:13]
	s_waitcnt vmcnt(1)
	v_cndmask_b32_e64 v9, v9, v17, s[14:15]
	v_cmp_eq_u32_e64 s[16:17], 8, v34
	v_cndmask_b32_e64 v8, v8, v16, s[14:15]
	s_waitcnt vmcnt(0)
	v_cndmask_b32_e64 v9, v9, v19, s[16:17]
	v_cndmask_b32_e64 v8, v8, v18, s[16:17]
	s_waitcnt lgkmcnt(1)
	v_fmac_f64_e32 v[20:21], v[8:9], v[22:23]
	s_waitcnt lgkmcnt(0)
	v_fma_f64 v[8:9], v[6:7], v[24:25], v[20:21]
	v_cndmask_b32_e64 v21, v21, v9, s[2:3]
	v_cndmask_b32_e64 v20, v20, v8, s[2:3]
.LBB8_135:
	s_or_b64 exec, exec, s[20:21]
	v_mov_b32_e32 v8, 0
	ds_read_b64 v[8:9], v8 offset:24
	s_waitcnt lgkmcnt(0)
	v_mul_f64 v[8:9], v[20:21], v[8:9]
.LBB8_136:
	s_or_b64 exec, exec, s[18:19]
	v_cmp_gt_u32_e32 vcc, 4, v0
	s_waitcnt vmcnt(4)
	ds_write_b64 v87, v[10:11]
	s_waitcnt lgkmcnt(0)
	; wave barrier
	s_waitcnt lgkmcnt(0)
	s_and_saveexec_b64 s[16:17], vcc
	s_cbranch_execz .LBB8_146
; %bb.137:
	s_and_b64 vcc, exec, s[0:1]
	s_cbranch_vccnz .LBB8_139
; %bb.138:
	v_cmp_eq_u32_e32 vcc, 1, v0
	v_cndmask_b32_e32 v20, v3, v5, vcc
	v_cmp_eq_u32_e64 s[2:3], 2, v0
	v_cndmask_b32_e64 v20, v20, v7, s[2:3]
	v_cmp_eq_u32_e64 s[4:5], 3, v0
	v_cndmask_b32_e64 v20, v20, v9, s[4:5]
	;; [unrolled: 2-line block ×3, first 2 shown]
	v_cmp_eq_u32_e64 s[8:9], 5, v0
	s_waitcnt vmcnt(3)
	v_cndmask_b32_e64 v20, v20, v13, s[8:9]
	v_cmp_eq_u32_e64 s[10:11], 6, v0
	s_waitcnt vmcnt(2)
	v_cndmask_b32_e64 v20, v20, v15, s[10:11]
	;; [unrolled: 3-line block ×4, first 2 shown]
	v_cndmask_b32_e32 v20, v2, v4, vcc
	v_cndmask_b32_e64 v20, v20, v6, s[2:3]
	v_cndmask_b32_e64 v20, v20, v8, s[4:5]
	;; [unrolled: 1-line block ×3, first 2 shown]
	ds_read_b64 v[22:23], v87
	v_cndmask_b32_e64 v20, v20, v12, s[8:9]
	v_cndmask_b32_e64 v20, v20, v14, s[10:11]
	;; [unrolled: 1-line block ×4, first 2 shown]
	s_waitcnt lgkmcnt(0)
	v_mul_f64 v[20:21], v[20:21], v[22:23]
	s_cbranch_execz .LBB8_140
	s_branch .LBB8_141
.LBB8_139:
                                        ; implicit-def: $vgpr20_vgpr21
.LBB8_140:
	ds_read_b64 v[20:21], v87
.LBB8_141:
	v_cmp_ne_u32_e32 vcc, 3, v0
	s_and_saveexec_b64 s[6:7], vcc
	s_cbranch_execz .LBB8_145
; %bb.142:
	v_mov_b32_e32 v22, 0x58
	v_lshl_add_u32 v24, v0, 3, v22
	s_mov_b64 s[8:9], 0
	v_pk_mov_b32 v[22:23], v[0:1], v[0:1] op_sel:[0,1]
.LBB8_143:                              ; =>This Inner Loop Header: Depth=1
	v_add_co_u32_e32 v22, vcc, 1, v22
	v_addc_co_u32_e32 v23, vcc, 0, v23, vcc
	v_cmp_eq_u32_e32 vcc, 1, v22
	v_cndmask_b32_e32 v25, v3, v5, vcc
	v_cmp_eq_u32_e64 s[4:5], 2, v22
	v_cmp_lt_u32_e64 s[2:3], 2, v22
	v_cndmask_b32_e64 v25, v25, v7, s[4:5]
	v_cndmask_b32_e32 v28, v2, v4, vcc
	v_cmp_eq_u32_e32 vcc, 3, v22
	s_or_b64 s[8:9], s[2:3], s[8:9]
	v_cndmask_b32_e32 v25, v25, v9, vcc
	v_cndmask_b32_e64 v28, v28, v6, s[4:5]
	v_cmp_eq_u32_e64 s[2:3], 4, v22
	v_cndmask_b32_e64 v25, v25, v11, s[2:3]
	v_cndmask_b32_e32 v28, v28, v8, vcc
	v_cmp_eq_u32_e32 vcc, 5, v22
	ds_read_b64 v[26:27], v24
	s_waitcnt vmcnt(3)
	v_cndmask_b32_e32 v25, v25, v13, vcc
	v_cndmask_b32_e64 v28, v28, v10, s[2:3]
	v_cmp_eq_u32_e64 s[2:3], 6, v22
	s_waitcnt vmcnt(2)
	v_cndmask_b32_e64 v25, v25, v15, s[2:3]
	v_cndmask_b32_e32 v28, v28, v12, vcc
	v_cmp_eq_u32_e32 vcc, 7, v22
	s_waitcnt vmcnt(1)
	v_cndmask_b32_e32 v25, v25, v17, vcc
	v_cndmask_b32_e64 v28, v28, v14, s[2:3]
	v_cmp_eq_u32_e64 s[2:3], 8, v22
	s_waitcnt vmcnt(0)
	v_cndmask_b32_e64 v29, v25, v19, s[2:3]
	v_cndmask_b32_e32 v25, v28, v16, vcc
	v_cndmask_b32_e64 v28, v25, v18, s[2:3]
	v_add_u32_e32 v24, 8, v24
	s_waitcnt lgkmcnt(0)
	v_fmac_f64_e32 v[20:21], v[28:29], v[26:27]
	s_andn2_b64 exec, exec, s[8:9]
	s_cbranch_execnz .LBB8_143
; %bb.144:
	s_or_b64 exec, exec, s[8:9]
.LBB8_145:
	s_or_b64 exec, exec, s[6:7]
	v_mov_b32_e32 v10, 0
	ds_read_b64 v[10:11], v10 offset:32
	s_waitcnt lgkmcnt(0)
	v_mul_f64 v[10:11], v[20:21], v[10:11]
.LBB8_146:
	s_or_b64 exec, exec, s[16:17]
	v_cmp_gt_u32_e32 vcc, 5, v0
	s_waitcnt vmcnt(3)
	ds_write_b64 v87, v[12:13]
	s_waitcnt lgkmcnt(0)
	; wave barrier
	s_waitcnt lgkmcnt(0)
	s_and_saveexec_b64 s[16:17], vcc
	s_cbranch_execz .LBB8_156
; %bb.147:
	s_and_b64 vcc, exec, s[0:1]
	s_cbranch_vccnz .LBB8_149
; %bb.148:
	v_cmp_eq_u32_e32 vcc, 1, v0
	v_cndmask_b32_e32 v20, v3, v5, vcc
	v_cmp_eq_u32_e64 s[2:3], 2, v0
	v_cndmask_b32_e64 v20, v20, v7, s[2:3]
	v_cmp_eq_u32_e64 s[4:5], 3, v0
	v_cndmask_b32_e64 v20, v20, v9, s[4:5]
	;; [unrolled: 2-line block ×4, first 2 shown]
	v_cmp_eq_u32_e64 s[10:11], 6, v0
	s_waitcnt vmcnt(2)
	v_cndmask_b32_e64 v20, v20, v15, s[10:11]
	v_cmp_eq_u32_e64 s[12:13], 7, v0
	s_waitcnt vmcnt(1)
	v_cndmask_b32_e64 v20, v20, v17, s[12:13]
	v_cmp_eq_u32_e64 s[14:15], 8, v0
	s_waitcnt vmcnt(0)
	v_cndmask_b32_e64 v21, v20, v19, s[14:15]
	v_cndmask_b32_e32 v20, v2, v4, vcc
	v_cndmask_b32_e64 v20, v20, v6, s[2:3]
	v_cndmask_b32_e64 v20, v20, v8, s[4:5]
	;; [unrolled: 1-line block ×3, first 2 shown]
	ds_read_b64 v[22:23], v87
	v_cndmask_b32_e64 v20, v20, v12, s[8:9]
	v_cndmask_b32_e64 v20, v20, v14, s[10:11]
	;; [unrolled: 1-line block ×4, first 2 shown]
	s_waitcnt lgkmcnt(0)
	v_mul_f64 v[20:21], v[20:21], v[22:23]
	s_cbranch_execz .LBB8_150
	s_branch .LBB8_151
.LBB8_149:
                                        ; implicit-def: $vgpr20_vgpr21
.LBB8_150:
	ds_read_b64 v[20:21], v87
.LBB8_151:
	v_cmp_ne_u32_e32 vcc, 4, v0
	s_and_saveexec_b64 s[6:7], vcc
	s_cbranch_execz .LBB8_155
; %bb.152:
	v_mov_b32_e32 v22, 0x58
	v_lshl_add_u32 v24, v0, 3, v22
	s_mov_b64 s[8:9], 0
	v_pk_mov_b32 v[22:23], v[0:1], v[0:1] op_sel:[0,1]
.LBB8_153:                              ; =>This Inner Loop Header: Depth=1
	v_add_co_u32_e32 v22, vcc, 1, v22
	v_addc_co_u32_e32 v23, vcc, 0, v23, vcc
	v_cmp_eq_u32_e32 vcc, 1, v22
	v_cndmask_b32_e32 v25, v3, v5, vcc
	v_cmp_eq_u32_e64 s[4:5], 2, v22
	v_cmp_lt_u32_e64 s[2:3], 3, v22
	v_cndmask_b32_e64 v25, v25, v7, s[4:5]
	v_cndmask_b32_e32 v28, v2, v4, vcc
	v_cmp_eq_u32_e32 vcc, 3, v22
	s_or_b64 s[8:9], s[2:3], s[8:9]
	v_cndmask_b32_e32 v25, v25, v9, vcc
	v_cndmask_b32_e64 v28, v28, v6, s[4:5]
	v_cmp_eq_u32_e64 s[2:3], 4, v22
	v_cndmask_b32_e64 v25, v25, v11, s[2:3]
	v_cndmask_b32_e32 v28, v28, v8, vcc
	v_cmp_eq_u32_e32 vcc, 5, v22
	ds_read_b64 v[26:27], v24
	v_cndmask_b32_e32 v25, v25, v13, vcc
	v_cndmask_b32_e64 v28, v28, v10, s[2:3]
	v_cmp_eq_u32_e64 s[2:3], 6, v22
	s_waitcnt vmcnt(2)
	v_cndmask_b32_e64 v25, v25, v15, s[2:3]
	v_cndmask_b32_e32 v28, v28, v12, vcc
	v_cmp_eq_u32_e32 vcc, 7, v22
	s_waitcnt vmcnt(1)
	v_cndmask_b32_e32 v25, v25, v17, vcc
	v_cndmask_b32_e64 v28, v28, v14, s[2:3]
	v_cmp_eq_u32_e64 s[2:3], 8, v22
	s_waitcnt vmcnt(0)
	v_cndmask_b32_e64 v29, v25, v19, s[2:3]
	v_cndmask_b32_e32 v25, v28, v16, vcc
	v_cndmask_b32_e64 v28, v25, v18, s[2:3]
	v_add_u32_e32 v24, 8, v24
	s_waitcnt lgkmcnt(0)
	v_fmac_f64_e32 v[20:21], v[28:29], v[26:27]
	s_andn2_b64 exec, exec, s[8:9]
	s_cbranch_execnz .LBB8_153
; %bb.154:
	s_or_b64 exec, exec, s[8:9]
.LBB8_155:
	s_or_b64 exec, exec, s[6:7]
	v_mov_b32_e32 v12, 0
	ds_read_b64 v[12:13], v12 offset:40
	s_waitcnt lgkmcnt(0)
	v_mul_f64 v[12:13], v[20:21], v[12:13]
.LBB8_156:
	s_or_b64 exec, exec, s[16:17]
	v_cmp_gt_u32_e32 vcc, 6, v0
	s_waitcnt vmcnt(2)
	ds_write_b64 v87, v[14:15]
	s_waitcnt lgkmcnt(0)
	; wave barrier
	s_waitcnt lgkmcnt(0)
	s_and_saveexec_b64 s[16:17], vcc
	s_cbranch_execz .LBB8_166
; %bb.157:
	s_and_b64 vcc, exec, s[0:1]
	s_cbranch_vccnz .LBB8_159
; %bb.158:
	v_cmp_eq_u32_e32 vcc, 1, v0
	v_cndmask_b32_e32 v20, v3, v5, vcc
	v_cmp_eq_u32_e64 s[2:3], 2, v0
	v_cndmask_b32_e64 v20, v20, v7, s[2:3]
	v_cmp_eq_u32_e64 s[4:5], 3, v0
	v_cndmask_b32_e64 v20, v20, v9, s[4:5]
	;; [unrolled: 2-line block ×5, first 2 shown]
	v_cmp_eq_u32_e64 s[12:13], 7, v0
	s_waitcnt vmcnt(1)
	v_cndmask_b32_e64 v20, v20, v17, s[12:13]
	v_cmp_eq_u32_e64 s[14:15], 8, v0
	s_waitcnt vmcnt(0)
	v_cndmask_b32_e64 v21, v20, v19, s[14:15]
	v_cndmask_b32_e32 v20, v2, v4, vcc
	v_cndmask_b32_e64 v20, v20, v6, s[2:3]
	v_cndmask_b32_e64 v20, v20, v8, s[4:5]
	;; [unrolled: 1-line block ×3, first 2 shown]
	ds_read_b64 v[22:23], v87
	v_cndmask_b32_e64 v20, v20, v12, s[8:9]
	v_cndmask_b32_e64 v20, v20, v14, s[10:11]
	;; [unrolled: 1-line block ×4, first 2 shown]
	s_waitcnt lgkmcnt(0)
	v_mul_f64 v[20:21], v[20:21], v[22:23]
	s_cbranch_execz .LBB8_160
	s_branch .LBB8_161
.LBB8_159:
                                        ; implicit-def: $vgpr20_vgpr21
.LBB8_160:
	ds_read_b64 v[20:21], v87
.LBB8_161:
	v_cmp_ne_u32_e32 vcc, 5, v0
	s_and_saveexec_b64 s[6:7], vcc
	s_cbranch_execz .LBB8_165
; %bb.162:
	v_mov_b32_e32 v22, 0x58
	v_lshl_add_u32 v24, v0, 3, v22
	s_mov_b64 s[8:9], 0
	v_pk_mov_b32 v[22:23], v[0:1], v[0:1] op_sel:[0,1]
.LBB8_163:                              ; =>This Inner Loop Header: Depth=1
	v_add_co_u32_e32 v22, vcc, 1, v22
	v_addc_co_u32_e32 v23, vcc, 0, v23, vcc
	v_cmp_eq_u32_e32 vcc, 1, v22
	v_cndmask_b32_e32 v25, v3, v5, vcc
	v_cmp_eq_u32_e64 s[4:5], 2, v22
	v_cmp_lt_u32_e64 s[2:3], 4, v22
	v_cndmask_b32_e64 v25, v25, v7, s[4:5]
	v_cndmask_b32_e32 v28, v2, v4, vcc
	v_cmp_eq_u32_e32 vcc, 3, v22
	s_or_b64 s[8:9], s[2:3], s[8:9]
	v_cndmask_b32_e32 v25, v25, v9, vcc
	v_cndmask_b32_e64 v28, v28, v6, s[4:5]
	v_cmp_eq_u32_e64 s[2:3], 4, v22
	v_cndmask_b32_e64 v25, v25, v11, s[2:3]
	v_cndmask_b32_e32 v28, v28, v8, vcc
	v_cmp_eq_u32_e32 vcc, 5, v22
	ds_read_b64 v[26:27], v24
	v_cndmask_b32_e32 v25, v25, v13, vcc
	v_cndmask_b32_e64 v28, v28, v10, s[2:3]
	v_cmp_eq_u32_e64 s[2:3], 6, v22
	v_cndmask_b32_e64 v25, v25, v15, s[2:3]
	v_cndmask_b32_e32 v28, v28, v12, vcc
	v_cmp_eq_u32_e32 vcc, 7, v22
	s_waitcnt vmcnt(1)
	v_cndmask_b32_e32 v25, v25, v17, vcc
	v_cndmask_b32_e64 v28, v28, v14, s[2:3]
	v_cmp_eq_u32_e64 s[2:3], 8, v22
	s_waitcnt vmcnt(0)
	v_cndmask_b32_e64 v29, v25, v19, s[2:3]
	v_cndmask_b32_e32 v25, v28, v16, vcc
	v_cndmask_b32_e64 v28, v25, v18, s[2:3]
	v_add_u32_e32 v24, 8, v24
	s_waitcnt lgkmcnt(0)
	v_fmac_f64_e32 v[20:21], v[28:29], v[26:27]
	s_andn2_b64 exec, exec, s[8:9]
	s_cbranch_execnz .LBB8_163
; %bb.164:
	s_or_b64 exec, exec, s[8:9]
.LBB8_165:
	s_or_b64 exec, exec, s[6:7]
	v_mov_b32_e32 v14, 0
	ds_read_b64 v[14:15], v14 offset:48
	s_waitcnt lgkmcnt(0)
	v_mul_f64 v[14:15], v[20:21], v[14:15]
.LBB8_166:
	s_or_b64 exec, exec, s[16:17]
	v_cmp_gt_u32_e64 s[2:3], 7, v0
	s_waitcnt vmcnt(1)
	ds_write_b64 v87, v[16:17]
	s_waitcnt lgkmcnt(0)
	; wave barrier
	s_waitcnt lgkmcnt(0)
	s_and_saveexec_b64 s[18:19], s[2:3]
	s_cbranch_execz .LBB8_176
; %bb.167:
	s_and_b64 vcc, exec, s[0:1]
	s_cbranch_vccnz .LBB8_169
; %bb.168:
	v_cmp_eq_u32_e32 vcc, 1, v0
	v_cndmask_b32_e32 v20, v3, v5, vcc
	v_cmp_eq_u32_e64 s[4:5], 2, v0
	v_cndmask_b32_e64 v20, v20, v7, s[4:5]
	v_cmp_eq_u32_e64 s[6:7], 3, v0
	v_cndmask_b32_e64 v20, v20, v9, s[6:7]
	v_cmp_eq_u32_e64 s[8:9], 4, v0
	v_cndmask_b32_e64 v20, v20, v11, s[8:9]
	v_cmp_eq_u32_e64 s[10:11], 5, v0
	v_cndmask_b32_e64 v20, v20, v13, s[10:11]
	v_cmp_eq_u32_e64 s[12:13], 6, v0
	v_cndmask_b32_e64 v20, v20, v15, s[12:13]
	v_cmp_eq_u32_e64 s[14:15], 7, v0
	v_cndmask_b32_e64 v20, v20, v17, s[14:15]
	v_cmp_eq_u32_e64 s[16:17], 8, v0
	s_waitcnt vmcnt(0)
	v_cndmask_b32_e64 v21, v20, v19, s[16:17]
	v_cndmask_b32_e32 v20, v2, v4, vcc
	v_cndmask_b32_e64 v20, v20, v6, s[4:5]
	v_cndmask_b32_e64 v20, v20, v8, s[6:7]
	;; [unrolled: 1-line block ×3, first 2 shown]
	ds_read_b64 v[22:23], v87
	v_cndmask_b32_e64 v20, v20, v12, s[10:11]
	v_cndmask_b32_e64 v20, v20, v14, s[12:13]
	;; [unrolled: 1-line block ×4, first 2 shown]
	s_waitcnt lgkmcnt(0)
	v_mul_f64 v[20:21], v[20:21], v[22:23]
	s_cbranch_execz .LBB8_170
	s_branch .LBB8_171
.LBB8_169:
                                        ; implicit-def: $vgpr20_vgpr21
.LBB8_170:
	ds_read_b64 v[20:21], v87
.LBB8_171:
	v_cmp_ne_u32_e32 vcc, 6, v0
	s_and_saveexec_b64 s[8:9], vcc
	s_cbranch_execz .LBB8_175
; %bb.172:
	v_mov_b32_e32 v22, 0x58
	v_lshl_add_u32 v24, v0, 3, v22
	s_mov_b64 s[10:11], 0
	v_pk_mov_b32 v[22:23], v[0:1], v[0:1] op_sel:[0,1]
.LBB8_173:                              ; =>This Inner Loop Header: Depth=1
	v_add_co_u32_e32 v22, vcc, 1, v22
	v_addc_co_u32_e32 v23, vcc, 0, v23, vcc
	v_cmp_eq_u32_e32 vcc, 1, v22
	v_cndmask_b32_e32 v25, v3, v5, vcc
	v_cmp_eq_u32_e64 s[6:7], 2, v22
	v_cmp_lt_u32_e64 s[4:5], 5, v22
	v_cndmask_b32_e64 v25, v25, v7, s[6:7]
	v_cndmask_b32_e32 v28, v2, v4, vcc
	v_cmp_eq_u32_e32 vcc, 3, v22
	s_or_b64 s[10:11], s[4:5], s[10:11]
	v_cndmask_b32_e32 v25, v25, v9, vcc
	v_cndmask_b32_e64 v28, v28, v6, s[6:7]
	v_cmp_eq_u32_e64 s[4:5], 4, v22
	v_cndmask_b32_e64 v25, v25, v11, s[4:5]
	v_cndmask_b32_e32 v28, v28, v8, vcc
	v_cmp_eq_u32_e32 vcc, 5, v22
	ds_read_b64 v[26:27], v24
	v_cndmask_b32_e32 v25, v25, v13, vcc
	v_cndmask_b32_e64 v28, v28, v10, s[4:5]
	v_cmp_eq_u32_e64 s[4:5], 6, v22
	v_cndmask_b32_e64 v25, v25, v15, s[4:5]
	v_cndmask_b32_e32 v28, v28, v12, vcc
	v_cmp_eq_u32_e32 vcc, 7, v22
	v_cndmask_b32_e32 v25, v25, v17, vcc
	v_cndmask_b32_e64 v28, v28, v14, s[4:5]
	v_cmp_eq_u32_e64 s[4:5], 8, v22
	s_waitcnt vmcnt(0)
	v_cndmask_b32_e64 v29, v25, v19, s[4:5]
	v_cndmask_b32_e32 v25, v28, v16, vcc
	v_cndmask_b32_e64 v28, v25, v18, s[4:5]
	v_add_u32_e32 v24, 8, v24
	s_waitcnt lgkmcnt(0)
	v_fmac_f64_e32 v[20:21], v[28:29], v[26:27]
	s_andn2_b64 exec, exec, s[10:11]
	s_cbranch_execnz .LBB8_173
; %bb.174:
	s_or_b64 exec, exec, s[10:11]
.LBB8_175:
	s_or_b64 exec, exec, s[8:9]
	v_mov_b32_e32 v16, 0
	ds_read_b64 v[16:17], v16 offset:56
	s_waitcnt lgkmcnt(0)
	v_mul_f64 v[16:17], v[20:21], v[16:17]
.LBB8_176:
	s_or_b64 exec, exec, s[18:19]
	v_cmp_ne_u32_e32 vcc, 8, v0
	s_waitcnt vmcnt(0)
	ds_write_b64 v87, v[18:19]
	s_waitcnt lgkmcnt(0)
	; wave barrier
	s_waitcnt lgkmcnt(0)
	s_and_saveexec_b64 s[16:17], vcc
	s_cbranch_execz .LBB8_186
; %bb.177:
	s_and_b64 vcc, exec, s[0:1]
	s_cbranch_vccnz .LBB8_179
; %bb.178:
	v_cmp_eq_u32_e32 vcc, 1, v0
	v_cndmask_b32_e32 v20, v3, v5, vcc
	v_cmp_eq_u32_e64 s[0:1], 2, v0
	v_cndmask_b32_e64 v20, v20, v7, s[0:1]
	v_cmp_eq_u32_e64 s[4:5], 3, v0
	v_cndmask_b32_e64 v20, v20, v9, s[4:5]
	;; [unrolled: 2-line block ×7, first 2 shown]
	v_cndmask_b32_e32 v20, v2, v4, vcc
	v_cndmask_b32_e64 v20, v20, v6, s[0:1]
	v_cndmask_b32_e64 v20, v20, v8, s[4:5]
	;; [unrolled: 1-line block ×3, first 2 shown]
	ds_read_b64 v[22:23], v87
	v_cndmask_b32_e64 v20, v20, v12, s[8:9]
	v_cndmask_b32_e64 v20, v20, v14, s[10:11]
	;; [unrolled: 1-line block ×4, first 2 shown]
	s_waitcnt lgkmcnt(0)
	v_mul_f64 v[20:21], v[20:21], v[22:23]
	s_cbranch_execz .LBB8_180
	s_branch .LBB8_181
.LBB8_179:
                                        ; implicit-def: $vgpr20_vgpr21
.LBB8_180:
	ds_read_b64 v[20:21], v87
.LBB8_181:
	s_and_saveexec_b64 s[4:5], s[2:3]
	s_cbranch_execz .LBB8_185
; %bb.182:
	v_mov_b32_e32 v22, 0x58
	v_lshl_add_u32 v22, v0, 3, v22
	s_mov_b64 s[6:7], 0
.LBB8_183:                              ; =>This Inner Loop Header: Depth=1
	v_add_co_u32_e32 v0, vcc, 1, v0
	v_addc_co_u32_e32 v1, vcc, 0, v1, vcc
	v_cmp_eq_u32_e32 vcc, 1, v0
	v_cndmask_b32_e32 v23, v3, v5, vcc
	v_cmp_eq_u32_e64 s[2:3], 2, v0
	v_cmp_lt_u32_e64 s[0:1], 6, v0
	v_cndmask_b32_e64 v23, v23, v7, s[2:3]
	v_cndmask_b32_e32 v26, v2, v4, vcc
	v_cmp_eq_u32_e32 vcc, 3, v0
	s_or_b64 s[6:7], s[0:1], s[6:7]
	v_cndmask_b32_e32 v23, v23, v9, vcc
	v_cndmask_b32_e64 v26, v26, v6, s[2:3]
	v_cmp_eq_u32_e64 s[0:1], 4, v0
	v_cndmask_b32_e64 v23, v23, v11, s[0:1]
	v_cndmask_b32_e32 v26, v26, v8, vcc
	v_cmp_eq_u32_e32 vcc, 5, v0
	ds_read_b64 v[24:25], v22
	v_cndmask_b32_e32 v23, v23, v13, vcc
	v_cndmask_b32_e64 v26, v26, v10, s[0:1]
	v_cmp_eq_u32_e64 s[0:1], 6, v0
	v_cndmask_b32_e64 v23, v23, v15, s[0:1]
	v_cndmask_b32_e32 v26, v26, v12, vcc
	v_cmp_eq_u32_e32 vcc, 7, v0
	v_cndmask_b32_e32 v23, v23, v17, vcc
	v_cndmask_b32_e64 v26, v26, v14, s[0:1]
	v_cmp_eq_u32_e64 s[0:1], 8, v0
	v_cndmask_b32_e64 v27, v23, v19, s[0:1]
	v_cndmask_b32_e32 v23, v26, v16, vcc
	v_cndmask_b32_e64 v26, v23, v18, s[0:1]
	v_add_u32_e32 v22, 8, v22
	s_waitcnt lgkmcnt(0)
	v_fmac_f64_e32 v[20:21], v[26:27], v[24:25]
	s_andn2_b64 exec, exec, s[6:7]
	s_cbranch_execnz .LBB8_183
; %bb.184:
	s_or_b64 exec, exec, s[6:7]
.LBB8_185:
	s_or_b64 exec, exec, s[4:5]
	v_mov_b32_e32 v0, 0
	ds_read_b64 v[0:1], v0 offset:64
	s_waitcnt lgkmcnt(0)
	v_mul_f64 v[18:19], v[20:21], v[0:1]
.LBB8_186:
	s_or_b64 exec, exec, s[16:17]
	v_pk_mov_b32 v[64:65], v[32:33], v[32:33] op_sel:[0,1]
	v_pk_mov_b32 v[62:63], v[30:31], v[30:31] op_sel:[0,1]
	v_pk_mov_b32 v[60:61], v[28:29], v[28:29] op_sel:[0,1]
	v_pk_mov_b32 v[58:59], v[26:27], v[26:27] op_sel:[0,1]
	v_pk_mov_b32 v[56:57], v[24:25], v[24:25] op_sel:[0,1]
	v_pk_mov_b32 v[54:55], v[22:23], v[22:23] op_sel:[0,1]
	v_pk_mov_b32 v[52:53], v[20:21], v[20:21] op_sel:[0,1]
	v_pk_mov_b32 v[50:51], v[18:19], v[18:19] op_sel:[0,1]
	v_pk_mov_b32 v[48:49], v[16:17], v[16:17] op_sel:[0,1]
	v_pk_mov_b32 v[46:47], v[14:15], v[14:15] op_sel:[0,1]
	v_pk_mov_b32 v[44:45], v[12:13], v[12:13] op_sel:[0,1]
	v_pk_mov_b32 v[42:43], v[10:11], v[10:11] op_sel:[0,1]
	v_pk_mov_b32 v[40:41], v[8:9], v[8:9] op_sel:[0,1]
	v_pk_mov_b32 v[38:39], v[6:7], v[6:7] op_sel:[0,1]
	v_pk_mov_b32 v[36:37], v[4:5], v[4:5] op_sel:[0,1]
	v_pk_mov_b32 v[34:35], v[2:3], v[2:3] op_sel:[0,1]
.LBB8_187:
	global_store_dwordx2 v[66:67], v[34:35], off
	global_store_dwordx2 v[68:69], v[36:37], off
	global_store_dwordx2 v[70:71], v[38:39], off
	global_store_dwordx2 v[72:73], v[40:41], off
	global_store_dwordx2 v[74:75], v[42:43], off
	global_store_dwordx2 v[76:77], v[44:45], off
	global_store_dwordx2 v[78:79], v[46:47], off
	global_store_dwordx2 v[80:81], v[48:49], off
	global_store_dwordx2 v[82:83], v[50:51], off
.LBB8_188:
	s_endpgm
	.section	.rodata,"a",@progbits
	.p2align	6, 0x0
	.amdhsa_kernel _ZN9rocsolver6v33100L18trti2_kernel_smallILi9EdPdEEv13rocblas_fill_17rocblas_diagonal_T1_iil
		.amdhsa_group_segment_fixed_size 152
		.amdhsa_private_segment_fixed_size 0
		.amdhsa_kernarg_size 32
		.amdhsa_user_sgpr_count 6
		.amdhsa_user_sgpr_private_segment_buffer 1
		.amdhsa_user_sgpr_dispatch_ptr 0
		.amdhsa_user_sgpr_queue_ptr 0
		.amdhsa_user_sgpr_kernarg_segment_ptr 1
		.amdhsa_user_sgpr_dispatch_id 0
		.amdhsa_user_sgpr_flat_scratch_init 0
		.amdhsa_user_sgpr_kernarg_preload_length 0
		.amdhsa_user_sgpr_kernarg_preload_offset 0
		.amdhsa_user_sgpr_private_segment_size 0
		.amdhsa_uses_dynamic_stack 0
		.amdhsa_system_sgpr_private_segment_wavefront_offset 0
		.amdhsa_system_sgpr_workgroup_id_x 1
		.amdhsa_system_sgpr_workgroup_id_y 0
		.amdhsa_system_sgpr_workgroup_id_z 0
		.amdhsa_system_sgpr_workgroup_info 0
		.amdhsa_system_vgpr_workitem_id 0
		.amdhsa_next_free_vgpr 112
		.amdhsa_next_free_sgpr 30
		.amdhsa_accum_offset 112
		.amdhsa_reserve_vcc 1
		.amdhsa_reserve_flat_scratch 0
		.amdhsa_float_round_mode_32 0
		.amdhsa_float_round_mode_16_64 0
		.amdhsa_float_denorm_mode_32 3
		.amdhsa_float_denorm_mode_16_64 3
		.amdhsa_dx10_clamp 1
		.amdhsa_ieee_mode 1
		.amdhsa_fp16_overflow 0
		.amdhsa_tg_split 0
		.amdhsa_exception_fp_ieee_invalid_op 0
		.amdhsa_exception_fp_denorm_src 0
		.amdhsa_exception_fp_ieee_div_zero 0
		.amdhsa_exception_fp_ieee_overflow 0
		.amdhsa_exception_fp_ieee_underflow 0
		.amdhsa_exception_fp_ieee_inexact 0
		.amdhsa_exception_int_div_zero 0
	.end_amdhsa_kernel
	.section	.text._ZN9rocsolver6v33100L18trti2_kernel_smallILi9EdPdEEv13rocblas_fill_17rocblas_diagonal_T1_iil,"axG",@progbits,_ZN9rocsolver6v33100L18trti2_kernel_smallILi9EdPdEEv13rocblas_fill_17rocblas_diagonal_T1_iil,comdat
.Lfunc_end8:
	.size	_ZN9rocsolver6v33100L18trti2_kernel_smallILi9EdPdEEv13rocblas_fill_17rocblas_diagonal_T1_iil, .Lfunc_end8-_ZN9rocsolver6v33100L18trti2_kernel_smallILi9EdPdEEv13rocblas_fill_17rocblas_diagonal_T1_iil
                                        ; -- End function
	.section	.AMDGPU.csdata,"",@progbits
; Kernel info:
; codeLenInByte = 11884
; NumSgprs: 34
; NumVgprs: 112
; NumAgprs: 0
; TotalNumVgprs: 112
; ScratchSize: 0
; MemoryBound: 0
; FloatMode: 240
; IeeeMode: 1
; LDSByteSize: 152 bytes/workgroup (compile time only)
; SGPRBlocks: 4
; VGPRBlocks: 13
; NumSGPRsForWavesPerEU: 34
; NumVGPRsForWavesPerEU: 112
; AccumOffset: 112
; Occupancy: 4
; WaveLimiterHint : 0
; COMPUTE_PGM_RSRC2:SCRATCH_EN: 0
; COMPUTE_PGM_RSRC2:USER_SGPR: 6
; COMPUTE_PGM_RSRC2:TRAP_HANDLER: 0
; COMPUTE_PGM_RSRC2:TGID_X_EN: 1
; COMPUTE_PGM_RSRC2:TGID_Y_EN: 0
; COMPUTE_PGM_RSRC2:TGID_Z_EN: 0
; COMPUTE_PGM_RSRC2:TIDIG_COMP_CNT: 0
; COMPUTE_PGM_RSRC3_GFX90A:ACCUM_OFFSET: 27
; COMPUTE_PGM_RSRC3_GFX90A:TG_SPLIT: 0
	.section	.text._ZN9rocsolver6v33100L18trti2_kernel_smallILi10EdPdEEv13rocblas_fill_17rocblas_diagonal_T1_iil,"axG",@progbits,_ZN9rocsolver6v33100L18trti2_kernel_smallILi10EdPdEEv13rocblas_fill_17rocblas_diagonal_T1_iil,comdat
	.globl	_ZN9rocsolver6v33100L18trti2_kernel_smallILi10EdPdEEv13rocblas_fill_17rocblas_diagonal_T1_iil ; -- Begin function _ZN9rocsolver6v33100L18trti2_kernel_smallILi10EdPdEEv13rocblas_fill_17rocblas_diagonal_T1_iil
	.p2align	8
	.type	_ZN9rocsolver6v33100L18trti2_kernel_smallILi10EdPdEEv13rocblas_fill_17rocblas_diagonal_T1_iil,@function
_ZN9rocsolver6v33100L18trti2_kernel_smallILi10EdPdEEv13rocblas_fill_17rocblas_diagonal_T1_iil: ; @_ZN9rocsolver6v33100L18trti2_kernel_smallILi10EdPdEEv13rocblas_fill_17rocblas_diagonal_T1_iil
; %bb.0:
	v_cmp_gt_u32_e32 vcc, 10, v0
	s_and_saveexec_b64 s[0:1], vcc
	s_cbranch_execz .LBB9_226
; %bb.1:
	s_load_dwordx8 s[20:27], s[4:5], 0x0
	s_ashr_i32 s2, s6, 31
	v_lshlrev_b32_e32 v24, 3, v0
	v_mov_b32_e32 v22, 0
	v_mov_b32_e32 v23, 0xbff00000
	s_waitcnt lgkmcnt(0)
	s_mul_i32 s3, s6, s27
	s_mul_hi_u32 s4, s6, s26
	s_add_i32 s3, s4, s3
	s_mul_i32 s2, s2, s26
	s_add_i32 s3, s3, s2
	s_mul_i32 s2, s6, s26
	s_ashr_i32 s1, s24, 31
	s_lshl_b64 s[2:3], s[2:3], 3
	s_mov_b32 s0, s24
	s_add_u32 s2, s22, s2
	s_addc_u32 s3, s23, s3
	s_lshl_b64 s[0:1], s[0:1], 3
	s_add_u32 s0, s2, s0
	s_addc_u32 s1, s3, s1
	v_mov_b32_e32 v1, s1
	v_add_co_u32_e32 v54, vcc, s0, v24
	s_ashr_i32 s3, s25, 31
	s_mov_b32 s2, s25
	v_addc_co_u32_e32 v55, vcc, 0, v1, vcc
	s_lshl_b64 s[2:3], s[2:3], 3
	v_add_co_u32_e32 v56, vcc, s2, v54
	s_add_i32 s2, s25, s25
	v_add_u32_e32 v2, s2, v0
	v_mov_b32_e32 v1, s3
	v_ashrrev_i32_e32 v3, 31, v2
	v_addc_co_u32_e32 v57, vcc, v55, v1, vcc
	v_lshlrev_b64 v[4:5], 3, v[2:3]
	v_add_u32_e32 v2, s25, v2
	v_mov_b32_e32 v1, s1
	v_add_co_u32_e32 v58, vcc, s0, v4
	v_ashrrev_i32_e32 v3, 31, v2
	v_addc_co_u32_e32 v59, vcc, v1, v5, vcc
	v_lshlrev_b64 v[4:5], 3, v[2:3]
	v_add_u32_e32 v2, s25, v2
	v_add_co_u32_e32 v60, vcc, s0, v4
	v_ashrrev_i32_e32 v3, 31, v2
	v_addc_co_u32_e32 v61, vcc, v1, v5, vcc
	v_lshlrev_b64 v[4:5], 3, v[2:3]
	v_add_u32_e32 v2, s25, v2
	;; [unrolled: 5-line block ×6, first 2 shown]
	v_add_co_u32_e32 v70, vcc, s0, v12
	v_ashrrev_i32_e32 v3, 31, v2
	global_load_dwordx2 v[4:5], v[56:57], off
	global_load_dwordx2 v[6:7], v[58:59], off
	global_load_dwordx2 v[8:9], v[60:61], off
	global_load_dwordx2 v[10:11], v[62:63], off
	v_addc_co_u32_e32 v71, vcc, v1, v13, vcc
	global_load_dwordx2 v[12:13], v[64:65], off
	global_load_dwordx2 v[14:15], v[66:67], off
	global_load_dwordx2 v[16:17], v[68:69], off
	global_load_dwordx2 v[18:19], v[70:71], off
	v_lshlrev_b64 v[2:3], 3, v[2:3]
	v_add_co_u32_e32 v72, vcc, s0, v2
	v_addc_co_u32_e32 v73, vcc, v1, v3, vcc
	global_load_dwordx2 v[2:3], v24, s[0:1]
	global_load_dwordx2 v[20:21], v[72:73], off
	s_cmpk_lg_i32 s21, 0x84
	v_mov_b32_e32 v1, 0
	s_cselect_b64 s[22:23], -1, 0
	s_cmpk_eq_i32 s21, 0x84
	v_cmp_eq_u32_e64 s[0:1], 0, v0
	s_cbranch_scc1 .LBB9_3
; %bb.2:
	v_cmp_eq_u32_e64 s[2:3], 1, v0
	s_waitcnt vmcnt(1)
	v_cndmask_b32_e64 v22, v3, v5, s[2:3]
	v_cmp_eq_u32_e64 s[4:5], 2, v0
	v_cndmask_b32_e64 v22, v22, v7, s[4:5]
	v_cmp_eq_u32_e64 s[6:7], 3, v0
	;; [unrolled: 2-line block ×8, first 2 shown]
	s_waitcnt vmcnt(0)
	v_cndmask_b32_e64 v23, v22, v21, s[18:19]
	v_cndmask_b32_e64 v22, v2, v4, s[2:3]
	;; [unrolled: 1-line block ×10, first 2 shown]
	v_div_scale_f64 v[26:27], s[24:25], v[22:23], v[22:23], 1.0
	v_rcp_f64_e32 v[28:29], v[26:27]
	v_fma_f64 v[30:31], -v[26:27], v[28:29], 1.0
	v_fmac_f64_e32 v[28:29], v[28:29], v[30:31]
	v_fma_f64 v[30:31], -v[26:27], v[28:29], 1.0
	v_fmac_f64_e32 v[28:29], v[28:29], v[30:31]
	v_div_scale_f64 v[30:31], vcc, 1.0, v[22:23], 1.0
	v_mul_f64 v[32:33], v[30:31], v[28:29]
	v_fma_f64 v[26:27], -v[26:27], v[32:33], v[30:31]
	s_nop 1
	v_div_fmas_f64 v[26:27], v[26:27], v[28:29], v[32:33]
	v_div_fixup_f64 v[22:23], v[26:27], v[22:23], 1.0
	v_cndmask_b32_e64 v21, v21, v23, s[18:19]
	v_cndmask_b32_e64 v20, v20, v22, s[18:19]
	;; [unrolled: 1-line block ×20, first 2 shown]
	v_xor_b32_e32 v23, 0x80000000, v23
.LBB9_3:
	s_cmpk_eq_i32 s20, 0x79
	v_add_u32_e32 v77, 0x50, v24
	ds_write_b64 v24, v[22:23]
	s_cbranch_scc1 .LBB9_7
; %bb.4:
	s_waitcnt vmcnt(0)
	v_pk_mov_b32 v[52:53], v[32:33], v[32:33] op_sel:[0,1]
	v_cmp_eq_u32_e64 s[0:1], 9, v0
	v_pk_mov_b32 v[50:51], v[30:31], v[30:31] op_sel:[0,1]
	v_pk_mov_b32 v[48:49], v[28:29], v[28:29] op_sel:[0,1]
	;; [unrolled: 1-line block ×15, first 2 shown]
	ds_write_b64 v77, v[18:19]
	s_waitcnt lgkmcnt(0)
	; wave barrier
	s_waitcnt lgkmcnt(0)
	s_and_saveexec_b64 s[18:19], s[0:1]
	s_cbranch_execz .LBB9_11
; %bb.5:
	s_and_b64 vcc, exec, s[22:23]
	s_cbranch_vccz .LBB9_8
; %bb.6:
	v_cmp_eq_u32_e32 vcc, 1, v0
	v_cndmask_b32_e32 v22, v3, v5, vcc
	v_cmp_eq_u32_e64 s[2:3], 2, v0
	v_cndmask_b32_e64 v22, v22, v7, s[2:3]
	v_cmp_eq_u32_e64 s[4:5], 3, v0
	v_cndmask_b32_e64 v22, v22, v9, s[4:5]
	;; [unrolled: 2-line block ×8, first 2 shown]
	v_cndmask_b32_e32 v22, v2, v4, vcc
	v_cndmask_b32_e64 v22, v22, v6, s[2:3]
	v_cndmask_b32_e64 v22, v22, v8, s[4:5]
	;; [unrolled: 1-line block ×4, first 2 shown]
	ds_read_b64 v[24:25], v77
	v_cndmask_b32_e64 v22, v22, v14, s[10:11]
	v_cndmask_b32_e64 v22, v22, v16, s[12:13]
	;; [unrolled: 1-line block ×4, first 2 shown]
	s_waitcnt lgkmcnt(0)
	v_mul_f64 v[26:27], v[22:23], v[24:25]
	s_cbranch_execz .LBB9_9
	s_branch .LBB9_10
.LBB9_7:
                                        ; implicit-def: $vgpr22_vgpr23_vgpr24_vgpr25_vgpr26_vgpr27_vgpr28_vgpr29_vgpr30_vgpr31_vgpr32_vgpr33_vgpr34_vgpr35_vgpr36_vgpr37_vgpr38_vgpr39_vgpr40_vgpr41_vgpr42_vgpr43_vgpr44_vgpr45_vgpr46_vgpr47_vgpr48_vgpr49_vgpr50_vgpr51_vgpr52_vgpr53
	s_cbranch_execnz .LBB9_130
	s_branch .LBB9_225
.LBB9_8:
                                        ; implicit-def: $vgpr26_vgpr27
.LBB9_9:
	ds_read_b64 v[26:27], v77
.LBB9_10:
	v_mov_b32_e32 v22, 0
	ds_read_b64 v[28:29], v22 offset:64
	v_mov_b32_e32 v22, v2
	v_mov_b32_e32 v23, v3
	v_mov_b32_e32 v24, v4
	v_mov_b32_e32 v25, v5
	s_waitcnt lgkmcnt(0)
	v_mul_f64 v[38:39], v[26:27], v[28:29]
	v_mov_b32_e32 v26, v6
	v_mov_b32_e32 v27, v7
	;; [unrolled: 1-line block ×14, first 2 shown]
.LBB9_11:
	s_or_b64 exec, exec, s[18:19]
	v_cmp_lt_u32_e64 s[2:3], 7, v0
	ds_write_b64 v77, v[36:37]
	s_waitcnt lgkmcnt(0)
	; wave barrier
	s_waitcnt lgkmcnt(0)
	s_and_saveexec_b64 s[20:21], s[2:3]
	s_cbranch_execz .LBB9_17
; %bb.12:
	s_andn2_b64 vcc, exec, s[22:23]
	s_cbranch_vccnz .LBB9_14
; %bb.13:
	v_cmp_eq_u32_e32 vcc, 1, v0
	v_cndmask_b32_e32 v42, v23, v25, vcc
	v_cmp_eq_u32_e64 s[4:5], 2, v0
	v_cndmask_b32_e64 v42, v42, v27, s[4:5]
	v_cmp_eq_u32_e64 s[6:7], 3, v0
	v_cndmask_b32_e64 v42, v42, v29, s[6:7]
	;; [unrolled: 2-line block ×6, first 2 shown]
	v_cndmask_b32_e32 v42, v22, v24, vcc
	v_cndmask_b32_e64 v42, v42, v26, s[4:5]
	v_cndmask_b32_e64 v42, v42, v28, s[6:7]
	;; [unrolled: 1-line block ×4, first 2 shown]
	ds_read_b64 v[42:43], v77
	v_cndmask_b32_e64 v44, v44, v34, s[12:13]
	v_cmp_eq_u32_e64 s[16:17], 8, v0
	v_cndmask_b32_e64 v36, v44, v36, s[14:15]
	v_cndmask_b32_e64 v37, v37, v39, s[16:17]
	v_cmp_eq_u32_e64 s[18:19], 9, v0
	v_cndmask_b32_e64 v36, v36, v38, s[16:17]
	v_cndmask_b32_e64 v37, v37, v41, s[18:19]
	;; [unrolled: 1-line block ×3, first 2 shown]
	s_waitcnt lgkmcnt(0)
	v_mul_f64 v[36:37], v[36:37], v[42:43]
	s_cbranch_execz .LBB9_15
	s_branch .LBB9_16
.LBB9_14:
                                        ; implicit-def: $vgpr36_vgpr37
.LBB9_15:
	ds_read_b64 v[36:37], v77
.LBB9_16:
	v_mov_b32_e32 v42, 0
	ds_read2_b64 v[42:45], v42 offset0:7 offset1:18
	s_waitcnt lgkmcnt(0)
	v_fma_f64 v[44:45], v[38:39], v[44:45], v[36:37]
	v_cndmask_b32_e64 v37, v37, v45, s[0:1]
	v_cndmask_b32_e64 v36, v36, v44, s[0:1]
	v_mul_f64 v[36:37], v[36:37], v[42:43]
.LBB9_17:
	s_or_b64 exec, exec, s[20:21]
	v_cmp_lt_u32_e64 s[0:1], 6, v0
	ds_write_b64 v77, v[34:35]
	s_waitcnt lgkmcnt(0)
	; wave barrier
	s_waitcnt lgkmcnt(0)
	s_and_saveexec_b64 s[20:21], s[0:1]
	s_cbranch_execz .LBB9_33
; %bb.18:
	s_andn2_b64 vcc, exec, s[22:23]
	s_cbranch_vccnz .LBB9_20
; %bb.19:
	v_cmp_eq_u32_e32 vcc, 1, v0
	v_cndmask_b32_e32 v74, v23, v25, vcc
	v_cmp_eq_u32_e64 s[4:5], 2, v0
	v_cndmask_b32_e64 v74, v74, v27, s[4:5]
	v_cmp_eq_u32_e64 s[6:7], 3, v0
	v_cndmask_b32_e64 v74, v74, v29, s[6:7]
	;; [unrolled: 2-line block ×8, first 2 shown]
	v_cndmask_b32_e32 v74, v22, v24, vcc
	v_cndmask_b32_e64 v74, v74, v26, s[4:5]
	v_cndmask_b32_e64 v74, v74, v28, s[6:7]
	;; [unrolled: 1-line block ×4, first 2 shown]
	ds_read_b64 v[78:79], v77
	v_cndmask_b32_e64 v74, v74, v34, s[12:13]
	v_cndmask_b32_e64 v74, v74, v36, s[14:15]
	;; [unrolled: 1-line block ×4, first 2 shown]
	s_waitcnt lgkmcnt(0)
	v_mul_f64 v[74:75], v[74:75], v[78:79]
	s_cbranch_execz .LBB9_21
	s_branch .LBB9_22
.LBB9_20:
                                        ; implicit-def: $vgpr74_vgpr75
.LBB9_21:
	ds_read_b64 v[74:75], v77
.LBB9_22:
	s_and_saveexec_b64 s[6:7], s[2:3]
	s_cbranch_execz .LBB9_32
; %bb.23:
	v_add_u32_e32 v76, -8, v0
	v_add_u32_e32 v79, -7, v0
	v_cmp_lt_u32_e32 vcc, 6, v76
	v_mov_b32_e32 v78, 7
	s_and_saveexec_b64 s[2:3], vcc
	s_cbranch_execz .LBB9_27
; %bb.24:
	v_and_b32_e32 v76, -8, v79
	v_sub_u32_e32 v76, 0, v76
	s_mov_b64 s[4:5], 14
	s_movk_i32 s10, 0x88
	s_mov_b64 s[8:9], 0
.LBB9_25:                               ; =>This Inner Loop Header: Depth=1
	s_lshl_b32 s11, s4, 1
	s_add_i32 s12, s11, -13
	v_mov_b32_e32 v94, s10
	s_add_i32 s13, s11, -14
	s_set_gpr_idx_on s12, gpr_idx(SRC0)
	v_mov_b32_e32 v89, v22
	s_set_gpr_idx_off
	s_add_i32 s14, s11, -11
	s_set_gpr_idx_on s13, gpr_idx(SRC0)
	v_mov_b32_e32 v88, v22
	s_set_gpr_idx_off
	ds_read2_b64 v[80:83], v94 offset1:1
	s_add_i32 s15, s11, -12
	s_set_gpr_idx_on s14, gpr_idx(SRC0)
	v_mov_b32_e32 v91, v22
	s_set_gpr_idx_off
	s_add_i32 s16, s11, -9
	s_set_gpr_idx_on s15, gpr_idx(SRC0)
	v_mov_b32_e32 v90, v22
	s_set_gpr_idx_off
	;; [unrolled: 4-line block ×4, first 2 shown]
	ds_read2_b64 v[84:87], v94 offset0:2 offset1:3
	s_add_i32 s19, s11, -8
	s_waitcnt lgkmcnt(1)
	v_fmac_f64_e32 v[74:75], v[88:89], v[80:81]
	s_set_gpr_idx_on s18, gpr_idx(SRC0)
	v_mov_b32_e32 v89, v22
	s_set_gpr_idx_off
	s_add_i32 s24, s11, -5
	v_fmac_f64_e32 v[74:75], v[90:91], v[82:83]
	s_set_gpr_idx_on s19, gpr_idx(SRC0)
	v_mov_b32_e32 v88, v22
	s_set_gpr_idx_off
	s_add_i32 s25, s11, -6
	s_set_gpr_idx_on s24, gpr_idx(SRC0)
	v_mov_b32_e32 v91, v22
	s_set_gpr_idx_off
	s_add_i32 s26, s11, -3
	;; [unrolled: 4-line block ×3, first 2 shown]
	ds_read2_b64 v[80:83], v94 offset0:4 offset1:5
	s_waitcnt lgkmcnt(1)
	v_fmac_f64_e32 v[74:75], v[92:93], v[84:85]
	s_set_gpr_idx_on s26, gpr_idx(SRC0)
	v_mov_b32_e32 v93, v22
	s_set_gpr_idx_off
	s_add_i32 s28, s11, -1
	v_fmac_f64_e32 v[74:75], v[88:89], v[86:87]
	s_set_gpr_idx_on s27, gpr_idx(SRC0)
	v_mov_b32_e32 v92, v22
	s_set_gpr_idx_off
	s_add_i32 s29, s11, -2
	s_set_gpr_idx_on s28, gpr_idx(SRC0)
	v_mov_b32_e32 v89, v22
	s_set_gpr_idx_off
	s_set_gpr_idx_on s29, gpr_idx(SRC0)
	v_mov_b32_e32 v88, v22
	s_set_gpr_idx_off
	ds_read2_b64 v[84:87], v94 offset0:6 offset1:7
	s_add_u32 s4, s4, 8
	s_waitcnt lgkmcnt(1)
	v_fmac_f64_e32 v[74:75], v[90:91], v[80:81]
	s_set_gpr_idx_on s11, gpr_idx(SRC0)
	v_mov_b32_e32 v81, v23
	s_set_gpr_idx_off
	v_add_u32_e32 v78, s4, v76
	v_fmac_f64_e32 v[74:75], v[92:93], v[82:83]
	s_set_gpr_idx_on s11, gpr_idx(SRC0)
	v_mov_b32_e32 v80, v22
	s_set_gpr_idx_off
	s_addc_u32 s5, s5, 0
	s_add_i32 s10, s10, 64
	s_add_i32 s12, s4, -7
	v_cmp_eq_u32_e32 vcc, 14, v78
	s_waitcnt lgkmcnt(0)
	v_fmac_f64_e32 v[74:75], v[88:89], v[84:85]
	v_mov_b32_e32 v78, s12
	s_or_b64 s[8:9], vcc, s[8:9]
	v_fmac_f64_e32 v[74:75], v[80:81], v[86:87]
	s_andn2_b64 exec, exec, s[8:9]
	s_cbranch_execnz .LBB9_25
; %bb.26:
	s_or_b64 exec, exec, s[8:9]
.LBB9_27:
	s_or_b64 exec, exec, s[2:3]
	v_and_b32_e32 v42, 7, v79
	v_cmp_ne_u32_e32 vcc, 0, v42
	s_and_saveexec_b64 s[8:9], vcc
	s_cbranch_execz .LBB9_31
; %bb.28:
	v_mov_b32_e32 v43, 0x50
	v_lshl_add_u32 v44, v78, 3, v43
	v_mov_b32_e32 v43, 0
	s_mov_b64 s[10:11], 0
.LBB9_29:                               ; =>This Inner Loop Header: Depth=1
	v_cmp_eq_u32_e32 vcc, 1, v78
	v_cndmask_b32_e32 v45, v23, v25, vcc
	v_add_u32_e32 v42, -1, v42
	v_cmp_eq_u32_e64 s[2:3], 2, v78
	v_cndmask_b32_e64 v45, v45, v27, s[2:3]
	v_cndmask_b32_e32 v48, v22, v24, vcc
	v_cmp_eq_u32_e32 vcc, 0, v42
	v_cmp_eq_u32_e64 s[4:5], 3, v78
	v_cndmask_b32_e64 v45, v45, v29, s[4:5]
	v_cndmask_b32_e64 v48, v48, v26, s[2:3]
	s_or_b64 s[10:11], vcc, s[10:11]
	v_cmp_eq_u32_e32 vcc, 4, v78
	v_cndmask_b32_e32 v45, v45, v31, vcc
	v_cndmask_b32_e64 v48, v48, v28, s[4:5]
	v_cmp_eq_u32_e64 s[2:3], 5, v78
	v_cndmask_b32_e64 v45, v45, v33, s[2:3]
	v_cndmask_b32_e32 v48, v48, v30, vcc
	v_cmp_eq_u32_e32 vcc, 6, v78
	ds_read_b64 v[46:47], v44
	v_cndmask_b32_e32 v45, v45, v35, vcc
	v_cndmask_b32_e64 v48, v48, v32, s[2:3]
	v_cmp_eq_u32_e64 s[2:3], 7, v78
	v_cndmask_b32_e64 v45, v45, v37, s[2:3]
	v_cndmask_b32_e32 v48, v48, v34, vcc
	v_cmp_eq_u32_e32 vcc, 8, v78
	v_cndmask_b32_e32 v45, v45, v39, vcc
	v_cmp_eq_u32_e64 s[4:5], 9, v78
	v_cndmask_b32_e64 v48, v48, v36, s[2:3]
	v_cndmask_b32_e64 v49, v45, v41, s[4:5]
	v_cndmask_b32_e32 v45, v48, v38, vcc
	v_add_co_u32_e64 v78, s[2:3], 1, v78
	v_cndmask_b32_e64 v48, v45, v40, s[4:5]
	v_add_u32_e32 v44, 8, v44
	v_addc_co_u32_e64 v43, s[2:3], 0, v43, s[2:3]
	s_waitcnt lgkmcnt(0)
	v_fmac_f64_e32 v[74:75], v[48:49], v[46:47]
	s_andn2_b64 exec, exec, s[10:11]
	s_cbranch_execnz .LBB9_29
; %bb.30:
	s_or_b64 exec, exec, s[10:11]
.LBB9_31:
	s_or_b64 exec, exec, s[8:9]
.LBB9_32:
	s_or_b64 exec, exec, s[6:7]
	v_mov_b32_e32 v34, 0
	ds_read_b64 v[34:35], v34 offset:48
	s_waitcnt lgkmcnt(0)
	v_mul_f64 v[34:35], v[74:75], v[34:35]
.LBB9_33:
	s_or_b64 exec, exec, s[20:21]
	v_cmp_lt_u32_e64 s[2:3], 5, v0
	ds_write_b64 v77, v[32:33]
	s_waitcnt lgkmcnt(0)
	; wave barrier
	s_waitcnt lgkmcnt(0)
	s_and_saveexec_b64 s[20:21], s[2:3]
	s_cbranch_execz .LBB9_49
; %bb.34:
	s_andn2_b64 vcc, exec, s[22:23]
	s_cbranch_vccnz .LBB9_36
; %bb.35:
	v_cmp_eq_u32_e32 vcc, 1, v0
	v_cndmask_b32_e32 v74, v23, v25, vcc
	v_cmp_eq_u32_e64 s[4:5], 2, v0
	v_cndmask_b32_e64 v74, v74, v27, s[4:5]
	v_cmp_eq_u32_e64 s[6:7], 3, v0
	v_cndmask_b32_e64 v74, v74, v29, s[6:7]
	v_cmp_eq_u32_e64 s[8:9], 4, v0
	v_cndmask_b32_e64 v74, v74, v31, s[8:9]
	v_cmp_eq_u32_e64 s[10:11], 5, v0
	v_cndmask_b32_e64 v74, v74, v33, s[10:11]
	v_cmp_eq_u32_e64 s[12:13], 6, v0
	v_cndmask_b32_e64 v74, v74, v35, s[12:13]
	v_cmp_eq_u32_e64 s[14:15], 7, v0
	v_cndmask_b32_e64 v74, v74, v37, s[14:15]
	v_cmp_eq_u32_e64 s[16:17], 8, v0
	v_cndmask_b32_e64 v74, v74, v39, s[16:17]
	v_cmp_eq_u32_e64 s[18:19], 9, v0
	v_cndmask_b32_e64 v75, v74, v41, s[18:19]
	v_cndmask_b32_e32 v74, v22, v24, vcc
	v_cndmask_b32_e64 v74, v74, v26, s[4:5]
	v_cndmask_b32_e64 v74, v74, v28, s[6:7]
	;; [unrolled: 1-line block ×4, first 2 shown]
	ds_read_b64 v[78:79], v77
	v_cndmask_b32_e64 v74, v74, v34, s[12:13]
	v_cndmask_b32_e64 v74, v74, v36, s[14:15]
	;; [unrolled: 1-line block ×4, first 2 shown]
	s_waitcnt lgkmcnt(0)
	v_mul_f64 v[74:75], v[74:75], v[78:79]
	s_cbranch_execz .LBB9_37
	s_branch .LBB9_38
.LBB9_36:
                                        ; implicit-def: $vgpr74_vgpr75
.LBB9_37:
	ds_read_b64 v[74:75], v77
.LBB9_38:
	s_and_saveexec_b64 s[6:7], s[0:1]
	s_cbranch_execz .LBB9_48
; %bb.39:
	v_add_u32_e32 v76, -7, v0
	v_add_u32_e32 v79, -6, v0
	v_cmp_lt_u32_e32 vcc, 6, v76
	v_mov_b32_e32 v78, 6
	s_and_saveexec_b64 s[0:1], vcc
	s_cbranch_execz .LBB9_43
; %bb.40:
	v_and_b32_e32 v76, -8, v79
	v_sub_u32_e32 v76, 0, v76
	s_mov_b64 s[4:5], 13
	s_movk_i32 s10, 0x80
	s_mov_b64 s[8:9], 0
.LBB9_41:                               ; =>This Inner Loop Header: Depth=1
	s_lshl_b32 s11, s4, 1
	s_add_i32 s12, s11, -13
	s_add_i32 s13, s11, -14
	s_set_gpr_idx_on s12, gpr_idx(SRC0)
	v_mov_b32_e32 v97, v22
	s_set_gpr_idx_off
	v_mov_b32_e32 v78, s10
	s_add_i32 s14, s11, -11
	s_set_gpr_idx_on s13, gpr_idx(SRC0)
	v_mov_b32_e32 v96, v22
	s_set_gpr_idx_off
	s_add_i32 s15, s11, -12
	ds_read_b128 v[80:83], v78
	ds_read_b128 v[84:87], v78 offset:16
	ds_read_b128 v[88:91], v78 offset:32
	;; [unrolled: 1-line block ×3, first 2 shown]
	s_set_gpr_idx_on s14, gpr_idx(SRC0)
	v_mov_b32_e32 v99, v22
	s_set_gpr_idx_off
	s_add_i32 s16, s11, -9
	s_set_gpr_idx_on s15, gpr_idx(SRC0)
	v_mov_b32_e32 v98, v22
	s_set_gpr_idx_off
	s_add_i32 s17, s11, -10
	;; [unrolled: 4-line block ×4, first 2 shown]
	s_waitcnt lgkmcnt(3)
	v_fmac_f64_e32 v[74:75], v[96:97], v[80:81]
	s_set_gpr_idx_on s18, gpr_idx(SRC0)
	v_mov_b32_e32 v81, v22
	s_set_gpr_idx_off
	s_add_i32 s24, s11, -5
	v_fmac_f64_e32 v[74:75], v[98:99], v[82:83]
	s_set_gpr_idx_on s19, gpr_idx(SRC0)
	v_mov_b32_e32 v80, v22
	s_set_gpr_idx_off
	s_add_i32 s25, s11, -6
	s_waitcnt lgkmcnt(2)
	v_fmac_f64_e32 v[74:75], v[100:101], v[84:85]
	s_set_gpr_idx_on s24, gpr_idx(SRC0)
	v_mov_b32_e32 v83, v22
	s_set_gpr_idx_off
	s_add_i32 s26, s11, -3
	v_fmac_f64_e32 v[74:75], v[80:81], v[86:87]
	s_set_gpr_idx_on s25, gpr_idx(SRC0)
	v_mov_b32_e32 v82, v22
	s_set_gpr_idx_off
	s_add_i32 s27, s11, -4
	s_waitcnt lgkmcnt(1)
	v_fmac_f64_e32 v[74:75], v[82:83], v[88:89]
	s_set_gpr_idx_on s26, gpr_idx(SRC0)
	v_mov_b32_e32 v81, v22
	s_set_gpr_idx_off
	s_add_i32 s28, s11, -1
	s_set_gpr_idx_on s27, gpr_idx(SRC0)
	v_mov_b32_e32 v80, v22
	s_set_gpr_idx_off
	s_add_i32 s29, s11, -2
	v_fmac_f64_e32 v[74:75], v[80:81], v[90:91]
	s_set_gpr_idx_on s28, gpr_idx(SRC0)
	v_mov_b32_e32 v81, v22
	s_set_gpr_idx_off
	s_add_u32 s4, s4, 8
	s_set_gpr_idx_on s29, gpr_idx(SRC0)
	v_mov_b32_e32 v80, v22
	s_set_gpr_idx_off
	v_add_u32_e32 v78, s4, v76
	s_waitcnt lgkmcnt(0)
	v_fmac_f64_e32 v[74:75], v[80:81], v[92:93]
	s_set_gpr_idx_on s11, gpr_idx(SRC0)
	v_mov_b32_e32 v81, v23
	s_set_gpr_idx_off
	s_addc_u32 s5, s5, 0
	s_add_i32 s10, s10, 64
	s_add_i32 s12, s4, -7
	v_cmp_eq_u32_e32 vcc, 13, v78
	s_set_gpr_idx_on s11, gpr_idx(SRC0)
	v_mov_b32_e32 v80, v22
	s_set_gpr_idx_off
	v_mov_b32_e32 v78, s12
	s_or_b64 s[8:9], vcc, s[8:9]
	v_fmac_f64_e32 v[74:75], v[80:81], v[94:95]
	s_andn2_b64 exec, exec, s[8:9]
	s_cbranch_execnz .LBB9_41
; %bb.42:
	s_or_b64 exec, exec, s[8:9]
.LBB9_43:
	s_or_b64 exec, exec, s[0:1]
	v_and_b32_e32 v42, 7, v79
	v_cmp_ne_u32_e32 vcc, 0, v42
	s_and_saveexec_b64 s[8:9], vcc
	s_cbranch_execz .LBB9_47
; %bb.44:
	v_mov_b32_e32 v43, 0x50
	v_lshl_add_u32 v44, v78, 3, v43
	v_mov_b32_e32 v43, 0
	s_mov_b64 s[10:11], 0
.LBB9_45:                               ; =>This Inner Loop Header: Depth=1
	v_cmp_eq_u32_e32 vcc, 1, v78
	v_cndmask_b32_e32 v45, v23, v25, vcc
	v_add_u32_e32 v42, -1, v42
	v_cmp_eq_u32_e64 s[0:1], 2, v78
	v_cndmask_b32_e64 v45, v45, v27, s[0:1]
	v_cndmask_b32_e32 v48, v22, v24, vcc
	v_cmp_eq_u32_e32 vcc, 0, v42
	v_cmp_eq_u32_e64 s[4:5], 3, v78
	v_cndmask_b32_e64 v45, v45, v29, s[4:5]
	v_cndmask_b32_e64 v48, v48, v26, s[0:1]
	s_or_b64 s[10:11], vcc, s[10:11]
	v_cmp_eq_u32_e32 vcc, 4, v78
	v_cndmask_b32_e32 v45, v45, v31, vcc
	v_cndmask_b32_e64 v48, v48, v28, s[4:5]
	v_cmp_eq_u32_e64 s[0:1], 5, v78
	v_cndmask_b32_e64 v45, v45, v33, s[0:1]
	v_cndmask_b32_e32 v48, v48, v30, vcc
	v_cmp_eq_u32_e32 vcc, 6, v78
	ds_read_b64 v[46:47], v44
	v_cndmask_b32_e32 v45, v45, v35, vcc
	v_cndmask_b32_e64 v48, v48, v32, s[0:1]
	v_cmp_eq_u32_e64 s[0:1], 7, v78
	v_cndmask_b32_e64 v45, v45, v37, s[0:1]
	v_cndmask_b32_e32 v48, v48, v34, vcc
	v_cmp_eq_u32_e32 vcc, 8, v78
	v_cndmask_b32_e32 v45, v45, v39, vcc
	v_cmp_eq_u32_e64 s[4:5], 9, v78
	v_cndmask_b32_e64 v48, v48, v36, s[0:1]
	v_cndmask_b32_e64 v49, v45, v41, s[4:5]
	v_cndmask_b32_e32 v45, v48, v38, vcc
	v_add_co_u32_e64 v78, s[0:1], 1, v78
	v_cndmask_b32_e64 v48, v45, v40, s[4:5]
	v_add_u32_e32 v44, 8, v44
	v_addc_co_u32_e64 v43, s[0:1], 0, v43, s[0:1]
	s_waitcnt lgkmcnt(0)
	v_fmac_f64_e32 v[74:75], v[48:49], v[46:47]
	s_andn2_b64 exec, exec, s[10:11]
	s_cbranch_execnz .LBB9_45
; %bb.46:
	s_or_b64 exec, exec, s[10:11]
.LBB9_47:
	s_or_b64 exec, exec, s[8:9]
.LBB9_48:
	s_or_b64 exec, exec, s[6:7]
	v_mov_b32_e32 v32, 0
	ds_read_b64 v[32:33], v32 offset:40
	s_waitcnt lgkmcnt(0)
	v_mul_f64 v[32:33], v[74:75], v[32:33]
.LBB9_49:
	s_or_b64 exec, exec, s[20:21]
	v_cmp_lt_u32_e64 s[0:1], 4, v0
	ds_write_b64 v77, v[30:31]
	s_waitcnt lgkmcnt(0)
	; wave barrier
	s_waitcnt lgkmcnt(0)
	s_and_saveexec_b64 s[20:21], s[0:1]
	s_cbranch_execz .LBB9_65
; %bb.50:
	s_andn2_b64 vcc, exec, s[22:23]
	s_cbranch_vccnz .LBB9_52
; %bb.51:
	v_cmp_eq_u32_e32 vcc, 1, v0
	v_cndmask_b32_e32 v74, v23, v25, vcc
	v_cmp_eq_u32_e64 s[4:5], 2, v0
	v_cndmask_b32_e64 v74, v74, v27, s[4:5]
	v_cmp_eq_u32_e64 s[6:7], 3, v0
	v_cndmask_b32_e64 v74, v74, v29, s[6:7]
	;; [unrolled: 2-line block ×8, first 2 shown]
	v_cndmask_b32_e32 v74, v22, v24, vcc
	v_cndmask_b32_e64 v74, v74, v26, s[4:5]
	v_cndmask_b32_e64 v74, v74, v28, s[6:7]
	;; [unrolled: 1-line block ×4, first 2 shown]
	ds_read_b64 v[78:79], v77
	v_cndmask_b32_e64 v74, v74, v34, s[12:13]
	v_cndmask_b32_e64 v74, v74, v36, s[14:15]
	;; [unrolled: 1-line block ×4, first 2 shown]
	s_waitcnt lgkmcnt(0)
	v_mul_f64 v[74:75], v[74:75], v[78:79]
	s_cbranch_execz .LBB9_53
	s_branch .LBB9_54
.LBB9_52:
                                        ; implicit-def: $vgpr74_vgpr75
.LBB9_53:
	ds_read_b64 v[74:75], v77
.LBB9_54:
	s_and_saveexec_b64 s[6:7], s[2:3]
	s_cbranch_execz .LBB9_64
; %bb.55:
	v_add_u32_e32 v76, -6, v0
	v_add_u32_e32 v79, -5, v0
	v_cmp_lt_u32_e32 vcc, 6, v76
	v_mov_b32_e32 v78, 5
	s_and_saveexec_b64 s[2:3], vcc
	s_cbranch_execz .LBB9_59
; %bb.56:
	v_and_b32_e32 v76, -8, v79
	v_sub_u32_e32 v76, 0, v76
	s_mov_b64 s[4:5], 12
	s_movk_i32 s10, 0x78
	s_mov_b64 s[8:9], 0
.LBB9_57:                               ; =>This Inner Loop Header: Depth=1
	s_lshl_b32 s11, s4, 1
	s_add_i32 s12, s11, -13
	v_mov_b32_e32 v94, s10
	s_add_i32 s13, s11, -14
	s_set_gpr_idx_on s12, gpr_idx(SRC0)
	v_mov_b32_e32 v89, v22
	s_set_gpr_idx_off
	s_add_i32 s14, s11, -11
	s_set_gpr_idx_on s13, gpr_idx(SRC0)
	v_mov_b32_e32 v88, v22
	s_set_gpr_idx_off
	ds_read2_b64 v[80:83], v94 offset1:1
	s_add_i32 s15, s11, -12
	s_set_gpr_idx_on s14, gpr_idx(SRC0)
	v_mov_b32_e32 v91, v22
	s_set_gpr_idx_off
	s_add_i32 s16, s11, -9
	s_set_gpr_idx_on s15, gpr_idx(SRC0)
	v_mov_b32_e32 v90, v22
	s_set_gpr_idx_off
	;; [unrolled: 4-line block ×4, first 2 shown]
	ds_read2_b64 v[84:87], v94 offset0:2 offset1:3
	s_add_i32 s19, s11, -8
	s_waitcnt lgkmcnt(1)
	v_fmac_f64_e32 v[74:75], v[88:89], v[80:81]
	s_set_gpr_idx_on s18, gpr_idx(SRC0)
	v_mov_b32_e32 v89, v22
	s_set_gpr_idx_off
	s_add_i32 s24, s11, -5
	v_fmac_f64_e32 v[74:75], v[90:91], v[82:83]
	s_set_gpr_idx_on s19, gpr_idx(SRC0)
	v_mov_b32_e32 v88, v22
	s_set_gpr_idx_off
	s_add_i32 s25, s11, -6
	s_set_gpr_idx_on s24, gpr_idx(SRC0)
	v_mov_b32_e32 v91, v22
	s_set_gpr_idx_off
	s_add_i32 s26, s11, -3
	;; [unrolled: 4-line block ×3, first 2 shown]
	ds_read2_b64 v[80:83], v94 offset0:4 offset1:5
	s_waitcnt lgkmcnt(1)
	v_fmac_f64_e32 v[74:75], v[92:93], v[84:85]
	s_set_gpr_idx_on s26, gpr_idx(SRC0)
	v_mov_b32_e32 v93, v22
	s_set_gpr_idx_off
	s_add_i32 s28, s11, -1
	v_fmac_f64_e32 v[74:75], v[88:89], v[86:87]
	s_set_gpr_idx_on s27, gpr_idx(SRC0)
	v_mov_b32_e32 v92, v22
	s_set_gpr_idx_off
	s_add_i32 s29, s11, -2
	s_set_gpr_idx_on s28, gpr_idx(SRC0)
	v_mov_b32_e32 v89, v22
	s_set_gpr_idx_off
	s_set_gpr_idx_on s29, gpr_idx(SRC0)
	v_mov_b32_e32 v88, v22
	s_set_gpr_idx_off
	ds_read2_b64 v[84:87], v94 offset0:6 offset1:7
	s_add_u32 s4, s4, 8
	s_waitcnt lgkmcnt(1)
	v_fmac_f64_e32 v[74:75], v[90:91], v[80:81]
	s_set_gpr_idx_on s11, gpr_idx(SRC0)
	v_mov_b32_e32 v81, v23
	s_set_gpr_idx_off
	v_add_u32_e32 v78, s4, v76
	v_fmac_f64_e32 v[74:75], v[92:93], v[82:83]
	s_set_gpr_idx_on s11, gpr_idx(SRC0)
	v_mov_b32_e32 v80, v22
	s_set_gpr_idx_off
	s_addc_u32 s5, s5, 0
	s_add_i32 s10, s10, 64
	s_add_i32 s12, s4, -7
	v_cmp_eq_u32_e32 vcc, 12, v78
	s_waitcnt lgkmcnt(0)
	v_fmac_f64_e32 v[74:75], v[88:89], v[84:85]
	v_mov_b32_e32 v78, s12
	s_or_b64 s[8:9], vcc, s[8:9]
	v_fmac_f64_e32 v[74:75], v[80:81], v[86:87]
	s_andn2_b64 exec, exec, s[8:9]
	s_cbranch_execnz .LBB9_57
; %bb.58:
	s_or_b64 exec, exec, s[8:9]
.LBB9_59:
	s_or_b64 exec, exec, s[2:3]
	v_and_b32_e32 v42, 7, v79
	v_cmp_ne_u32_e32 vcc, 0, v42
	s_and_saveexec_b64 s[8:9], vcc
	s_cbranch_execz .LBB9_63
; %bb.60:
	v_mov_b32_e32 v43, 0x50
	v_lshl_add_u32 v44, v78, 3, v43
	v_mov_b32_e32 v43, 0
	s_mov_b64 s[10:11], 0
.LBB9_61:                               ; =>This Inner Loop Header: Depth=1
	v_cmp_eq_u32_e32 vcc, 1, v78
	v_cndmask_b32_e32 v45, v23, v25, vcc
	v_add_u32_e32 v42, -1, v42
	v_cmp_eq_u32_e64 s[2:3], 2, v78
	v_cndmask_b32_e64 v45, v45, v27, s[2:3]
	v_cndmask_b32_e32 v48, v22, v24, vcc
	v_cmp_eq_u32_e32 vcc, 0, v42
	v_cmp_eq_u32_e64 s[4:5], 3, v78
	v_cndmask_b32_e64 v45, v45, v29, s[4:5]
	v_cndmask_b32_e64 v48, v48, v26, s[2:3]
	s_or_b64 s[10:11], vcc, s[10:11]
	v_cmp_eq_u32_e32 vcc, 4, v78
	v_cndmask_b32_e32 v45, v45, v31, vcc
	v_cndmask_b32_e64 v48, v48, v28, s[4:5]
	v_cmp_eq_u32_e64 s[2:3], 5, v78
	v_cndmask_b32_e64 v45, v45, v33, s[2:3]
	v_cndmask_b32_e32 v48, v48, v30, vcc
	v_cmp_eq_u32_e32 vcc, 6, v78
	ds_read_b64 v[46:47], v44
	v_cndmask_b32_e32 v45, v45, v35, vcc
	v_cndmask_b32_e64 v48, v48, v32, s[2:3]
	v_cmp_eq_u32_e64 s[2:3], 7, v78
	v_cndmask_b32_e64 v45, v45, v37, s[2:3]
	v_cndmask_b32_e32 v48, v48, v34, vcc
	v_cmp_eq_u32_e32 vcc, 8, v78
	v_cndmask_b32_e32 v45, v45, v39, vcc
	v_cmp_eq_u32_e64 s[4:5], 9, v78
	v_cndmask_b32_e64 v48, v48, v36, s[2:3]
	v_cndmask_b32_e64 v49, v45, v41, s[4:5]
	v_cndmask_b32_e32 v45, v48, v38, vcc
	v_add_co_u32_e64 v78, s[2:3], 1, v78
	v_cndmask_b32_e64 v48, v45, v40, s[4:5]
	v_add_u32_e32 v44, 8, v44
	v_addc_co_u32_e64 v43, s[2:3], 0, v43, s[2:3]
	s_waitcnt lgkmcnt(0)
	v_fmac_f64_e32 v[74:75], v[48:49], v[46:47]
	s_andn2_b64 exec, exec, s[10:11]
	s_cbranch_execnz .LBB9_61
; %bb.62:
	s_or_b64 exec, exec, s[10:11]
.LBB9_63:
	s_or_b64 exec, exec, s[8:9]
.LBB9_64:
	s_or_b64 exec, exec, s[6:7]
	v_mov_b32_e32 v30, 0
	ds_read_b64 v[30:31], v30 offset:32
	s_waitcnt lgkmcnt(0)
	v_mul_f64 v[30:31], v[74:75], v[30:31]
.LBB9_65:
	s_or_b64 exec, exec, s[20:21]
	v_cmp_lt_u32_e64 s[2:3], 3, v0
	ds_write_b64 v77, v[28:29]
	s_waitcnt lgkmcnt(0)
	; wave barrier
	s_waitcnt lgkmcnt(0)
	s_and_saveexec_b64 s[20:21], s[2:3]
	s_cbranch_execz .LBB9_81
; %bb.66:
	s_andn2_b64 vcc, exec, s[22:23]
	s_cbranch_vccnz .LBB9_68
; %bb.67:
	v_cmp_eq_u32_e32 vcc, 1, v0
	v_cndmask_b32_e32 v74, v23, v25, vcc
	v_cmp_eq_u32_e64 s[4:5], 2, v0
	v_cndmask_b32_e64 v74, v74, v27, s[4:5]
	v_cmp_eq_u32_e64 s[6:7], 3, v0
	v_cndmask_b32_e64 v74, v74, v29, s[6:7]
	;; [unrolled: 2-line block ×8, first 2 shown]
	v_cndmask_b32_e32 v74, v22, v24, vcc
	v_cndmask_b32_e64 v74, v74, v26, s[4:5]
	v_cndmask_b32_e64 v74, v74, v28, s[6:7]
	;; [unrolled: 1-line block ×4, first 2 shown]
	ds_read_b64 v[78:79], v77
	v_cndmask_b32_e64 v74, v74, v34, s[12:13]
	v_cndmask_b32_e64 v74, v74, v36, s[14:15]
	;; [unrolled: 1-line block ×4, first 2 shown]
	s_waitcnt lgkmcnt(0)
	v_mul_f64 v[74:75], v[74:75], v[78:79]
	s_cbranch_execz .LBB9_69
	s_branch .LBB9_70
.LBB9_68:
                                        ; implicit-def: $vgpr74_vgpr75
.LBB9_69:
	ds_read_b64 v[74:75], v77
.LBB9_70:
	s_and_saveexec_b64 s[6:7], s[0:1]
	s_cbranch_execz .LBB9_80
; %bb.71:
	v_add_u32_e32 v76, -5, v0
	v_add_u32_e32 v79, -4, v0
	v_cmp_lt_u32_e32 vcc, 6, v76
	v_mov_b32_e32 v78, 4
	s_and_saveexec_b64 s[0:1], vcc
	s_cbranch_execz .LBB9_75
; %bb.72:
	v_and_b32_e32 v76, -8, v79
	v_sub_u32_e32 v76, 0, v76
	s_mov_b64 s[4:5], 5
	s_movk_i32 s10, 0x70
	s_mov_b64 s[8:9], 0
.LBB9_73:                               ; =>This Inner Loop Header: Depth=1
	s_lshl_b32 s11, s4, 1
	s_add_i32 s12, s11, -1
	s_add_i32 s13, s11, -2
	s_set_gpr_idx_on s12, gpr_idx(SRC0)
	v_mov_b32_e32 v97, v22
	s_set_gpr_idx_off
	v_mov_b32_e32 v78, s10
	s_set_gpr_idx_on s13, gpr_idx(SRC0)
	v_mov_b32_e32 v96, v22
	s_set_gpr_idx_off
	ds_read_b128 v[80:83], v78
	ds_read_b128 v[84:87], v78 offset:16
	ds_read_b128 v[88:91], v78 offset:32
	;; [unrolled: 1-line block ×3, first 2 shown]
	s_set_gpr_idx_on s11, gpr_idx(SRC0)
	v_mov_b32_e32 v99, v23
	s_add_i32 s14, s11, 3
	v_mov_b32_e32 v98, v22
	s_set_gpr_idx_off
	s_add_i32 s15, s11, 2
	s_set_gpr_idx_on s14, gpr_idx(SRC0)
	v_mov_b32_e32 v101, v22
	s_set_gpr_idx_off
	s_add_i32 s16, s11, 5
	s_set_gpr_idx_on s15, gpr_idx(SRC0)
	v_mov_b32_e32 v100, v22
	s_set_gpr_idx_off
	s_add_i32 s17, s11, 4
	s_waitcnt lgkmcnt(3)
	v_fmac_f64_e32 v[74:75], v[96:97], v[80:81]
	s_set_gpr_idx_on s16, gpr_idx(SRC0)
	v_mov_b32_e32 v81, v22
	s_set_gpr_idx_off
	s_add_i32 s18, s11, 7
	v_fmac_f64_e32 v[74:75], v[98:99], v[82:83]
	s_set_gpr_idx_on s17, gpr_idx(SRC0)
	v_mov_b32_e32 v80, v22
	s_set_gpr_idx_off
	s_add_i32 s19, s11, 6
	s_waitcnt lgkmcnt(2)
	v_fmac_f64_e32 v[74:75], v[100:101], v[84:85]
	s_set_gpr_idx_on s18, gpr_idx(SRC0)
	v_mov_b32_e32 v83, v22
	s_set_gpr_idx_off
	s_add_i32 s24, s11, 9
	v_fmac_f64_e32 v[74:75], v[80:81], v[86:87]
	s_set_gpr_idx_on s19, gpr_idx(SRC0)
	v_mov_b32_e32 v82, v22
	s_set_gpr_idx_off
	s_add_i32 s25, s11, 8
	s_waitcnt lgkmcnt(1)
	v_fmac_f64_e32 v[74:75], v[82:83], v[88:89]
	s_set_gpr_idx_on s24, gpr_idx(SRC0)
	v_mov_b32_e32 v81, v22
	s_set_gpr_idx_off
	s_add_i32 s26, s11, 11
	s_set_gpr_idx_on s25, gpr_idx(SRC0)
	v_mov_b32_e32 v80, v22
	s_set_gpr_idx_off
	s_add_i32 s27, s11, 10
	s_add_i32 s28, s11, 13
	;; [unrolled: 1-line block ×3, first 2 shown]
	v_fmac_f64_e32 v[74:75], v[80:81], v[90:91]
	s_set_gpr_idx_on s26, gpr_idx(SRC0)
	v_mov_b32_e32 v81, v22
	s_set_gpr_idx_off
	s_add_u32 s4, s4, 8
	s_set_gpr_idx_on s27, gpr_idx(SRC0)
	v_mov_b32_e32 v80, v22
	s_set_gpr_idx_off
	v_add_u32_e32 v78, s4, v76
	s_waitcnt lgkmcnt(0)
	v_fmac_f64_e32 v[74:75], v[80:81], v[92:93]
	s_set_gpr_idx_on s28, gpr_idx(SRC0)
	v_mov_b32_e32 v81, v22
	s_set_gpr_idx_off
	s_addc_u32 s5, s5, 0
	s_add_i32 s10, s10, 64
	s_add_i32 s12, s4, -1
	v_cmp_eq_u32_e32 vcc, 5, v78
	s_set_gpr_idx_on s29, gpr_idx(SRC0)
	v_mov_b32_e32 v80, v22
	s_set_gpr_idx_off
	v_mov_b32_e32 v78, s12
	s_or_b64 s[8:9], vcc, s[8:9]
	v_fmac_f64_e32 v[74:75], v[80:81], v[94:95]
	s_andn2_b64 exec, exec, s[8:9]
	s_cbranch_execnz .LBB9_73
; %bb.74:
	s_or_b64 exec, exec, s[8:9]
.LBB9_75:
	s_or_b64 exec, exec, s[0:1]
	v_and_b32_e32 v42, 7, v79
	v_cmp_ne_u32_e32 vcc, 0, v42
	s_and_saveexec_b64 s[8:9], vcc
	s_cbranch_execz .LBB9_79
; %bb.76:
	v_mov_b32_e32 v43, 0x50
	v_lshl_add_u32 v44, v78, 3, v43
	v_mov_b32_e32 v43, 0
	s_mov_b64 s[10:11], 0
.LBB9_77:                               ; =>This Inner Loop Header: Depth=1
	v_cmp_eq_u32_e32 vcc, 1, v78
	v_cndmask_b32_e32 v45, v23, v25, vcc
	v_add_u32_e32 v42, -1, v42
	v_cmp_eq_u32_e64 s[0:1], 2, v78
	v_cndmask_b32_e64 v45, v45, v27, s[0:1]
	v_cndmask_b32_e32 v48, v22, v24, vcc
	v_cmp_eq_u32_e32 vcc, 0, v42
	v_cmp_eq_u32_e64 s[4:5], 3, v78
	v_cndmask_b32_e64 v45, v45, v29, s[4:5]
	v_cndmask_b32_e64 v48, v48, v26, s[0:1]
	s_or_b64 s[10:11], vcc, s[10:11]
	v_cmp_eq_u32_e32 vcc, 4, v78
	v_cndmask_b32_e32 v45, v45, v31, vcc
	v_cndmask_b32_e64 v48, v48, v28, s[4:5]
	v_cmp_eq_u32_e64 s[0:1], 5, v78
	v_cndmask_b32_e64 v45, v45, v33, s[0:1]
	v_cndmask_b32_e32 v48, v48, v30, vcc
	v_cmp_eq_u32_e32 vcc, 6, v78
	ds_read_b64 v[46:47], v44
	v_cndmask_b32_e32 v45, v45, v35, vcc
	v_cndmask_b32_e64 v48, v48, v32, s[0:1]
	v_cmp_eq_u32_e64 s[0:1], 7, v78
	v_cndmask_b32_e64 v45, v45, v37, s[0:1]
	v_cndmask_b32_e32 v48, v48, v34, vcc
	v_cmp_eq_u32_e32 vcc, 8, v78
	v_cndmask_b32_e32 v45, v45, v39, vcc
	v_cmp_eq_u32_e64 s[4:5], 9, v78
	v_cndmask_b32_e64 v48, v48, v36, s[0:1]
	v_cndmask_b32_e64 v49, v45, v41, s[4:5]
	v_cndmask_b32_e32 v45, v48, v38, vcc
	v_add_co_u32_e64 v78, s[0:1], 1, v78
	v_cndmask_b32_e64 v48, v45, v40, s[4:5]
	v_add_u32_e32 v44, 8, v44
	v_addc_co_u32_e64 v43, s[0:1], 0, v43, s[0:1]
	s_waitcnt lgkmcnt(0)
	v_fmac_f64_e32 v[74:75], v[48:49], v[46:47]
	s_andn2_b64 exec, exec, s[10:11]
	s_cbranch_execnz .LBB9_77
; %bb.78:
	s_or_b64 exec, exec, s[10:11]
.LBB9_79:
	s_or_b64 exec, exec, s[8:9]
.LBB9_80:
	s_or_b64 exec, exec, s[6:7]
	v_mov_b32_e32 v28, 0
	ds_read_b64 v[28:29], v28 offset:24
	s_waitcnt lgkmcnt(0)
	v_mul_f64 v[28:29], v[74:75], v[28:29]
.LBB9_81:
	s_or_b64 exec, exec, s[20:21]
	v_cmp_lt_u32_e64 s[0:1], 2, v0
	ds_write_b64 v77, v[26:27]
	s_waitcnt lgkmcnt(0)
	; wave barrier
	s_waitcnt lgkmcnt(0)
	s_and_saveexec_b64 s[20:21], s[0:1]
	s_cbranch_execz .LBB9_97
; %bb.82:
	s_andn2_b64 vcc, exec, s[22:23]
	s_cbranch_vccnz .LBB9_84
; %bb.83:
	v_cmp_eq_u32_e32 vcc, 1, v0
	v_cndmask_b32_e32 v74, v23, v25, vcc
	v_cmp_eq_u32_e64 s[4:5], 2, v0
	v_cndmask_b32_e64 v74, v74, v27, s[4:5]
	v_cmp_eq_u32_e64 s[6:7], 3, v0
	v_cndmask_b32_e64 v74, v74, v29, s[6:7]
	;; [unrolled: 2-line block ×8, first 2 shown]
	v_cndmask_b32_e32 v74, v22, v24, vcc
	v_cndmask_b32_e64 v74, v74, v26, s[4:5]
	v_cndmask_b32_e64 v74, v74, v28, s[6:7]
	;; [unrolled: 1-line block ×4, first 2 shown]
	ds_read_b64 v[78:79], v77
	v_cndmask_b32_e64 v74, v74, v34, s[12:13]
	v_cndmask_b32_e64 v74, v74, v36, s[14:15]
	;; [unrolled: 1-line block ×4, first 2 shown]
	s_waitcnt lgkmcnt(0)
	v_mul_f64 v[74:75], v[74:75], v[78:79]
	s_cbranch_execz .LBB9_85
	s_branch .LBB9_86
.LBB9_84:
                                        ; implicit-def: $vgpr74_vgpr75
.LBB9_85:
	ds_read_b64 v[74:75], v77
.LBB9_86:
	s_and_saveexec_b64 s[6:7], s[2:3]
	s_cbranch_execz .LBB9_96
; %bb.87:
	v_add_u32_e32 v76, -4, v0
	v_add_u32_e32 v79, -3, v0
	v_cmp_lt_u32_e32 vcc, 6, v76
	v_mov_b32_e32 v78, 3
	s_and_saveexec_b64 s[2:3], vcc
	s_cbranch_execz .LBB9_91
; %bb.88:
	v_and_b32_e32 v76, -8, v79
	v_sub_u32_e32 v76, 0, v76
	s_mov_b64 s[4:5], 10
	s_movk_i32 s10, 0x68
	s_mov_b64 s[8:9], 0
.LBB9_89:                               ; =>This Inner Loop Header: Depth=1
	s_lshl_b32 s11, s4, 1
	s_add_i32 s12, s11, -13
	v_mov_b32_e32 v94, s10
	s_add_i32 s13, s11, -14
	s_set_gpr_idx_on s12, gpr_idx(SRC0)
	v_mov_b32_e32 v89, v22
	s_set_gpr_idx_off
	s_add_i32 s14, s11, -11
	s_set_gpr_idx_on s13, gpr_idx(SRC0)
	v_mov_b32_e32 v88, v22
	s_set_gpr_idx_off
	ds_read2_b64 v[80:83], v94 offset1:1
	s_add_i32 s15, s11, -12
	s_set_gpr_idx_on s14, gpr_idx(SRC0)
	v_mov_b32_e32 v91, v22
	s_set_gpr_idx_off
	s_add_i32 s16, s11, -9
	s_set_gpr_idx_on s15, gpr_idx(SRC0)
	v_mov_b32_e32 v90, v22
	s_set_gpr_idx_off
	;; [unrolled: 4-line block ×4, first 2 shown]
	ds_read2_b64 v[84:87], v94 offset0:2 offset1:3
	s_add_i32 s19, s11, -8
	s_waitcnt lgkmcnt(1)
	v_fmac_f64_e32 v[74:75], v[88:89], v[80:81]
	s_set_gpr_idx_on s18, gpr_idx(SRC0)
	v_mov_b32_e32 v89, v22
	s_set_gpr_idx_off
	s_add_i32 s24, s11, -5
	v_fmac_f64_e32 v[74:75], v[90:91], v[82:83]
	s_set_gpr_idx_on s19, gpr_idx(SRC0)
	v_mov_b32_e32 v88, v22
	s_set_gpr_idx_off
	s_add_i32 s25, s11, -6
	s_set_gpr_idx_on s24, gpr_idx(SRC0)
	v_mov_b32_e32 v91, v22
	s_set_gpr_idx_off
	s_add_i32 s26, s11, -3
	;; [unrolled: 4-line block ×3, first 2 shown]
	ds_read2_b64 v[80:83], v94 offset0:4 offset1:5
	s_waitcnt lgkmcnt(1)
	v_fmac_f64_e32 v[74:75], v[92:93], v[84:85]
	s_set_gpr_idx_on s26, gpr_idx(SRC0)
	v_mov_b32_e32 v93, v22
	s_set_gpr_idx_off
	s_add_i32 s28, s11, -1
	v_fmac_f64_e32 v[74:75], v[88:89], v[86:87]
	s_set_gpr_idx_on s27, gpr_idx(SRC0)
	v_mov_b32_e32 v92, v22
	s_set_gpr_idx_off
	s_add_i32 s29, s11, -2
	s_set_gpr_idx_on s28, gpr_idx(SRC0)
	v_mov_b32_e32 v89, v22
	s_set_gpr_idx_off
	s_set_gpr_idx_on s29, gpr_idx(SRC0)
	v_mov_b32_e32 v88, v22
	s_set_gpr_idx_off
	ds_read2_b64 v[84:87], v94 offset0:6 offset1:7
	s_add_u32 s4, s4, 8
	s_waitcnt lgkmcnt(1)
	v_fmac_f64_e32 v[74:75], v[90:91], v[80:81]
	s_set_gpr_idx_on s11, gpr_idx(SRC0)
	v_mov_b32_e32 v81, v23
	s_set_gpr_idx_off
	v_add_u32_e32 v78, s4, v76
	v_fmac_f64_e32 v[74:75], v[92:93], v[82:83]
	s_set_gpr_idx_on s11, gpr_idx(SRC0)
	v_mov_b32_e32 v80, v22
	s_set_gpr_idx_off
	s_addc_u32 s5, s5, 0
	s_add_i32 s10, s10, 64
	s_add_i32 s12, s4, -7
	v_cmp_eq_u32_e32 vcc, 10, v78
	s_waitcnt lgkmcnt(0)
	v_fmac_f64_e32 v[74:75], v[88:89], v[84:85]
	v_mov_b32_e32 v78, s12
	s_or_b64 s[8:9], vcc, s[8:9]
	v_fmac_f64_e32 v[74:75], v[80:81], v[86:87]
	s_andn2_b64 exec, exec, s[8:9]
	s_cbranch_execnz .LBB9_89
; %bb.90:
	s_or_b64 exec, exec, s[8:9]
.LBB9_91:
	s_or_b64 exec, exec, s[2:3]
	v_and_b32_e32 v42, 7, v79
	v_cmp_ne_u32_e32 vcc, 0, v42
	s_and_saveexec_b64 s[8:9], vcc
	s_cbranch_execz .LBB9_95
; %bb.92:
	v_mov_b32_e32 v43, 0x50
	v_lshl_add_u32 v44, v78, 3, v43
	v_mov_b32_e32 v43, 0
	s_mov_b64 s[10:11], 0
.LBB9_93:                               ; =>This Inner Loop Header: Depth=1
	v_cmp_eq_u32_e32 vcc, 1, v78
	v_cndmask_b32_e32 v45, v23, v25, vcc
	v_add_u32_e32 v42, -1, v42
	v_cmp_eq_u32_e64 s[2:3], 2, v78
	v_cndmask_b32_e64 v45, v45, v27, s[2:3]
	v_cndmask_b32_e32 v48, v22, v24, vcc
	v_cmp_eq_u32_e32 vcc, 0, v42
	v_cmp_eq_u32_e64 s[4:5], 3, v78
	v_cndmask_b32_e64 v45, v45, v29, s[4:5]
	v_cndmask_b32_e64 v48, v48, v26, s[2:3]
	s_or_b64 s[10:11], vcc, s[10:11]
	v_cmp_eq_u32_e32 vcc, 4, v78
	v_cndmask_b32_e32 v45, v45, v31, vcc
	v_cndmask_b32_e64 v48, v48, v28, s[4:5]
	v_cmp_eq_u32_e64 s[2:3], 5, v78
	v_cndmask_b32_e64 v45, v45, v33, s[2:3]
	v_cndmask_b32_e32 v48, v48, v30, vcc
	v_cmp_eq_u32_e32 vcc, 6, v78
	ds_read_b64 v[46:47], v44
	v_cndmask_b32_e32 v45, v45, v35, vcc
	v_cndmask_b32_e64 v48, v48, v32, s[2:3]
	v_cmp_eq_u32_e64 s[2:3], 7, v78
	v_cndmask_b32_e64 v45, v45, v37, s[2:3]
	v_cndmask_b32_e32 v48, v48, v34, vcc
	v_cmp_eq_u32_e32 vcc, 8, v78
	v_cndmask_b32_e32 v45, v45, v39, vcc
	v_cmp_eq_u32_e64 s[4:5], 9, v78
	v_cndmask_b32_e64 v48, v48, v36, s[2:3]
	v_cndmask_b32_e64 v49, v45, v41, s[4:5]
	v_cndmask_b32_e32 v45, v48, v38, vcc
	v_add_co_u32_e64 v78, s[2:3], 1, v78
	v_cndmask_b32_e64 v48, v45, v40, s[4:5]
	v_add_u32_e32 v44, 8, v44
	v_addc_co_u32_e64 v43, s[2:3], 0, v43, s[2:3]
	s_waitcnt lgkmcnt(0)
	v_fmac_f64_e32 v[74:75], v[48:49], v[46:47]
	s_andn2_b64 exec, exec, s[10:11]
	s_cbranch_execnz .LBB9_93
; %bb.94:
	s_or_b64 exec, exec, s[10:11]
.LBB9_95:
	s_or_b64 exec, exec, s[8:9]
.LBB9_96:
	s_or_b64 exec, exec, s[6:7]
	v_mov_b32_e32 v26, 0
	ds_read_b64 v[26:27], v26 offset:16
	s_waitcnt lgkmcnt(0)
	v_mul_f64 v[26:27], v[74:75], v[26:27]
.LBB9_97:
	s_or_b64 exec, exec, s[20:21]
	v_cmp_lt_u32_e64 s[2:3], 1, v0
	ds_write_b64 v77, v[24:25]
	s_waitcnt lgkmcnt(0)
	; wave barrier
	s_waitcnt lgkmcnt(0)
	s_and_saveexec_b64 s[20:21], s[2:3]
	s_cbranch_execz .LBB9_113
; %bb.98:
	s_andn2_b64 vcc, exec, s[22:23]
	s_cbranch_vccnz .LBB9_100
; %bb.99:
	v_cmp_eq_u32_e32 vcc, 1, v0
	v_cndmask_b32_e32 v74, v23, v25, vcc
	v_cmp_eq_u32_e64 s[4:5], 2, v0
	v_cndmask_b32_e64 v74, v74, v27, s[4:5]
	v_cmp_eq_u32_e64 s[6:7], 3, v0
	v_cndmask_b32_e64 v74, v74, v29, s[6:7]
	;; [unrolled: 2-line block ×8, first 2 shown]
	v_cndmask_b32_e32 v74, v22, v24, vcc
	v_cndmask_b32_e64 v74, v74, v26, s[4:5]
	v_cndmask_b32_e64 v74, v74, v28, s[6:7]
	;; [unrolled: 1-line block ×4, first 2 shown]
	ds_read_b64 v[78:79], v77
	v_cndmask_b32_e64 v74, v74, v34, s[12:13]
	v_cndmask_b32_e64 v74, v74, v36, s[14:15]
	;; [unrolled: 1-line block ×4, first 2 shown]
	s_waitcnt lgkmcnt(0)
	v_mul_f64 v[74:75], v[74:75], v[78:79]
	s_cbranch_execz .LBB9_101
	s_branch .LBB9_102
.LBB9_100:
                                        ; implicit-def: $vgpr74_vgpr75
.LBB9_101:
	ds_read_b64 v[74:75], v77
.LBB9_102:
	s_and_saveexec_b64 s[6:7], s[0:1]
	s_cbranch_execz .LBB9_112
; %bb.103:
	v_add_u32_e32 v76, -3, v0
	v_add_u32_e32 v79, -2, v0
	v_cmp_lt_u32_e32 vcc, 6, v76
	v_mov_b32_e32 v78, 2
	s_and_saveexec_b64 s[0:1], vcc
	s_cbranch_execz .LBB9_107
; %bb.104:
	v_and_b32_e32 v76, -8, v79
	v_sub_u32_e32 v76, 0, v76
	s_mov_b64 s[4:5], 9
	s_movk_i32 s10, 0x60
	s_mov_b64 s[8:9], 0
.LBB9_105:                              ; =>This Inner Loop Header: Depth=1
	s_lshl_b32 s11, s4, 1
	s_add_i32 s12, s11, -13
	s_add_i32 s13, s11, -14
	s_set_gpr_idx_on s12, gpr_idx(SRC0)
	v_mov_b32_e32 v97, v22
	s_set_gpr_idx_off
	v_mov_b32_e32 v78, s10
	s_add_i32 s14, s11, -11
	s_set_gpr_idx_on s13, gpr_idx(SRC0)
	v_mov_b32_e32 v96, v22
	s_set_gpr_idx_off
	s_add_i32 s15, s11, -12
	ds_read_b128 v[80:83], v78
	ds_read_b128 v[84:87], v78 offset:16
	ds_read_b128 v[88:91], v78 offset:32
	;; [unrolled: 1-line block ×3, first 2 shown]
	s_set_gpr_idx_on s14, gpr_idx(SRC0)
	v_mov_b32_e32 v99, v22
	s_set_gpr_idx_off
	s_add_i32 s16, s11, -9
	s_set_gpr_idx_on s15, gpr_idx(SRC0)
	v_mov_b32_e32 v98, v22
	s_set_gpr_idx_off
	s_add_i32 s17, s11, -10
	;; [unrolled: 4-line block ×4, first 2 shown]
	s_waitcnt lgkmcnt(3)
	v_fmac_f64_e32 v[74:75], v[96:97], v[80:81]
	s_set_gpr_idx_on s18, gpr_idx(SRC0)
	v_mov_b32_e32 v81, v22
	s_set_gpr_idx_off
	s_add_i32 s24, s11, -5
	v_fmac_f64_e32 v[74:75], v[98:99], v[82:83]
	s_set_gpr_idx_on s19, gpr_idx(SRC0)
	v_mov_b32_e32 v80, v22
	s_set_gpr_idx_off
	s_add_i32 s25, s11, -6
	s_waitcnt lgkmcnt(2)
	v_fmac_f64_e32 v[74:75], v[100:101], v[84:85]
	s_set_gpr_idx_on s24, gpr_idx(SRC0)
	v_mov_b32_e32 v83, v22
	s_set_gpr_idx_off
	s_add_i32 s26, s11, -3
	v_fmac_f64_e32 v[74:75], v[80:81], v[86:87]
	s_set_gpr_idx_on s25, gpr_idx(SRC0)
	v_mov_b32_e32 v82, v22
	s_set_gpr_idx_off
	s_add_i32 s27, s11, -4
	s_waitcnt lgkmcnt(1)
	v_fmac_f64_e32 v[74:75], v[82:83], v[88:89]
	s_set_gpr_idx_on s26, gpr_idx(SRC0)
	v_mov_b32_e32 v81, v22
	s_set_gpr_idx_off
	s_add_i32 s28, s11, -1
	s_set_gpr_idx_on s27, gpr_idx(SRC0)
	v_mov_b32_e32 v80, v22
	s_set_gpr_idx_off
	s_add_i32 s29, s11, -2
	v_fmac_f64_e32 v[74:75], v[80:81], v[90:91]
	s_set_gpr_idx_on s28, gpr_idx(SRC0)
	v_mov_b32_e32 v81, v22
	s_set_gpr_idx_off
	s_add_u32 s4, s4, 8
	s_set_gpr_idx_on s29, gpr_idx(SRC0)
	v_mov_b32_e32 v80, v22
	s_set_gpr_idx_off
	v_add_u32_e32 v78, s4, v76
	s_waitcnt lgkmcnt(0)
	v_fmac_f64_e32 v[74:75], v[80:81], v[92:93]
	s_set_gpr_idx_on s11, gpr_idx(SRC0)
	v_mov_b32_e32 v81, v23
	s_set_gpr_idx_off
	s_addc_u32 s5, s5, 0
	s_add_i32 s10, s10, 64
	s_add_i32 s12, s4, -7
	v_cmp_eq_u32_e32 vcc, 9, v78
	s_set_gpr_idx_on s11, gpr_idx(SRC0)
	v_mov_b32_e32 v80, v22
	s_set_gpr_idx_off
	v_mov_b32_e32 v78, s12
	s_or_b64 s[8:9], vcc, s[8:9]
	v_fmac_f64_e32 v[74:75], v[80:81], v[94:95]
	s_andn2_b64 exec, exec, s[8:9]
	s_cbranch_execnz .LBB9_105
; %bb.106:
	s_or_b64 exec, exec, s[8:9]
.LBB9_107:
	s_or_b64 exec, exec, s[0:1]
	v_and_b32_e32 v42, 7, v79
	v_cmp_ne_u32_e32 vcc, 0, v42
	s_and_saveexec_b64 s[8:9], vcc
	s_cbranch_execz .LBB9_111
; %bb.108:
	v_mov_b32_e32 v43, 0x50
	v_lshl_add_u32 v44, v78, 3, v43
	v_mov_b32_e32 v43, 0
	s_mov_b64 s[10:11], 0
.LBB9_109:                              ; =>This Inner Loop Header: Depth=1
	v_cmp_eq_u32_e32 vcc, 1, v78
	v_cndmask_b32_e32 v45, v23, v25, vcc
	v_add_u32_e32 v42, -1, v42
	v_cmp_eq_u32_e64 s[0:1], 2, v78
	v_cndmask_b32_e64 v45, v45, v27, s[0:1]
	v_cndmask_b32_e32 v48, v22, v24, vcc
	v_cmp_eq_u32_e32 vcc, 0, v42
	v_cmp_eq_u32_e64 s[4:5], 3, v78
	v_cndmask_b32_e64 v45, v45, v29, s[4:5]
	v_cndmask_b32_e64 v48, v48, v26, s[0:1]
	s_or_b64 s[10:11], vcc, s[10:11]
	v_cmp_eq_u32_e32 vcc, 4, v78
	v_cndmask_b32_e32 v45, v45, v31, vcc
	v_cndmask_b32_e64 v48, v48, v28, s[4:5]
	v_cmp_eq_u32_e64 s[0:1], 5, v78
	v_cndmask_b32_e64 v45, v45, v33, s[0:1]
	v_cndmask_b32_e32 v48, v48, v30, vcc
	v_cmp_eq_u32_e32 vcc, 6, v78
	ds_read_b64 v[46:47], v44
	v_cndmask_b32_e32 v45, v45, v35, vcc
	v_cndmask_b32_e64 v48, v48, v32, s[0:1]
	v_cmp_eq_u32_e64 s[0:1], 7, v78
	v_cndmask_b32_e64 v45, v45, v37, s[0:1]
	v_cndmask_b32_e32 v48, v48, v34, vcc
	v_cmp_eq_u32_e32 vcc, 8, v78
	v_cndmask_b32_e32 v45, v45, v39, vcc
	v_cmp_eq_u32_e64 s[4:5], 9, v78
	v_cndmask_b32_e64 v48, v48, v36, s[0:1]
	v_cndmask_b32_e64 v49, v45, v41, s[4:5]
	v_cndmask_b32_e32 v45, v48, v38, vcc
	v_add_co_u32_e64 v78, s[0:1], 1, v78
	v_cndmask_b32_e64 v48, v45, v40, s[4:5]
	v_add_u32_e32 v44, 8, v44
	v_addc_co_u32_e64 v43, s[0:1], 0, v43, s[0:1]
	s_waitcnt lgkmcnt(0)
	v_fmac_f64_e32 v[74:75], v[48:49], v[46:47]
	s_andn2_b64 exec, exec, s[10:11]
	s_cbranch_execnz .LBB9_109
; %bb.110:
	s_or_b64 exec, exec, s[10:11]
.LBB9_111:
	s_or_b64 exec, exec, s[8:9]
.LBB9_112:
	s_or_b64 exec, exec, s[6:7]
	v_mov_b32_e32 v24, 0
	ds_read_b64 v[24:25], v24 offset:8
	s_waitcnt lgkmcnt(0)
	v_mul_f64 v[24:25], v[74:75], v[24:25]
.LBB9_113:
	s_or_b64 exec, exec, s[20:21]
	v_cmp_ne_u32_e32 vcc, 0, v0
	ds_write_b64 v77, v[22:23]
	s_waitcnt lgkmcnt(0)
	; wave barrier
	s_waitcnt lgkmcnt(0)
	s_and_saveexec_b64 s[18:19], vcc
	s_cbranch_execz .LBB9_129
; %bb.114:
	s_andn2_b64 vcc, exec, s[22:23]
	s_cbranch_vccnz .LBB9_116
; %bb.115:
	v_cmp_eq_u32_e32 vcc, 1, v0
	v_cndmask_b32_e32 v74, v23, v25, vcc
	v_cmp_eq_u32_e64 s[0:1], 2, v0
	v_cndmask_b32_e64 v74, v74, v27, s[0:1]
	v_cmp_eq_u32_e64 s[4:5], 3, v0
	v_cndmask_b32_e64 v74, v74, v29, s[4:5]
	;; [unrolled: 2-line block ×8, first 2 shown]
	v_cndmask_b32_e32 v74, v22, v24, vcc
	v_cndmask_b32_e64 v74, v74, v26, s[0:1]
	v_cndmask_b32_e64 v74, v74, v28, s[4:5]
	;; [unrolled: 1-line block ×4, first 2 shown]
	ds_read_b64 v[78:79], v77
	v_cndmask_b32_e64 v74, v74, v34, s[10:11]
	v_cndmask_b32_e64 v74, v74, v36, s[12:13]
	;; [unrolled: 1-line block ×4, first 2 shown]
	s_waitcnt lgkmcnt(0)
	v_mul_f64 v[74:75], v[74:75], v[78:79]
	s_cbranch_execz .LBB9_117
	s_branch .LBB9_118
.LBB9_116:
                                        ; implicit-def: $vgpr74_vgpr75
.LBB9_117:
	ds_read_b64 v[74:75], v77
.LBB9_118:
	s_and_saveexec_b64 s[4:5], s[2:3]
	s_cbranch_execz .LBB9_128
; %bb.119:
	v_add_u32_e32 v76, -2, v0
	v_add_u32_e32 v79, -1, v0
	v_cmp_lt_u32_e32 vcc, 6, v76
	v_mov_b32_e32 v78, 1
	s_and_saveexec_b64 s[0:1], vcc
	s_cbranch_execz .LBB9_123
; %bb.120:
	v_and_b32_e32 v76, -8, v79
	v_sub_u32_e32 v76, 0, v76
	s_mov_b64 s[2:3], 8
	s_movk_i32 s8, 0x58
	s_mov_b64 s[6:7], 0
.LBB9_121:                              ; =>This Inner Loop Header: Depth=1
	s_lshl_b32 s9, s2, 1
	s_add_i32 s10, s9, -13
	v_mov_b32_e32 v94, s8
	s_add_i32 s11, s9, -14
	s_set_gpr_idx_on s10, gpr_idx(SRC0)
	v_mov_b32_e32 v89, v22
	s_set_gpr_idx_off
	s_add_i32 s12, s9, -11
	s_set_gpr_idx_on s11, gpr_idx(SRC0)
	v_mov_b32_e32 v88, v22
	s_set_gpr_idx_off
	ds_read2_b64 v[80:83], v94 offset1:1
	s_add_i32 s13, s9, -12
	s_set_gpr_idx_on s12, gpr_idx(SRC0)
	v_mov_b32_e32 v91, v22
	s_set_gpr_idx_off
	s_add_i32 s14, s9, -9
	s_set_gpr_idx_on s13, gpr_idx(SRC0)
	v_mov_b32_e32 v90, v22
	s_set_gpr_idx_off
	;; [unrolled: 4-line block ×4, first 2 shown]
	ds_read2_b64 v[84:87], v94 offset0:2 offset1:3
	s_add_i32 s17, s9, -8
	s_waitcnt lgkmcnt(1)
	v_fmac_f64_e32 v[74:75], v[88:89], v[80:81]
	s_set_gpr_idx_on s16, gpr_idx(SRC0)
	v_mov_b32_e32 v89, v22
	s_set_gpr_idx_off
	s_add_i32 s20, s9, -5
	v_fmac_f64_e32 v[74:75], v[90:91], v[82:83]
	s_set_gpr_idx_on s17, gpr_idx(SRC0)
	v_mov_b32_e32 v88, v22
	s_set_gpr_idx_off
	s_add_i32 s21, s9, -6
	s_set_gpr_idx_on s20, gpr_idx(SRC0)
	v_mov_b32_e32 v91, v22
	s_set_gpr_idx_off
	s_add_i32 s24, s9, -3
	;; [unrolled: 4-line block ×3, first 2 shown]
	ds_read2_b64 v[80:83], v94 offset0:4 offset1:5
	s_waitcnt lgkmcnt(1)
	v_fmac_f64_e32 v[74:75], v[92:93], v[84:85]
	s_set_gpr_idx_on s24, gpr_idx(SRC0)
	v_mov_b32_e32 v93, v22
	s_set_gpr_idx_off
	s_add_i32 s26, s9, -1
	v_fmac_f64_e32 v[74:75], v[88:89], v[86:87]
	s_set_gpr_idx_on s25, gpr_idx(SRC0)
	v_mov_b32_e32 v92, v22
	s_set_gpr_idx_off
	s_add_i32 s27, s9, -2
	s_set_gpr_idx_on s26, gpr_idx(SRC0)
	v_mov_b32_e32 v89, v22
	s_set_gpr_idx_off
	s_set_gpr_idx_on s27, gpr_idx(SRC0)
	v_mov_b32_e32 v88, v22
	s_set_gpr_idx_off
	ds_read2_b64 v[84:87], v94 offset0:6 offset1:7
	s_add_u32 s2, s2, 8
	s_waitcnt lgkmcnt(1)
	v_fmac_f64_e32 v[74:75], v[90:91], v[80:81]
	s_set_gpr_idx_on s9, gpr_idx(SRC0)
	v_mov_b32_e32 v81, v23
	s_set_gpr_idx_off
	v_add_u32_e32 v78, s2, v76
	v_fmac_f64_e32 v[74:75], v[92:93], v[82:83]
	s_set_gpr_idx_on s9, gpr_idx(SRC0)
	v_mov_b32_e32 v80, v22
	s_set_gpr_idx_off
	s_addc_u32 s3, s3, 0
	s_add_i32 s8, s8, 64
	s_add_i32 s10, s2, -7
	v_cmp_eq_u32_e32 vcc, 8, v78
	s_waitcnt lgkmcnt(0)
	v_fmac_f64_e32 v[74:75], v[88:89], v[84:85]
	v_mov_b32_e32 v78, s10
	s_or_b64 s[6:7], vcc, s[6:7]
	v_fmac_f64_e32 v[74:75], v[80:81], v[86:87]
	s_andn2_b64 exec, exec, s[6:7]
	s_cbranch_execnz .LBB9_121
; %bb.122:
	s_or_b64 exec, exec, s[6:7]
.LBB9_123:
	s_or_b64 exec, exec, s[0:1]
	v_and_b32_e32 v42, 7, v79
	v_cmp_ne_u32_e32 vcc, 0, v42
	s_and_saveexec_b64 s[6:7], vcc
	s_cbranch_execz .LBB9_127
; %bb.124:
	v_mov_b32_e32 v43, 0x50
	v_lshl_add_u32 v44, v78, 3, v43
	v_mov_b32_e32 v43, 0
	s_mov_b64 s[8:9], 0
.LBB9_125:                              ; =>This Inner Loop Header: Depth=1
	v_cmp_eq_u32_e32 vcc, 1, v78
	v_cndmask_b32_e32 v45, v23, v25, vcc
	v_add_u32_e32 v42, -1, v42
	v_cmp_eq_u32_e64 s[0:1], 2, v78
	v_cndmask_b32_e64 v45, v45, v27, s[0:1]
	v_cndmask_b32_e32 v48, v22, v24, vcc
	v_cmp_eq_u32_e32 vcc, 0, v42
	v_cmp_eq_u32_e64 s[2:3], 3, v78
	v_cndmask_b32_e64 v45, v45, v29, s[2:3]
	v_cndmask_b32_e64 v48, v48, v26, s[0:1]
	s_or_b64 s[8:9], vcc, s[8:9]
	v_cmp_eq_u32_e32 vcc, 4, v78
	v_cndmask_b32_e32 v45, v45, v31, vcc
	v_cndmask_b32_e64 v48, v48, v28, s[2:3]
	v_cmp_eq_u32_e64 s[0:1], 5, v78
	v_cndmask_b32_e64 v45, v45, v33, s[0:1]
	v_cndmask_b32_e32 v48, v48, v30, vcc
	v_cmp_eq_u32_e32 vcc, 6, v78
	ds_read_b64 v[46:47], v44
	v_cndmask_b32_e32 v45, v45, v35, vcc
	v_cndmask_b32_e64 v48, v48, v32, s[0:1]
	v_cmp_eq_u32_e64 s[0:1], 7, v78
	v_cndmask_b32_e64 v45, v45, v37, s[0:1]
	v_cndmask_b32_e32 v48, v48, v34, vcc
	v_cmp_eq_u32_e32 vcc, 8, v78
	v_cndmask_b32_e32 v45, v45, v39, vcc
	v_cmp_eq_u32_e64 s[2:3], 9, v78
	v_cndmask_b32_e64 v48, v48, v36, s[0:1]
	v_cndmask_b32_e64 v49, v45, v41, s[2:3]
	v_cndmask_b32_e32 v45, v48, v38, vcc
	v_add_co_u32_e64 v78, s[0:1], 1, v78
	v_cndmask_b32_e64 v48, v45, v40, s[2:3]
	v_add_u32_e32 v44, 8, v44
	v_addc_co_u32_e64 v43, s[0:1], 0, v43, s[0:1]
	s_waitcnt lgkmcnt(0)
	v_fmac_f64_e32 v[74:75], v[48:49], v[46:47]
	s_andn2_b64 exec, exec, s[8:9]
	s_cbranch_execnz .LBB9_125
; %bb.126:
	s_or_b64 exec, exec, s[8:9]
.LBB9_127:
	s_or_b64 exec, exec, s[6:7]
.LBB9_128:
	s_or_b64 exec, exec, s[4:5]
	v_mov_b32_e32 v22, 0
	ds_read_b64 v[22:23], v22
	s_waitcnt lgkmcnt(0)
	v_mul_f64 v[22:23], v[74:75], v[22:23]
.LBB9_129:
	s_or_b64 exec, exec, s[18:19]
	s_branch .LBB9_225
.LBB9_130:
	v_cmp_eq_u32_e64 s[0:1], 0, v0
	s_waitcnt vmcnt(9)
	ds_write_b64 v77, v[4:5]
	s_waitcnt lgkmcnt(0)
	; wave barrier
	s_waitcnt lgkmcnt(0)
	s_and_saveexec_b64 s[18:19], s[0:1]
	s_cbranch_execz .LBB9_136
; %bb.131:
	s_and_b64 vcc, exec, s[22:23]
	s_cbranch_vccz .LBB9_133
; %bb.132:
	v_cmp_eq_u32_e32 vcc, 1, v0
	s_waitcnt vmcnt(1)
	v_cndmask_b32_e32 v5, v3, v5, vcc
	v_cmp_eq_u32_e64 s[2:3], 2, v0
	v_cndmask_b32_e32 v4, v2, v4, vcc
	v_cndmask_b32_e64 v5, v5, v7, s[2:3]
	v_cmp_eq_u32_e64 s[4:5], 3, v0
	v_cndmask_b32_e64 v4, v4, v6, s[2:3]
	v_cndmask_b32_e64 v5, v5, v9, s[4:5]
	v_cmp_eq_u32_e64 s[6:7], 4, v0
	v_cndmask_b32_e64 v4, v4, v8, s[4:5]
	;; [unrolled: 3-line block ×4, first 2 shown]
	ds_read_b64 v[22:23], v77
	v_cndmask_b32_e64 v5, v5, v15, s[10:11]
	v_cmp_eq_u32_e64 s[12:13], 7, v0
	v_cndmask_b32_e64 v4, v4, v14, s[10:11]
	v_cndmask_b32_e64 v5, v5, v17, s[12:13]
	v_cmp_eq_u32_e64 s[14:15], 8, v0
	v_cndmask_b32_e64 v4, v4, v16, s[12:13]
	;; [unrolled: 3-line block ×3, first 2 shown]
	s_waitcnt vmcnt(0)
	v_cndmask_b32_e64 v5, v5, v21, s[16:17]
	v_cndmask_b32_e64 v4, v4, v20, s[16:17]
	s_waitcnt lgkmcnt(0)
	v_mul_f64 v[4:5], v[4:5], v[22:23]
	s_cbranch_execz .LBB9_134
	s_branch .LBB9_135
.LBB9_133:
                                        ; implicit-def: $vgpr4_vgpr5
.LBB9_134:
	ds_read_b64 v[4:5], v77
.LBB9_135:
	v_mov_b32_e32 v22, 0
	ds_read_b64 v[22:23], v22 offset:8
	s_waitcnt lgkmcnt(0)
	v_mul_f64 v[4:5], v[4:5], v[22:23]
.LBB9_136:
	s_or_b64 exec, exec, s[18:19]
	v_cndmask_b32_e64 v22, 0, 1, s[22:23]
	v_add_u32_e32 v26, 1, v0
	v_cmp_gt_u32_e64 s[2:3], 2, v0
	v_cmp_ne_u32_e64 s[4:5], 1, v22
	s_waitcnt vmcnt(8)
	ds_write_b64 v77, v[6:7]
	s_waitcnt lgkmcnt(0)
	; wave barrier
	s_waitcnt lgkmcnt(0)
	s_and_saveexec_b64 s[22:23], s[2:3]
	s_cbranch_execz .LBB9_144
; %bb.137:
	s_and_b64 vcc, exec, s[4:5]
	s_cbranch_vccnz .LBB9_139
; %bb.138:
	v_cmp_eq_u32_e32 vcc, 1, v0
	s_waitcnt vmcnt(1)
	v_cndmask_b32_e32 v22, v3, v5, vcc
	v_cmp_eq_u32_e64 s[6:7], 2, v0
	v_cndmask_b32_e64 v22, v22, v7, s[6:7]
	v_cmp_eq_u32_e64 s[8:9], 3, v0
	v_cndmask_b32_e64 v22, v22, v9, s[8:9]
	;; [unrolled: 2-line block ×7, first 2 shown]
	v_cmp_eq_u32_e64 s[20:21], 9, v0
	s_waitcnt vmcnt(0)
	v_cndmask_b32_e64 v23, v22, v21, s[20:21]
	v_cndmask_b32_e32 v22, v2, v4, vcc
	v_cndmask_b32_e64 v22, v22, v6, s[6:7]
	v_cndmask_b32_e64 v22, v22, v8, s[8:9]
	;; [unrolled: 1-line block ×4, first 2 shown]
	ds_read_b64 v[24:25], v77
	v_cndmask_b32_e64 v22, v22, v14, s[14:15]
	v_cndmask_b32_e64 v22, v22, v16, s[16:17]
	;; [unrolled: 1-line block ×4, first 2 shown]
	s_waitcnt lgkmcnt(0)
	v_mul_f64 v[22:23], v[22:23], v[24:25]
	s_cbranch_execz .LBB9_140
	s_branch .LBB9_141
.LBB9_139:
                                        ; implicit-def: $vgpr22_vgpr23
.LBB9_140:
	ds_read_b64 v[22:23], v77
.LBB9_141:
	s_and_saveexec_b64 s[24:25], s[0:1]
	s_cbranch_execz .LBB9_143
; %bb.142:
	v_cmp_eq_u32_e32 vcc, 1, v26
	s_waitcnt vmcnt(1)
	v_cndmask_b32_e32 v24, v3, v5, vcc
	v_cmp_eq_u32_e64 s[6:7], 2, v26
	v_cndmask_b32_e64 v7, v24, v7, s[6:7]
	v_cndmask_b32_e32 v24, v2, v4, vcc
	v_cmp_eq_u32_e64 s[8:9], 3, v26
	v_cndmask_b32_e64 v6, v24, v6, s[6:7]
	v_cndmask_b32_e64 v7, v7, v9, s[8:9]
	v_cmp_eq_u32_e64 s[10:11], 4, v26
	v_cndmask_b32_e64 v6, v6, v8, s[8:9]
	v_cndmask_b32_e64 v7, v7, v11, s[10:11]
	;; [unrolled: 3-line block ×3, first 2 shown]
	v_cmp_eq_u32_e64 s[14:15], 6, v26
	v_cndmask_b32_e64 v6, v6, v12, s[12:13]
	ds_read_b64 v[24:25], v77 offset:8
	v_cndmask_b32_e64 v7, v7, v15, s[14:15]
	v_cmp_eq_u32_e64 s[16:17], 7, v26
	v_cndmask_b32_e64 v6, v6, v14, s[14:15]
	v_cndmask_b32_e64 v7, v7, v17, s[16:17]
	v_cmp_eq_u32_e64 s[18:19], 8, v26
	v_cndmask_b32_e64 v6, v6, v16, s[16:17]
	;; [unrolled: 3-line block ×3, first 2 shown]
	s_waitcnt vmcnt(0)
	v_cndmask_b32_e64 v7, v7, v21, s[20:21]
	v_cndmask_b32_e64 v6, v6, v20, s[20:21]
	s_waitcnt lgkmcnt(0)
	v_fmac_f64_e32 v[22:23], v[6:7], v[24:25]
.LBB9_143:
	s_or_b64 exec, exec, s[24:25]
	v_mov_b32_e32 v6, 0
	ds_read_b64 v[6:7], v6 offset:16
	s_waitcnt lgkmcnt(0)
	v_mul_f64 v[6:7], v[22:23], v[6:7]
.LBB9_144:
	s_or_b64 exec, exec, s[22:23]
	v_cmp_gt_u32_e32 vcc, 3, v0
	s_waitcnt vmcnt(7)
	ds_write_b64 v77, v[8:9]
	s_waitcnt lgkmcnt(0)
	; wave barrier
	s_waitcnt lgkmcnt(0)
	s_and_saveexec_b64 s[22:23], vcc
	s_cbranch_execz .LBB9_152
; %bb.145:
	s_and_b64 vcc, exec, s[4:5]
	s_cbranch_vccnz .LBB9_147
; %bb.146:
	v_cmp_eq_u32_e32 vcc, 1, v0
	s_waitcnt vmcnt(1)
	v_cndmask_b32_e32 v22, v3, v5, vcc
	v_cmp_eq_u32_e64 s[6:7], 2, v0
	v_cndmask_b32_e64 v22, v22, v7, s[6:7]
	v_cmp_eq_u32_e64 s[8:9], 3, v0
	v_cndmask_b32_e64 v22, v22, v9, s[8:9]
	;; [unrolled: 2-line block ×7, first 2 shown]
	v_cmp_eq_u32_e64 s[20:21], 9, v0
	s_waitcnt vmcnt(0)
	v_cndmask_b32_e64 v23, v22, v21, s[20:21]
	v_cndmask_b32_e32 v22, v2, v4, vcc
	v_cndmask_b32_e64 v22, v22, v6, s[6:7]
	v_cndmask_b32_e64 v22, v22, v8, s[8:9]
	;; [unrolled: 1-line block ×4, first 2 shown]
	ds_read_b64 v[24:25], v77
	v_cndmask_b32_e64 v22, v22, v14, s[14:15]
	v_cndmask_b32_e64 v22, v22, v16, s[16:17]
	;; [unrolled: 1-line block ×4, first 2 shown]
	s_waitcnt lgkmcnt(0)
	v_mul_f64 v[22:23], v[22:23], v[24:25]
	s_cbranch_execz .LBB9_148
	s_branch .LBB9_149
.LBB9_147:
                                        ; implicit-def: $vgpr22_vgpr23
.LBB9_148:
	ds_read_b64 v[22:23], v77
.LBB9_149:
	v_cmp_ne_u32_e32 vcc, 2, v0
	s_and_saveexec_b64 s[24:25], vcc
	s_cbranch_execz .LBB9_151
; %bb.150:
	v_cmp_eq_u32_e32 vcc, 1, v26
	s_waitcnt vmcnt(1)
	v_cndmask_b32_e32 v24, v3, v5, vcc
	v_cmp_eq_u32_e64 s[6:7], 2, v26
	v_cndmask_b32_e64 v24, v24, v7, s[6:7]
	v_cmp_eq_u32_e64 s[8:9], 3, v26
	v_cndmask_b32_e64 v9, v24, v9, s[8:9]
	v_cndmask_b32_e32 v24, v2, v4, vcc
	v_cndmask_b32_e64 v24, v24, v6, s[6:7]
	v_cmp_eq_u32_e64 s[10:11], 4, v26
	v_cndmask_b32_e64 v8, v24, v8, s[8:9]
	v_cndmask_b32_e64 v9, v9, v11, s[10:11]
	v_cmp_eq_u32_e64 s[12:13], 5, v26
	v_cndmask_b32_e64 v8, v8, v10, s[10:11]
	;; [unrolled: 3-line block ×4, first 2 shown]
	v_mov_b32_e32 v27, 0
	ds_read_b64 v[24:25], v77 offset:8
	ds_read_b64 v[28:29], v27 offset:96
	v_cndmask_b32_e64 v9, v9, v17, s[16:17]
	v_cmp_eq_u32_e64 s[18:19], 8, v26
	v_cndmask_b32_e64 v8, v8, v16, s[16:17]
	v_cndmask_b32_e64 v9, v9, v19, s[18:19]
	v_cmp_eq_u32_e64 s[20:21], 9, v26
	v_cndmask_b32_e64 v8, v8, v18, s[18:19]
	s_waitcnt vmcnt(0)
	v_cndmask_b32_e64 v9, v9, v21, s[20:21]
	v_cndmask_b32_e64 v8, v8, v20, s[20:21]
	s_waitcnt lgkmcnt(1)
	v_fmac_f64_e32 v[22:23], v[8:9], v[24:25]
	s_waitcnt lgkmcnt(0)
	v_fma_f64 v[8:9], v[6:7], v[28:29], v[22:23]
	v_cndmask_b32_e64 v23, v23, v9, s[0:1]
	v_cndmask_b32_e64 v22, v22, v8, s[0:1]
.LBB9_151:
	s_or_b64 exec, exec, s[24:25]
	v_mov_b32_e32 v8, 0
	ds_read_b64 v[8:9], v8 offset:24
	s_waitcnt lgkmcnt(0)
	v_mul_f64 v[8:9], v[22:23], v[8:9]
.LBB9_152:
	s_or_b64 exec, exec, s[22:23]
	v_cmp_gt_u32_e64 s[6:7], 4, v0
	s_waitcnt vmcnt(6)
	ds_write_b64 v77, v[10:11]
	s_waitcnt lgkmcnt(0)
	; wave barrier
	s_waitcnt lgkmcnt(0)
	s_and_saveexec_b64 s[24:25], s[6:7]
	s_cbranch_execz .LBB9_162
; %bb.153:
	s_and_b64 vcc, exec, s[4:5]
	s_cbranch_vccnz .LBB9_155
; %bb.154:
	v_cmp_eq_u32_e32 vcc, 1, v0
	s_waitcnt vmcnt(1)
	v_cndmask_b32_e32 v22, v3, v5, vcc
	v_cmp_eq_u32_e64 s[8:9], 2, v0
	v_cndmask_b32_e64 v22, v22, v7, s[8:9]
	v_cmp_eq_u32_e64 s[10:11], 3, v0
	v_cndmask_b32_e64 v22, v22, v9, s[10:11]
	;; [unrolled: 2-line block ×7, first 2 shown]
	v_cmp_eq_u32_e64 s[22:23], 9, v0
	s_waitcnt vmcnt(0)
	v_cndmask_b32_e64 v23, v22, v21, s[22:23]
	v_cndmask_b32_e32 v22, v2, v4, vcc
	v_cndmask_b32_e64 v22, v22, v6, s[8:9]
	v_cndmask_b32_e64 v22, v22, v8, s[10:11]
	;; [unrolled: 1-line block ×4, first 2 shown]
	ds_read_b64 v[24:25], v77
	v_cndmask_b32_e64 v22, v22, v14, s[16:17]
	v_cndmask_b32_e64 v22, v22, v16, s[18:19]
	;; [unrolled: 1-line block ×4, first 2 shown]
	s_waitcnt lgkmcnt(0)
	v_mul_f64 v[22:23], v[22:23], v[24:25]
	s_cbranch_execz .LBB9_156
	s_branch .LBB9_157
.LBB9_155:
                                        ; implicit-def: $vgpr22_vgpr23
.LBB9_156:
	ds_read_b64 v[22:23], v77
.LBB9_157:
	v_cmp_ne_u32_e32 vcc, 3, v0
	s_and_saveexec_b64 s[12:13], vcc
	s_cbranch_execz .LBB9_161
; %bb.158:
	v_mov_b32_e32 v24, 0x58
	v_lshl_add_u32 v27, v0, 3, v24
	s_mov_b64 s[14:15], 0
	v_pk_mov_b32 v[24:25], v[0:1], v[0:1] op_sel:[0,1]
.LBB9_159:                              ; =>This Inner Loop Header: Depth=1
	v_add_co_u32_e32 v24, vcc, 1, v24
	v_addc_co_u32_e32 v25, vcc, 0, v25, vcc
	v_cmp_eq_u32_e32 vcc, 1, v24
	s_waitcnt vmcnt(1)
	v_cndmask_b32_e32 v30, v3, v5, vcc
	v_cmp_eq_u32_e64 s[10:11], 2, v24
	v_cmp_lt_u32_e64 s[8:9], 2, v24
	v_cndmask_b32_e64 v30, v30, v7, s[10:11]
	v_cndmask_b32_e32 v31, v2, v4, vcc
	v_cmp_eq_u32_e32 vcc, 3, v24
	s_or_b64 s[14:15], s[8:9], s[14:15]
	v_cndmask_b32_e32 v30, v30, v9, vcc
	v_cndmask_b32_e64 v31, v31, v6, s[10:11]
	v_cmp_eq_u32_e64 s[8:9], 4, v24
	v_cndmask_b32_e64 v30, v30, v11, s[8:9]
	v_cndmask_b32_e32 v31, v31, v8, vcc
	v_cmp_eq_u32_e32 vcc, 5, v24
	v_cndmask_b32_e32 v30, v30, v13, vcc
	v_cndmask_b32_e64 v31, v31, v10, s[8:9]
	v_cmp_eq_u32_e64 s[8:9], 6, v24
	ds_read_b64 v[28:29], v27
	v_cndmask_b32_e64 v30, v30, v15, s[8:9]
	v_cndmask_b32_e32 v31, v31, v12, vcc
	v_cmp_eq_u32_e32 vcc, 7, v24
	v_cndmask_b32_e32 v30, v30, v17, vcc
	v_cndmask_b32_e64 v31, v31, v14, s[8:9]
	v_cmp_eq_u32_e64 s[8:9], 8, v24
	v_cndmask_b32_e64 v30, v30, v19, s[8:9]
	v_cndmask_b32_e32 v32, v31, v16, vcc
	v_cmp_eq_u32_e32 vcc, 9, v24
	s_waitcnt vmcnt(0)
	v_cndmask_b32_e32 v31, v30, v21, vcc
	v_cndmask_b32_e64 v30, v32, v18, s[8:9]
	v_cndmask_b32_e32 v30, v30, v20, vcc
	v_add_u32_e32 v27, 8, v27
	s_waitcnt lgkmcnt(0)
	v_fmac_f64_e32 v[22:23], v[30:31], v[28:29]
	s_andn2_b64 exec, exec, s[14:15]
	s_cbranch_execnz .LBB9_159
; %bb.160:
	s_or_b64 exec, exec, s[14:15]
.LBB9_161:
	s_or_b64 exec, exec, s[12:13]
	v_mov_b32_e32 v10, 0
	ds_read_b64 v[10:11], v10 offset:32
	s_waitcnt lgkmcnt(0)
	v_mul_f64 v[10:11], v[22:23], v[10:11]
.LBB9_162:
	s_or_b64 exec, exec, s[24:25]
	v_cmp_gt_u32_e32 vcc, 5, v0
	s_waitcnt vmcnt(5)
	ds_write_b64 v77, v[12:13]
	s_waitcnt lgkmcnt(0)
	; wave barrier
	s_waitcnt lgkmcnt(0)
	s_and_saveexec_b64 s[24:25], vcc
	s_cbranch_execz .LBB9_172
; %bb.163:
	s_and_b64 vcc, exec, s[4:5]
	s_cbranch_vccnz .LBB9_165
; %bb.164:
	v_cmp_eq_u32_e32 vcc, 1, v0
	s_waitcnt vmcnt(1)
	v_cndmask_b32_e32 v22, v3, v5, vcc
	v_cmp_eq_u32_e64 s[8:9], 2, v0
	v_cndmask_b32_e64 v22, v22, v7, s[8:9]
	v_cmp_eq_u32_e64 s[10:11], 3, v0
	v_cndmask_b32_e64 v22, v22, v9, s[10:11]
	;; [unrolled: 2-line block ×7, first 2 shown]
	v_cmp_eq_u32_e64 s[22:23], 9, v0
	s_waitcnt vmcnt(0)
	v_cndmask_b32_e64 v23, v22, v21, s[22:23]
	v_cndmask_b32_e32 v22, v2, v4, vcc
	v_cndmask_b32_e64 v22, v22, v6, s[8:9]
	v_cndmask_b32_e64 v22, v22, v8, s[10:11]
	;; [unrolled: 1-line block ×4, first 2 shown]
	ds_read_b64 v[24:25], v77
	v_cndmask_b32_e64 v22, v22, v14, s[16:17]
	v_cndmask_b32_e64 v22, v22, v16, s[18:19]
	;; [unrolled: 1-line block ×4, first 2 shown]
	s_waitcnt lgkmcnt(0)
	v_mul_f64 v[22:23], v[22:23], v[24:25]
	s_cbranch_execz .LBB9_166
	s_branch .LBB9_167
.LBB9_165:
                                        ; implicit-def: $vgpr22_vgpr23
.LBB9_166:
	ds_read_b64 v[22:23], v77
.LBB9_167:
	v_cmp_ne_u32_e32 vcc, 4, v0
	s_and_saveexec_b64 s[12:13], vcc
	s_cbranch_execz .LBB9_171
; %bb.168:
	v_mov_b32_e32 v24, 0x58
	v_lshl_add_u32 v27, v0, 3, v24
	s_mov_b64 s[14:15], 0
	v_pk_mov_b32 v[24:25], v[0:1], v[0:1] op_sel:[0,1]
.LBB9_169:                              ; =>This Inner Loop Header: Depth=1
	v_add_co_u32_e32 v24, vcc, 1, v24
	v_addc_co_u32_e32 v25, vcc, 0, v25, vcc
	v_cmp_eq_u32_e32 vcc, 1, v24
	s_waitcnt vmcnt(1)
	v_cndmask_b32_e32 v30, v3, v5, vcc
	v_cmp_eq_u32_e64 s[10:11], 2, v24
	v_cmp_lt_u32_e64 s[8:9], 3, v24
	v_cndmask_b32_e64 v30, v30, v7, s[10:11]
	v_cndmask_b32_e32 v31, v2, v4, vcc
	v_cmp_eq_u32_e32 vcc, 3, v24
	s_or_b64 s[14:15], s[8:9], s[14:15]
	v_cndmask_b32_e32 v30, v30, v9, vcc
	v_cndmask_b32_e64 v31, v31, v6, s[10:11]
	v_cmp_eq_u32_e64 s[8:9], 4, v24
	v_cndmask_b32_e64 v30, v30, v11, s[8:9]
	v_cndmask_b32_e32 v31, v31, v8, vcc
	v_cmp_eq_u32_e32 vcc, 5, v24
	v_cndmask_b32_e32 v30, v30, v13, vcc
	v_cndmask_b32_e64 v31, v31, v10, s[8:9]
	v_cmp_eq_u32_e64 s[8:9], 6, v24
	ds_read_b64 v[28:29], v27
	v_cndmask_b32_e64 v30, v30, v15, s[8:9]
	v_cndmask_b32_e32 v31, v31, v12, vcc
	v_cmp_eq_u32_e32 vcc, 7, v24
	v_cndmask_b32_e32 v30, v30, v17, vcc
	v_cndmask_b32_e64 v31, v31, v14, s[8:9]
	v_cmp_eq_u32_e64 s[8:9], 8, v24
	v_cndmask_b32_e64 v30, v30, v19, s[8:9]
	v_cndmask_b32_e32 v32, v31, v16, vcc
	v_cmp_eq_u32_e32 vcc, 9, v24
	s_waitcnt vmcnt(0)
	v_cndmask_b32_e32 v31, v30, v21, vcc
	v_cndmask_b32_e64 v30, v32, v18, s[8:9]
	v_cndmask_b32_e32 v30, v30, v20, vcc
	v_add_u32_e32 v27, 8, v27
	s_waitcnt lgkmcnt(0)
	v_fmac_f64_e32 v[22:23], v[30:31], v[28:29]
	s_andn2_b64 exec, exec, s[14:15]
	s_cbranch_execnz .LBB9_169
; %bb.170:
	s_or_b64 exec, exec, s[14:15]
.LBB9_171:
	s_or_b64 exec, exec, s[12:13]
	v_mov_b32_e32 v12, 0
	ds_read_b64 v[12:13], v12 offset:40
	s_waitcnt lgkmcnt(0)
	v_mul_f64 v[12:13], v[22:23], v[12:13]
.LBB9_172:
	s_or_b64 exec, exec, s[24:25]
	v_cmp_gt_u32_e64 s[8:9], 6, v0
	s_waitcnt vmcnt(4)
	ds_write_b64 v77, v[14:15]
	s_waitcnt lgkmcnt(0)
	; wave barrier
	s_waitcnt lgkmcnt(0)
	s_and_saveexec_b64 s[26:27], s[8:9]
	s_cbranch_execz .LBB9_182
; %bb.173:
	s_and_b64 vcc, exec, s[4:5]
	s_cbranch_vccnz .LBB9_175
; %bb.174:
	v_cmp_eq_u32_e32 vcc, 1, v0
	s_waitcnt vmcnt(1)
	v_cndmask_b32_e32 v22, v3, v5, vcc
	v_cmp_eq_u32_e64 s[10:11], 2, v0
	v_cndmask_b32_e64 v22, v22, v7, s[10:11]
	v_cmp_eq_u32_e64 s[12:13], 3, v0
	v_cndmask_b32_e64 v22, v22, v9, s[12:13]
	v_cmp_eq_u32_e64 s[14:15], 4, v0
	v_cndmask_b32_e64 v22, v22, v11, s[14:15]
	v_cmp_eq_u32_e64 s[16:17], 5, v0
	v_cndmask_b32_e64 v22, v22, v13, s[16:17]
	v_cmp_eq_u32_e64 s[18:19], 6, v0
	v_cndmask_b32_e64 v22, v22, v15, s[18:19]
	v_cmp_eq_u32_e64 s[20:21], 7, v0
	v_cndmask_b32_e64 v22, v22, v17, s[20:21]
	v_cmp_eq_u32_e64 s[22:23], 8, v0
	v_cndmask_b32_e64 v22, v22, v19, s[22:23]
	v_cmp_eq_u32_e64 s[24:25], 9, v0
	s_waitcnt vmcnt(0)
	v_cndmask_b32_e64 v23, v22, v21, s[24:25]
	v_cndmask_b32_e32 v22, v2, v4, vcc
	v_cndmask_b32_e64 v22, v22, v6, s[10:11]
	v_cndmask_b32_e64 v22, v22, v8, s[12:13]
	;; [unrolled: 1-line block ×4, first 2 shown]
	ds_read_b64 v[24:25], v77
	v_cndmask_b32_e64 v22, v22, v14, s[18:19]
	v_cndmask_b32_e64 v22, v22, v16, s[20:21]
	v_cndmask_b32_e64 v22, v22, v18, s[22:23]
	v_cndmask_b32_e64 v22, v22, v20, s[24:25]
	s_waitcnt lgkmcnt(0)
	v_mul_f64 v[22:23], v[22:23], v[24:25]
	s_cbranch_execz .LBB9_176
	s_branch .LBB9_177
.LBB9_175:
                                        ; implicit-def: $vgpr22_vgpr23
.LBB9_176:
	ds_read_b64 v[22:23], v77
.LBB9_177:
	v_cmp_ne_u32_e32 vcc, 5, v0
	s_and_saveexec_b64 s[14:15], vcc
	s_cbranch_execz .LBB9_181
; %bb.178:
	v_mov_b32_e32 v24, 0x58
	v_lshl_add_u32 v27, v0, 3, v24
	s_mov_b64 s[16:17], 0
	v_pk_mov_b32 v[24:25], v[0:1], v[0:1] op_sel:[0,1]
.LBB9_179:                              ; =>This Inner Loop Header: Depth=1
	v_add_co_u32_e32 v24, vcc, 1, v24
	v_addc_co_u32_e32 v25, vcc, 0, v25, vcc
	v_cmp_eq_u32_e32 vcc, 1, v24
	s_waitcnt vmcnt(1)
	v_cndmask_b32_e32 v30, v3, v5, vcc
	v_cmp_eq_u32_e64 s[12:13], 2, v24
	v_cmp_lt_u32_e64 s[10:11], 4, v24
	v_cndmask_b32_e64 v30, v30, v7, s[12:13]
	v_cndmask_b32_e32 v31, v2, v4, vcc
	v_cmp_eq_u32_e32 vcc, 3, v24
	s_or_b64 s[16:17], s[10:11], s[16:17]
	v_cndmask_b32_e32 v30, v30, v9, vcc
	v_cndmask_b32_e64 v31, v31, v6, s[12:13]
	v_cmp_eq_u32_e64 s[10:11], 4, v24
	v_cndmask_b32_e64 v30, v30, v11, s[10:11]
	v_cndmask_b32_e32 v31, v31, v8, vcc
	v_cmp_eq_u32_e32 vcc, 5, v24
	v_cndmask_b32_e32 v30, v30, v13, vcc
	v_cndmask_b32_e64 v31, v31, v10, s[10:11]
	v_cmp_eq_u32_e64 s[10:11], 6, v24
	ds_read_b64 v[28:29], v27
	v_cndmask_b32_e64 v30, v30, v15, s[10:11]
	v_cndmask_b32_e32 v31, v31, v12, vcc
	v_cmp_eq_u32_e32 vcc, 7, v24
	v_cndmask_b32_e32 v30, v30, v17, vcc
	v_cndmask_b32_e64 v31, v31, v14, s[10:11]
	v_cmp_eq_u32_e64 s[10:11], 8, v24
	v_cndmask_b32_e64 v30, v30, v19, s[10:11]
	v_cndmask_b32_e32 v32, v31, v16, vcc
	v_cmp_eq_u32_e32 vcc, 9, v24
	s_waitcnt vmcnt(0)
	v_cndmask_b32_e32 v31, v30, v21, vcc
	v_cndmask_b32_e64 v30, v32, v18, s[10:11]
	v_cndmask_b32_e32 v30, v30, v20, vcc
	v_add_u32_e32 v27, 8, v27
	s_waitcnt lgkmcnt(0)
	v_fmac_f64_e32 v[22:23], v[30:31], v[28:29]
	s_andn2_b64 exec, exec, s[16:17]
	s_cbranch_execnz .LBB9_179
; %bb.180:
	s_or_b64 exec, exec, s[16:17]
.LBB9_181:
	s_or_b64 exec, exec, s[14:15]
	v_mov_b32_e32 v14, 0
	ds_read_b64 v[14:15], v14 offset:48
	s_waitcnt lgkmcnt(0)
	v_mul_f64 v[14:15], v[22:23], v[14:15]
.LBB9_182:
	s_or_b64 exec, exec, s[26:27]
	v_cmp_gt_u32_e32 vcc, 7, v0
	s_waitcnt vmcnt(3)
	ds_write_b64 v77, v[16:17]
	s_waitcnt lgkmcnt(0)
	; wave barrier
	s_waitcnt lgkmcnt(0)
	s_and_saveexec_b64 s[26:27], vcc
	s_cbranch_execz .LBB9_192
; %bb.183:
	s_and_b64 vcc, exec, s[4:5]
	s_cbranch_vccnz .LBB9_185
; %bb.184:
	v_cmp_eq_u32_e32 vcc, 1, v0
	s_waitcnt vmcnt(1)
	v_cndmask_b32_e32 v22, v3, v5, vcc
	v_cmp_eq_u32_e64 s[10:11], 2, v0
	v_cndmask_b32_e64 v22, v22, v7, s[10:11]
	v_cmp_eq_u32_e64 s[12:13], 3, v0
	v_cndmask_b32_e64 v22, v22, v9, s[12:13]
	;; [unrolled: 2-line block ×7, first 2 shown]
	v_cmp_eq_u32_e64 s[24:25], 9, v0
	s_waitcnt vmcnt(0)
	v_cndmask_b32_e64 v23, v22, v21, s[24:25]
	v_cndmask_b32_e32 v22, v2, v4, vcc
	v_cndmask_b32_e64 v22, v22, v6, s[10:11]
	v_cndmask_b32_e64 v22, v22, v8, s[12:13]
	;; [unrolled: 1-line block ×4, first 2 shown]
	ds_read_b64 v[24:25], v77
	v_cndmask_b32_e64 v22, v22, v14, s[18:19]
	v_cndmask_b32_e64 v22, v22, v16, s[20:21]
	;; [unrolled: 1-line block ×4, first 2 shown]
	s_waitcnt lgkmcnt(0)
	v_mul_f64 v[22:23], v[22:23], v[24:25]
	s_cbranch_execz .LBB9_186
	s_branch .LBB9_187
.LBB9_185:
                                        ; implicit-def: $vgpr22_vgpr23
.LBB9_186:
	ds_read_b64 v[22:23], v77
.LBB9_187:
	v_cmp_ne_u32_e32 vcc, 6, v0
	s_and_saveexec_b64 s[14:15], vcc
	s_cbranch_execz .LBB9_191
; %bb.188:
	v_mov_b32_e32 v24, 0x58
	v_lshl_add_u32 v27, v0, 3, v24
	s_mov_b64 s[16:17], 0
	v_pk_mov_b32 v[24:25], v[0:1], v[0:1] op_sel:[0,1]
.LBB9_189:                              ; =>This Inner Loop Header: Depth=1
	v_add_co_u32_e32 v24, vcc, 1, v24
	v_addc_co_u32_e32 v25, vcc, 0, v25, vcc
	v_cmp_eq_u32_e32 vcc, 1, v24
	s_waitcnt vmcnt(1)
	v_cndmask_b32_e32 v30, v3, v5, vcc
	v_cmp_eq_u32_e64 s[12:13], 2, v24
	v_cmp_lt_u32_e64 s[10:11], 5, v24
	v_cndmask_b32_e64 v30, v30, v7, s[12:13]
	v_cndmask_b32_e32 v31, v2, v4, vcc
	v_cmp_eq_u32_e32 vcc, 3, v24
	s_or_b64 s[16:17], s[10:11], s[16:17]
	v_cndmask_b32_e32 v30, v30, v9, vcc
	v_cndmask_b32_e64 v31, v31, v6, s[12:13]
	v_cmp_eq_u32_e64 s[10:11], 4, v24
	v_cndmask_b32_e64 v30, v30, v11, s[10:11]
	v_cndmask_b32_e32 v31, v31, v8, vcc
	v_cmp_eq_u32_e32 vcc, 5, v24
	v_cndmask_b32_e32 v30, v30, v13, vcc
	v_cndmask_b32_e64 v31, v31, v10, s[10:11]
	v_cmp_eq_u32_e64 s[10:11], 6, v24
	ds_read_b64 v[28:29], v27
	v_cndmask_b32_e64 v30, v30, v15, s[10:11]
	v_cndmask_b32_e32 v31, v31, v12, vcc
	v_cmp_eq_u32_e32 vcc, 7, v24
	v_cndmask_b32_e32 v30, v30, v17, vcc
	v_cndmask_b32_e64 v31, v31, v14, s[10:11]
	v_cmp_eq_u32_e64 s[10:11], 8, v24
	v_cndmask_b32_e64 v30, v30, v19, s[10:11]
	v_cndmask_b32_e32 v32, v31, v16, vcc
	v_cmp_eq_u32_e32 vcc, 9, v24
	s_waitcnt vmcnt(0)
	v_cndmask_b32_e32 v31, v30, v21, vcc
	v_cndmask_b32_e64 v30, v32, v18, s[10:11]
	v_cndmask_b32_e32 v30, v30, v20, vcc
	v_add_u32_e32 v27, 8, v27
	s_waitcnt lgkmcnt(0)
	v_fmac_f64_e32 v[22:23], v[30:31], v[28:29]
	s_andn2_b64 exec, exec, s[16:17]
	s_cbranch_execnz .LBB9_189
; %bb.190:
	s_or_b64 exec, exec, s[16:17]
.LBB9_191:
	s_or_b64 exec, exec, s[14:15]
	v_mov_b32_e32 v16, 0
	ds_read_b64 v[16:17], v16 offset:56
	s_waitcnt lgkmcnt(0)
	v_mul_f64 v[16:17], v[22:23], v[16:17]
.LBB9_192:
	s_or_b64 exec, exec, s[26:27]
	v_cmp_gt_u32_e64 s[10:11], 8, v0
	s_waitcnt vmcnt(2)
	ds_write_b64 v77, v[18:19]
	s_waitcnt lgkmcnt(0)
	; wave barrier
	s_waitcnt lgkmcnt(0)
	s_and_saveexec_b64 s[28:29], s[10:11]
	s_cbranch_execz .LBB9_202
; %bb.193:
	s_and_b64 vcc, exec, s[4:5]
	s_cbranch_vccnz .LBB9_195
; %bb.194:
	v_cmp_eq_u32_e32 vcc, 1, v0
	s_waitcnt vmcnt(1)
	v_cndmask_b32_e32 v22, v3, v5, vcc
	v_cmp_eq_u32_e64 s[12:13], 2, v0
	v_cndmask_b32_e64 v22, v22, v7, s[12:13]
	v_cmp_eq_u32_e64 s[14:15], 3, v0
	v_cndmask_b32_e64 v22, v22, v9, s[14:15]
	;; [unrolled: 2-line block ×7, first 2 shown]
	v_cmp_eq_u32_e64 s[26:27], 9, v0
	s_waitcnt vmcnt(0)
	v_cndmask_b32_e64 v23, v22, v21, s[26:27]
	v_cndmask_b32_e32 v22, v2, v4, vcc
	v_cndmask_b32_e64 v22, v22, v6, s[12:13]
	v_cndmask_b32_e64 v22, v22, v8, s[14:15]
	;; [unrolled: 1-line block ×4, first 2 shown]
	ds_read_b64 v[24:25], v77
	v_cndmask_b32_e64 v22, v22, v14, s[20:21]
	v_cndmask_b32_e64 v22, v22, v16, s[22:23]
	;; [unrolled: 1-line block ×4, first 2 shown]
	s_waitcnt lgkmcnt(0)
	v_mul_f64 v[22:23], v[22:23], v[24:25]
	s_cbranch_execz .LBB9_196
	s_branch .LBB9_197
.LBB9_195:
                                        ; implicit-def: $vgpr22_vgpr23
.LBB9_196:
	ds_read_b64 v[22:23], v77
.LBB9_197:
	v_cmp_ne_u32_e32 vcc, 7, v0
	s_and_saveexec_b64 s[16:17], vcc
	s_cbranch_execz .LBB9_201
; %bb.198:
	v_mov_b32_e32 v24, 0x58
	v_lshl_add_u32 v27, v0, 3, v24
	s_mov_b64 s[18:19], 0
	v_pk_mov_b32 v[24:25], v[0:1], v[0:1] op_sel:[0,1]
.LBB9_199:                              ; =>This Inner Loop Header: Depth=1
	v_add_co_u32_e32 v24, vcc, 1, v24
	v_addc_co_u32_e32 v25, vcc, 0, v25, vcc
	v_cmp_eq_u32_e32 vcc, 1, v24
	s_waitcnt vmcnt(1)
	v_cndmask_b32_e32 v1, v3, v5, vcc
	v_cmp_eq_u32_e64 s[14:15], 2, v24
	v_cmp_lt_u32_e64 s[12:13], 6, v24
	v_cndmask_b32_e64 v1, v1, v7, s[14:15]
	v_cndmask_b32_e32 v30, v2, v4, vcc
	v_cmp_eq_u32_e32 vcc, 3, v24
	s_or_b64 s[18:19], s[12:13], s[18:19]
	v_cndmask_b32_e32 v1, v1, v9, vcc
	v_cndmask_b32_e64 v30, v30, v6, s[14:15]
	v_cmp_eq_u32_e64 s[12:13], 4, v24
	v_cndmask_b32_e64 v1, v1, v11, s[12:13]
	v_cndmask_b32_e32 v30, v30, v8, vcc
	v_cmp_eq_u32_e32 vcc, 5, v24
	v_cndmask_b32_e32 v1, v1, v13, vcc
	v_cndmask_b32_e64 v30, v30, v10, s[12:13]
	v_cmp_eq_u32_e64 s[12:13], 6, v24
	ds_read_b64 v[28:29], v27
	v_cndmask_b32_e64 v1, v1, v15, s[12:13]
	v_cndmask_b32_e32 v30, v30, v12, vcc
	v_cmp_eq_u32_e32 vcc, 7, v24
	v_cndmask_b32_e32 v1, v1, v17, vcc
	v_cndmask_b32_e64 v30, v30, v14, s[12:13]
	v_cmp_eq_u32_e64 s[12:13], 8, v24
	v_cndmask_b32_e64 v1, v1, v19, s[12:13]
	v_cndmask_b32_e32 v30, v30, v16, vcc
	v_cmp_eq_u32_e32 vcc, 9, v24
	s_waitcnt vmcnt(0)
	v_cndmask_b32_e32 v31, v1, v21, vcc
	v_cndmask_b32_e64 v1, v30, v18, s[12:13]
	v_cndmask_b32_e32 v30, v1, v20, vcc
	v_add_u32_e32 v27, 8, v27
	s_waitcnt lgkmcnt(0)
	v_fmac_f64_e32 v[22:23], v[30:31], v[28:29]
	s_andn2_b64 exec, exec, s[18:19]
	s_cbranch_execnz .LBB9_199
; %bb.200:
	s_or_b64 exec, exec, s[18:19]
.LBB9_201:
	s_or_b64 exec, exec, s[16:17]
	v_mov_b32_e32 v1, 0
	ds_read_b64 v[18:19], v1 offset:64
	s_waitcnt lgkmcnt(0)
	v_mul_f64 v[18:19], v[22:23], v[18:19]
.LBB9_202:
	s_or_b64 exec, exec, s[28:29]
	v_cmp_ne_u32_e32 vcc, 9, v0
	s_waitcnt vmcnt(0)
	ds_write_b64 v77, v[20:21]
	s_waitcnt lgkmcnt(0)
	; wave barrier
	s_waitcnt lgkmcnt(0)
	s_and_saveexec_b64 s[26:27], vcc
	s_cbranch_execz .LBB9_224
; %bb.203:
	s_and_b64 vcc, exec, s[4:5]
	s_cbranch_vccnz .LBB9_205
; %bb.204:
	v_cmp_eq_u32_e32 vcc, 1, v0
	v_cndmask_b32_e32 v1, v3, v5, vcc
	v_cmp_eq_u32_e64 s[4:5], 2, v0
	v_cndmask_b32_e64 v1, v1, v7, s[4:5]
	v_cmp_eq_u32_e64 s[12:13], 3, v0
	v_cndmask_b32_e64 v1, v1, v9, s[12:13]
	;; [unrolled: 2-line block ×8, first 2 shown]
	v_cndmask_b32_e32 v1, v2, v4, vcc
	v_cndmask_b32_e64 v1, v1, v6, s[4:5]
	v_cndmask_b32_e64 v1, v1, v8, s[12:13]
	;; [unrolled: 1-line block ×4, first 2 shown]
	ds_read_b64 v[24:25], v77
	v_cndmask_b32_e64 v1, v1, v14, s[18:19]
	v_cndmask_b32_e64 v1, v1, v16, s[20:21]
	;; [unrolled: 1-line block ×4, first 2 shown]
	s_waitcnt lgkmcnt(0)
	v_mul_f64 v[22:23], v[22:23], v[24:25]
	s_cbranch_execz .LBB9_206
	s_branch .LBB9_207
.LBB9_205:
                                        ; implicit-def: $vgpr22_vgpr23
.LBB9_206:
	ds_read_b64 v[22:23], v77
.LBB9_207:
	s_and_saveexec_b64 s[24:25], s[10:11]
	s_cbranch_execz .LBB9_223
; %bb.208:
	v_cmp_eq_u32_e32 vcc, 1, v26
	v_cndmask_b32_e32 v1, v3, v5, vcc
	v_cmp_eq_u32_e64 s[4:5], 2, v26
	v_cndmask_b32_e64 v1, v1, v7, s[4:5]
	v_cmp_eq_u32_e64 s[10:11], 3, v26
	v_cndmask_b32_e64 v1, v1, v9, s[10:11]
	;; [unrolled: 2-line block ×8, first 2 shown]
	v_cndmask_b32_e32 v1, v2, v4, vcc
	v_cndmask_b32_e64 v1, v1, v6, s[4:5]
	v_cndmask_b32_e64 v1, v1, v8, s[10:11]
	;; [unrolled: 1-line block ×4, first 2 shown]
	ds_read_b64 v[26:27], v77 offset:8
	v_cndmask_b32_e64 v1, v1, v14, s[16:17]
	v_cndmask_b32_e64 v1, v1, v16, s[18:19]
	;; [unrolled: 1-line block ×4, first 2 shown]
	s_waitcnt lgkmcnt(0)
	v_fmac_f64_e32 v[22:23], v[24:25], v[26:27]
	v_cmp_ne_u32_e32 vcc, 7, v0
	s_and_saveexec_b64 s[28:29], vcc
	s_cbranch_execz .LBB9_222
; %bb.209:
	v_add_u32_e32 v1, 2, v0
	v_cmp_eq_u32_e32 vcc, 1, v1
	v_cndmask_b32_e32 v24, v3, v5, vcc
	v_cmp_eq_u32_e64 s[4:5], 2, v1
	v_cmp_eq_u32_e64 s[10:11], 3, v1
	;; [unrolled: 1-line block ×8, first 2 shown]
	v_cndmask_b32_e32 v1, v2, v4, vcc
	v_cndmask_b32_e64 v24, v24, v7, s[4:5]
	v_cndmask_b32_e64 v1, v1, v6, s[4:5]
	;; [unrolled: 1-line block ×8, first 2 shown]
	ds_read_b64 v[26:27], v77 offset:16
	v_cndmask_b32_e64 v24, v24, v15, s[16:17]
	v_cndmask_b32_e64 v1, v1, v14, s[16:17]
	;; [unrolled: 1-line block ×8, first 2 shown]
	s_waitcnt lgkmcnt(0)
	v_fmac_f64_e32 v[22:23], v[24:25], v[26:27]
	s_and_saveexec_b64 s[22:23], s[8:9]
	s_cbranch_execz .LBB9_221
; %bb.210:
	v_add_u32_e32 v1, 3, v0
	v_cmp_eq_u32_e32 vcc, 1, v1
	v_cndmask_b32_e32 v24, v3, v5, vcc
	v_cmp_eq_u32_e64 s[4:5], 2, v1
	v_cmp_eq_u32_e64 s[8:9], 3, v1
	;; [unrolled: 1-line block ×8, first 2 shown]
	v_cndmask_b32_e32 v1, v2, v4, vcc
	v_cndmask_b32_e64 v24, v24, v7, s[4:5]
	v_cndmask_b32_e64 v1, v1, v6, s[4:5]
	;; [unrolled: 1-line block ×8, first 2 shown]
	ds_read_b64 v[26:27], v77 offset:24
	v_cndmask_b32_e64 v24, v24, v15, s[14:15]
	v_cndmask_b32_e64 v1, v1, v14, s[14:15]
	;; [unrolled: 1-line block ×8, first 2 shown]
	s_waitcnt lgkmcnt(0)
	v_fmac_f64_e32 v[22:23], v[24:25], v[26:27]
	v_cmp_ne_u32_e32 vcc, 5, v0
	s_and_saveexec_b64 s[30:31], vcc
	s_cbranch_execz .LBB9_220
; %bb.211:
	v_add_u32_e32 v1, 4, v0
	v_cmp_eq_u32_e32 vcc, 1, v1
	v_cndmask_b32_e32 v24, v3, v5, vcc
	v_cmp_eq_u32_e64 s[4:5], 2, v1
	v_cmp_eq_u32_e64 s[8:9], 3, v1
	;; [unrolled: 1-line block ×8, first 2 shown]
	v_cndmask_b32_e32 v1, v2, v4, vcc
	v_cndmask_b32_e64 v24, v24, v7, s[4:5]
	v_cndmask_b32_e64 v1, v1, v6, s[4:5]
	;; [unrolled: 1-line block ×8, first 2 shown]
	ds_read_b64 v[26:27], v77 offset:32
	v_cndmask_b32_e64 v24, v24, v15, s[14:15]
	v_cndmask_b32_e64 v1, v1, v14, s[14:15]
	;; [unrolled: 1-line block ×8, first 2 shown]
	s_waitcnt lgkmcnt(0)
	v_fmac_f64_e32 v[22:23], v[24:25], v[26:27]
	s_and_saveexec_b64 s[20:21], s[6:7]
	s_cbranch_execz .LBB9_219
; %bb.212:
	v_add_u32_e32 v1, 5, v0
	v_cmp_eq_u32_e32 vcc, 1, v1
	v_cndmask_b32_e32 v24, v3, v5, vcc
	v_cmp_eq_u32_e64 s[4:5], 2, v1
	v_cmp_eq_u32_e64 s[6:7], 3, v1
	;; [unrolled: 1-line block ×8, first 2 shown]
	v_cndmask_b32_e32 v1, v2, v4, vcc
	v_cndmask_b32_e64 v24, v24, v7, s[4:5]
	v_cndmask_b32_e64 v1, v1, v6, s[4:5]
	v_cndmask_b32_e64 v24, v24, v9, s[6:7]
	v_cndmask_b32_e64 v1, v1, v8, s[6:7]
	v_cndmask_b32_e64 v24, v24, v11, s[8:9]
	v_cndmask_b32_e64 v1, v1, v10, s[8:9]
	v_cndmask_b32_e64 v24, v24, v13, s[10:11]
	v_cndmask_b32_e64 v1, v1, v12, s[10:11]
	ds_read_b64 v[26:27], v77 offset:40
	v_cndmask_b32_e64 v24, v24, v15, s[12:13]
	v_cndmask_b32_e64 v1, v1, v14, s[12:13]
	;; [unrolled: 1-line block ×8, first 2 shown]
	s_waitcnt lgkmcnt(0)
	v_fmac_f64_e32 v[22:23], v[24:25], v[26:27]
	v_cmp_ne_u32_e32 vcc, 3, v0
	s_and_saveexec_b64 s[34:35], vcc
	s_cbranch_execz .LBB9_218
; %bb.213:
	v_add_u32_e32 v1, 6, v0
	v_cmp_eq_u32_e32 vcc, 1, v1
	v_cndmask_b32_e32 v24, v3, v5, vcc
	v_cmp_eq_u32_e64 s[4:5], 2, v1
	v_cmp_eq_u32_e64 s[6:7], 3, v1
	v_cmp_eq_u32_e64 s[8:9], 4, v1
	v_cmp_eq_u32_e64 s[10:11], 5, v1
	v_cmp_eq_u32_e64 s[12:13], 6, v1
	v_cmp_eq_u32_e64 s[14:15], 7, v1
	v_cmp_eq_u32_e64 s[16:17], 8, v1
	v_cmp_eq_u32_e64 s[18:19], 9, v1
	v_cndmask_b32_e32 v1, v2, v4, vcc
	v_cndmask_b32_e64 v24, v24, v7, s[4:5]
	v_cndmask_b32_e64 v1, v1, v6, s[4:5]
	;; [unrolled: 1-line block ×8, first 2 shown]
	ds_read_b64 v[26:27], v77 offset:48
	v_cndmask_b32_e64 v24, v24, v15, s[12:13]
	v_cndmask_b32_e64 v1, v1, v14, s[12:13]
	v_cndmask_b32_e64 v24, v24, v17, s[14:15]
	v_cndmask_b32_e64 v1, v1, v16, s[14:15]
	v_cndmask_b32_e64 v24, v24, v19, s[16:17]
	v_cndmask_b32_e64 v1, v1, v18, s[16:17]
	v_cndmask_b32_e64 v25, v24, v21, s[18:19]
	v_cndmask_b32_e64 v24, v1, v20, s[18:19]
	s_waitcnt lgkmcnt(0)
	v_fmac_f64_e32 v[22:23], v[24:25], v[26:27]
	s_and_saveexec_b64 s[18:19], s[2:3]
	s_cbranch_execz .LBB9_217
; %bb.214:
	v_add_u32_e32 v0, 7, v0
	v_cmp_eq_u32_e32 vcc, 1, v0
	v_cndmask_b32_e32 v1, v3, v5, vcc
	v_cmp_eq_u32_e64 s[2:3], 2, v0
	v_cmp_eq_u32_e64 s[4:5], 3, v0
	;; [unrolled: 1-line block ×8, first 2 shown]
	v_cndmask_b32_e32 v0, v2, v4, vcc
	v_cndmask_b32_e64 v1, v1, v7, s[2:3]
	v_cndmask_b32_e64 v0, v0, v6, s[2:3]
	;; [unrolled: 1-line block ×8, first 2 shown]
	ds_read_b64 v[24:25], v77 offset:56
	v_cndmask_b32_e64 v1, v1, v15, s[10:11]
	v_cndmask_b32_e64 v0, v0, v14, s[10:11]
	;; [unrolled: 1-line block ×8, first 2 shown]
	s_waitcnt lgkmcnt(0)
	v_fmac_f64_e32 v[22:23], v[0:1], v[24:25]
	s_and_saveexec_b64 s[2:3], s[0:1]
	s_cbranch_execz .LBB9_216
; %bb.215:
	ds_read_b64 v[0:1], v77 offset:64
	s_waitcnt lgkmcnt(0)
	v_fmac_f64_e32 v[22:23], v[18:19], v[0:1]
.LBB9_216:
	s_or_b64 exec, exec, s[2:3]
.LBB9_217:
	s_or_b64 exec, exec, s[18:19]
.LBB9_218:
	s_or_b64 exec, exec, s[34:35]
.LBB9_219:
	s_or_b64 exec, exec, s[20:21]
.LBB9_220:
	s_or_b64 exec, exec, s[30:31]
.LBB9_221:
	s_or_b64 exec, exec, s[22:23]
.LBB9_222:
	s_or_b64 exec, exec, s[28:29]
.LBB9_223:
	s_or_b64 exec, exec, s[24:25]
	v_mov_b32_e32 v0, 0
	ds_read_b64 v[0:1], v0 offset:72
	s_waitcnt lgkmcnt(0)
	v_mul_f64 v[20:21], v[22:23], v[0:1]
.LBB9_224:
	s_or_b64 exec, exec, s[26:27]
	v_pk_mov_b32 v[52:53], v[32:33], v[32:33] op_sel:[0,1]
	v_pk_mov_b32 v[50:51], v[30:31], v[30:31] op_sel:[0,1]
	;; [unrolled: 1-line block ×16, first 2 shown]
.LBB9_225:
	global_store_dwordx2 v[54:55], v[22:23], off
	global_store_dwordx2 v[56:57], v[24:25], off
	;; [unrolled: 1-line block ×10, first 2 shown]
.LBB9_226:
	s_endpgm
	.section	.rodata,"a",@progbits
	.p2align	6, 0x0
	.amdhsa_kernel _ZN9rocsolver6v33100L18trti2_kernel_smallILi10EdPdEEv13rocblas_fill_17rocblas_diagonal_T1_iil
		.amdhsa_group_segment_fixed_size 160
		.amdhsa_private_segment_fixed_size 0
		.amdhsa_kernarg_size 32
		.amdhsa_user_sgpr_count 6
		.amdhsa_user_sgpr_private_segment_buffer 1
		.amdhsa_user_sgpr_dispatch_ptr 0
		.amdhsa_user_sgpr_queue_ptr 0
		.amdhsa_user_sgpr_kernarg_segment_ptr 1
		.amdhsa_user_sgpr_dispatch_id 0
		.amdhsa_user_sgpr_flat_scratch_init 0
		.amdhsa_user_sgpr_kernarg_preload_length 0
		.amdhsa_user_sgpr_kernarg_preload_offset 0
		.amdhsa_user_sgpr_private_segment_size 0
		.amdhsa_uses_dynamic_stack 0
		.amdhsa_system_sgpr_private_segment_wavefront_offset 0
		.amdhsa_system_sgpr_workgroup_id_x 1
		.amdhsa_system_sgpr_workgroup_id_y 0
		.amdhsa_system_sgpr_workgroup_id_z 0
		.amdhsa_system_sgpr_workgroup_info 0
		.amdhsa_system_vgpr_workitem_id 0
		.amdhsa_next_free_vgpr 102
		.amdhsa_next_free_sgpr 36
		.amdhsa_accum_offset 104
		.amdhsa_reserve_vcc 1
		.amdhsa_reserve_flat_scratch 0
		.amdhsa_float_round_mode_32 0
		.amdhsa_float_round_mode_16_64 0
		.amdhsa_float_denorm_mode_32 3
		.amdhsa_float_denorm_mode_16_64 3
		.amdhsa_dx10_clamp 1
		.amdhsa_ieee_mode 1
		.amdhsa_fp16_overflow 0
		.amdhsa_tg_split 0
		.amdhsa_exception_fp_ieee_invalid_op 0
		.amdhsa_exception_fp_denorm_src 0
		.amdhsa_exception_fp_ieee_div_zero 0
		.amdhsa_exception_fp_ieee_overflow 0
		.amdhsa_exception_fp_ieee_underflow 0
		.amdhsa_exception_fp_ieee_inexact 0
		.amdhsa_exception_int_div_zero 0
	.end_amdhsa_kernel
	.section	.text._ZN9rocsolver6v33100L18trti2_kernel_smallILi10EdPdEEv13rocblas_fill_17rocblas_diagonal_T1_iil,"axG",@progbits,_ZN9rocsolver6v33100L18trti2_kernel_smallILi10EdPdEEv13rocblas_fill_17rocblas_diagonal_T1_iil,comdat
.Lfunc_end9:
	.size	_ZN9rocsolver6v33100L18trti2_kernel_smallILi10EdPdEEv13rocblas_fill_17rocblas_diagonal_T1_iil, .Lfunc_end9-_ZN9rocsolver6v33100L18trti2_kernel_smallILi10EdPdEEv13rocblas_fill_17rocblas_diagonal_T1_iil
                                        ; -- End function
	.section	.AMDGPU.csdata,"",@progbits
; Kernel info:
; codeLenInByte = 15524
; NumSgprs: 40
; NumVgprs: 102
; NumAgprs: 0
; TotalNumVgprs: 102
; ScratchSize: 0
; MemoryBound: 0
; FloatMode: 240
; IeeeMode: 1
; LDSByteSize: 160 bytes/workgroup (compile time only)
; SGPRBlocks: 4
; VGPRBlocks: 12
; NumSGPRsForWavesPerEU: 40
; NumVGPRsForWavesPerEU: 102
; AccumOffset: 104
; Occupancy: 4
; WaveLimiterHint : 0
; COMPUTE_PGM_RSRC2:SCRATCH_EN: 0
; COMPUTE_PGM_RSRC2:USER_SGPR: 6
; COMPUTE_PGM_RSRC2:TRAP_HANDLER: 0
; COMPUTE_PGM_RSRC2:TGID_X_EN: 1
; COMPUTE_PGM_RSRC2:TGID_Y_EN: 0
; COMPUTE_PGM_RSRC2:TGID_Z_EN: 0
; COMPUTE_PGM_RSRC2:TIDIG_COMP_CNT: 0
; COMPUTE_PGM_RSRC3_GFX90A:ACCUM_OFFSET: 25
; COMPUTE_PGM_RSRC3_GFX90A:TG_SPLIT: 0
	.section	.text._ZN9rocsolver6v33100L18trti2_kernel_smallILi11EdPdEEv13rocblas_fill_17rocblas_diagonal_T1_iil,"axG",@progbits,_ZN9rocsolver6v33100L18trti2_kernel_smallILi11EdPdEEv13rocblas_fill_17rocblas_diagonal_T1_iil,comdat
	.globl	_ZN9rocsolver6v33100L18trti2_kernel_smallILi11EdPdEEv13rocblas_fill_17rocblas_diagonal_T1_iil ; -- Begin function _ZN9rocsolver6v33100L18trti2_kernel_smallILi11EdPdEEv13rocblas_fill_17rocblas_diagonal_T1_iil
	.p2align	8
	.type	_ZN9rocsolver6v33100L18trti2_kernel_smallILi11EdPdEEv13rocblas_fill_17rocblas_diagonal_T1_iil,@function
_ZN9rocsolver6v33100L18trti2_kernel_smallILi11EdPdEEv13rocblas_fill_17rocblas_diagonal_T1_iil: ; @_ZN9rocsolver6v33100L18trti2_kernel_smallILi11EdPdEEv13rocblas_fill_17rocblas_diagonal_T1_iil
; %bb.0:
	v_cmp_gt_u32_e32 vcc, 11, v0
	s_and_saveexec_b64 s[0:1], vcc
	s_cbranch_execz .LBB10_252
; %bb.1:
	s_load_dwordx8 s[24:31], s[4:5], 0x0
	s_ashr_i32 s2, s6, 31
	v_lshlrev_b32_e32 v26, 3, v0
	v_mov_b32_e32 v24, 0
	v_mov_b32_e32 v25, 0xbff00000
	s_waitcnt lgkmcnt(0)
	s_mul_i32 s3, s6, s31
	s_mul_hi_u32 s4, s6, s30
	s_add_i32 s3, s4, s3
	s_mul_i32 s2, s2, s30
	s_add_i32 s3, s3, s2
	s_mul_i32 s2, s6, s30
	s_ashr_i32 s1, s28, 31
	s_lshl_b64 s[2:3], s[2:3], 3
	s_mov_b32 s0, s28
	s_add_u32 s2, s26, s2
	s_addc_u32 s3, s27, s3
	s_lshl_b64 s[0:1], s[0:1], 3
	s_add_u32 s0, s2, s0
	s_addc_u32 s1, s3, s1
	v_mov_b32_e32 v1, s1
	v_add_co_u32_e32 v56, vcc, s0, v26
	s_ashr_i32 s3, s29, 31
	s_mov_b32 s2, s29
	v_addc_co_u32_e32 v57, vcc, 0, v1, vcc
	s_lshl_b64 s[2:3], s[2:3], 3
	v_add_co_u32_e32 v58, vcc, s2, v56
	s_add_i32 s2, s29, s29
	v_add_u32_e32 v2, s2, v0
	v_mov_b32_e32 v1, s3
	v_ashrrev_i32_e32 v3, 31, v2
	v_addc_co_u32_e32 v59, vcc, v57, v1, vcc
	v_lshlrev_b64 v[4:5], 3, v[2:3]
	v_add_u32_e32 v2, s29, v2
	v_mov_b32_e32 v1, s1
	v_add_co_u32_e32 v60, vcc, s0, v4
	v_ashrrev_i32_e32 v3, 31, v2
	v_addc_co_u32_e32 v61, vcc, v1, v5, vcc
	v_lshlrev_b64 v[4:5], 3, v[2:3]
	v_add_u32_e32 v2, s29, v2
	v_add_co_u32_e32 v62, vcc, s0, v4
	v_ashrrev_i32_e32 v3, 31, v2
	v_addc_co_u32_e32 v63, vcc, v1, v5, vcc
	v_lshlrev_b64 v[4:5], 3, v[2:3]
	v_add_u32_e32 v2, s29, v2
	;; [unrolled: 5-line block ×7, first 2 shown]
	v_add_co_u32_e32 v74, vcc, s0, v20
	v_ashrrev_i32_e32 v3, 31, v2
	global_load_dwordx2 v[4:5], v[58:59], off
	global_load_dwordx2 v[6:7], v[60:61], off
	;; [unrolled: 1-line block ×8, first 2 shown]
	v_addc_co_u32_e32 v75, vcc, v1, v21, vcc
	v_lshlrev_b64 v[2:3], 3, v[2:3]
	v_add_co_u32_e32 v76, vcc, s0, v2
	global_load_dwordx2 v[20:21], v[74:75], off
	v_addc_co_u32_e32 v77, vcc, v1, v3, vcc
	global_load_dwordx2 v[2:3], v26, s[0:1]
	global_load_dwordx2 v[22:23], v[76:77], off
	s_cmpk_lg_i32 s25, 0x84
	v_mov_b32_e32 v1, 0
	s_cselect_b64 s[22:23], -1, 0
	s_cmpk_eq_i32 s25, 0x84
	v_cmp_eq_u32_e64 s[0:1], 0, v0
	s_cbranch_scc1 .LBB10_3
; %bb.2:
	v_cmp_eq_u32_e64 s[2:3], 1, v0
	s_waitcnt vmcnt(1)
	v_cndmask_b32_e64 v24, v3, v5, s[2:3]
	v_cmp_eq_u32_e64 s[4:5], 2, v0
	v_cndmask_b32_e64 v24, v24, v7, s[4:5]
	v_cmp_eq_u32_e64 s[6:7], 3, v0
	v_cndmask_b32_e64 v24, v24, v9, s[6:7]
	v_cmp_eq_u32_e64 s[8:9], 4, v0
	v_cndmask_b32_e64 v24, v24, v11, s[8:9]
	v_cmp_eq_u32_e64 s[10:11], 5, v0
	v_cndmask_b32_e64 v24, v24, v13, s[10:11]
	v_cmp_eq_u32_e64 s[12:13], 6, v0
	v_cndmask_b32_e64 v24, v24, v15, s[12:13]
	v_cmp_eq_u32_e64 s[14:15], 7, v0
	v_cndmask_b32_e64 v24, v24, v17, s[14:15]
	v_cmp_eq_u32_e64 s[16:17], 8, v0
	v_cndmask_b32_e64 v24, v24, v19, s[16:17]
	v_cmp_eq_u32_e64 s[18:19], 9, v0
	v_cndmask_b32_e64 v24, v24, v21, s[18:19]
	v_cmp_eq_u32_e64 s[20:21], 10, v0
	s_waitcnt vmcnt(0)
	v_cndmask_b32_e64 v25, v24, v23, s[20:21]
	v_cndmask_b32_e64 v24, v2, v4, s[2:3]
	;; [unrolled: 1-line block ×11, first 2 shown]
	v_div_scale_f64 v[28:29], s[26:27], v[24:25], v[24:25], 1.0
	v_rcp_f64_e32 v[30:31], v[28:29]
	v_fma_f64 v[32:33], -v[28:29], v[30:31], 1.0
	v_fmac_f64_e32 v[30:31], v[30:31], v[32:33]
	v_fma_f64 v[32:33], -v[28:29], v[30:31], 1.0
	v_fmac_f64_e32 v[30:31], v[30:31], v[32:33]
	v_div_scale_f64 v[32:33], vcc, 1.0, v[24:25], 1.0
	v_mul_f64 v[34:35], v[32:33], v[30:31]
	v_fma_f64 v[28:29], -v[28:29], v[34:35], v[32:33]
	s_nop 1
	v_div_fmas_f64 v[28:29], v[28:29], v[30:31], v[34:35]
	v_div_fixup_f64 v[24:25], v[28:29], v[24:25], 1.0
	v_cndmask_b32_e64 v23, v23, v25, s[20:21]
	v_cndmask_b32_e64 v22, v22, v24, s[20:21]
	;; [unrolled: 1-line block ×22, first 2 shown]
	v_xor_b32_e32 v25, 0x80000000, v25
.LBB10_3:
	s_cmpk_eq_i32 s24, 0x79
	v_add_u32_e32 v81, 0x60, v26
	ds_write_b64 v26, v[24:25]
	s_cbranch_scc1 .LBB10_7
; %bb.4:
	s_waitcnt vmcnt(0)
	v_pk_mov_b32 v[54:55], v[32:33], v[32:33] op_sel:[0,1]
	v_cmp_eq_u32_e64 s[2:3], 10, v0
	v_pk_mov_b32 v[52:53], v[30:31], v[30:31] op_sel:[0,1]
	v_pk_mov_b32 v[50:51], v[28:29], v[28:29] op_sel:[0,1]
	;; [unrolled: 1-line block ×15, first 2 shown]
	ds_write_b64 v81, v[20:21]
	s_waitcnt lgkmcnt(0)
	; wave barrier
	s_waitcnt lgkmcnt(0)
	s_and_saveexec_b64 s[20:21], s[2:3]
	s_cbranch_execz .LBB10_11
; %bb.5:
	s_and_b64 vcc, exec, s[22:23]
	s_cbranch_vccz .LBB10_8
; %bb.6:
	v_cmp_eq_u32_e32 vcc, 1, v0
	v_cndmask_b32_e32 v24, v3, v5, vcc
	v_cmp_eq_u32_e64 s[0:1], 2, v0
	v_cndmask_b32_e64 v24, v24, v7, s[0:1]
	v_cmp_eq_u32_e64 s[4:5], 3, v0
	v_cndmask_b32_e64 v24, v24, v9, s[4:5]
	;; [unrolled: 2-line block ×9, first 2 shown]
	v_cndmask_b32_e32 v24, v2, v4, vcc
	v_cndmask_b32_e64 v24, v24, v6, s[0:1]
	v_cndmask_b32_e64 v24, v24, v8, s[4:5]
	;; [unrolled: 1-line block ×5, first 2 shown]
	ds_read_b64 v[26:27], v81
	v_cndmask_b32_e64 v24, v24, v16, s[12:13]
	v_cndmask_b32_e64 v24, v24, v18, s[14:15]
	;; [unrolled: 1-line block ×4, first 2 shown]
	s_waitcnt lgkmcnt(0)
	v_mul_f64 v[28:29], v[24:25], v[26:27]
	s_cbranch_execz .LBB10_9
	s_branch .LBB10_10
.LBB10_7:
                                        ; implicit-def: $vgpr24_vgpr25_vgpr26_vgpr27_vgpr28_vgpr29_vgpr30_vgpr31_vgpr32_vgpr33_vgpr34_vgpr35_vgpr36_vgpr37_vgpr38_vgpr39_vgpr40_vgpr41_vgpr42_vgpr43_vgpr44_vgpr45_vgpr46_vgpr47_vgpr48_vgpr49_vgpr50_vgpr51_vgpr52_vgpr53_vgpr54_vgpr55
	s_cbranch_execnz .LBB10_146
	s_branch .LBB10_251
.LBB10_8:
                                        ; implicit-def: $vgpr28_vgpr29
.LBB10_9:
	ds_read_b64 v[28:29], v81
.LBB10_10:
	v_mov_b32_e32 v24, 0
	ds_read_b64 v[30:31], v24 offset:72
	v_mov_b32_e32 v24, v2
	v_mov_b32_e32 v25, v3
	;; [unrolled: 1-line block ×4, first 2 shown]
	s_waitcnt lgkmcnt(0)
	v_mul_f64 v[42:43], v[28:29], v[30:31]
	v_mov_b32_e32 v28, v6
	v_mov_b32_e32 v29, v7
	;; [unrolled: 1-line block ×16, first 2 shown]
.LBB10_11:
	s_or_b64 exec, exec, s[20:21]
	v_cmp_lt_u32_e64 s[0:1], 8, v0
	ds_write_b64 v81, v[40:41]
	s_waitcnt lgkmcnt(0)
	; wave barrier
	s_waitcnt lgkmcnt(0)
	s_and_saveexec_b64 s[24:25], s[0:1]
	s_cbranch_execz .LBB10_17
; %bb.12:
	s_andn2_b64 vcc, exec, s[22:23]
	s_cbranch_vccnz .LBB10_14
; %bb.13:
	v_cmp_eq_u32_e32 vcc, 1, v0
	v_cndmask_b32_e32 v46, v25, v27, vcc
	v_cmp_eq_u32_e64 s[4:5], 2, v0
	v_cndmask_b32_e64 v46, v46, v29, s[4:5]
	v_cmp_eq_u32_e64 s[6:7], 3, v0
	v_cndmask_b32_e64 v46, v46, v31, s[6:7]
	;; [unrolled: 2-line block ×7, first 2 shown]
	v_cndmask_b32_e32 v46, v24, v26, vcc
	v_cndmask_b32_e64 v46, v46, v28, s[4:5]
	v_cndmask_b32_e64 v46, v46, v30, s[6:7]
	v_cndmask_b32_e64 v46, v46, v32, s[8:9]
	v_cndmask_b32_e64 v46, v46, v34, s[10:11]
	v_cndmask_b32_e64 v48, v46, v36, s[12:13]
	ds_read_b64 v[46:47], v81
	v_cndmask_b32_e64 v48, v48, v38, s[14:15]
	v_cmp_eq_u32_e64 s[18:19], 9, v0
	v_cndmask_b32_e64 v40, v48, v40, s[16:17]
	v_cndmask_b32_e64 v41, v41, v43, s[18:19]
	v_cmp_eq_u32_e64 s[20:21], 10, v0
	v_cndmask_b32_e64 v40, v40, v42, s[18:19]
	v_cndmask_b32_e64 v41, v41, v45, s[20:21]
	;; [unrolled: 1-line block ×3, first 2 shown]
	s_waitcnt lgkmcnt(0)
	v_mul_f64 v[40:41], v[40:41], v[46:47]
	s_cbranch_execz .LBB10_15
	s_branch .LBB10_16
.LBB10_14:
                                        ; implicit-def: $vgpr40_vgpr41
.LBB10_15:
	ds_read_b64 v[40:41], v81
.LBB10_16:
	v_mov_b32_e32 v46, 0
	ds_read2_b64 v[46:49], v46 offset0:8 offset1:21
	s_waitcnt lgkmcnt(0)
	v_fma_f64 v[48:49], v[42:43], v[48:49], v[40:41]
	v_cndmask_b32_e64 v41, v41, v49, s[2:3]
	v_cndmask_b32_e64 v40, v40, v48, s[2:3]
	v_mul_f64 v[40:41], v[40:41], v[46:47]
.LBB10_17:
	s_or_b64 exec, exec, s[24:25]
	v_cmp_lt_u32_e64 s[2:3], 7, v0
	ds_write_b64 v81, v[38:39]
	s_waitcnt lgkmcnt(0)
	; wave barrier
	s_waitcnt lgkmcnt(0)
	s_and_saveexec_b64 s[24:25], s[2:3]
	s_cbranch_execz .LBB10_33
; %bb.18:
	s_andn2_b64 vcc, exec, s[22:23]
	s_cbranch_vccnz .LBB10_20
; %bb.19:
	v_cmp_eq_u32_e32 vcc, 1, v0
	v_cndmask_b32_e32 v78, v25, v27, vcc
	v_cmp_eq_u32_e64 s[4:5], 2, v0
	v_cndmask_b32_e64 v78, v78, v29, s[4:5]
	v_cmp_eq_u32_e64 s[6:7], 3, v0
	v_cndmask_b32_e64 v78, v78, v31, s[6:7]
	;; [unrolled: 2-line block ×9, first 2 shown]
	v_cndmask_b32_e32 v78, v24, v26, vcc
	v_cndmask_b32_e64 v78, v78, v28, s[4:5]
	v_cndmask_b32_e64 v78, v78, v30, s[6:7]
	;; [unrolled: 1-line block ×5, first 2 shown]
	ds_read_b64 v[82:83], v81
	v_cndmask_b32_e64 v78, v78, v38, s[14:15]
	v_cndmask_b32_e64 v78, v78, v40, s[16:17]
	;; [unrolled: 1-line block ×4, first 2 shown]
	s_waitcnt lgkmcnt(0)
	v_mul_f64 v[78:79], v[78:79], v[82:83]
	s_cbranch_execz .LBB10_21
	s_branch .LBB10_22
.LBB10_20:
                                        ; implicit-def: $vgpr78_vgpr79
.LBB10_21:
	ds_read_b64 v[78:79], v81
.LBB10_22:
	s_and_saveexec_b64 s[6:7], s[0:1]
	s_cbranch_execz .LBB10_32
; %bb.23:
	v_add_u32_e32 v80, -9, v0
	v_cmp_lt_u32_e32 vcc, 6, v80
	v_mov_b32_e32 v82, 8
	s_and_saveexec_b64 s[0:1], vcc
	s_cbranch_execz .LBB10_27
; %bb.24:
	v_and_b32_e32 v80, 8, v0
	v_sub_u32_e32 v80, 0, v80
	s_mov_b64 s[4:5], 15
	s_movk_i32 s10, 0xa0
	s_mov_b64 s[8:9], 0
.LBB10_25:                              ; =>This Inner Loop Header: Depth=1
	s_lshl_b32 s11, s4, 1
	s_add_i32 s12, s11, -13
	s_add_i32 s13, s11, -14
	s_set_gpr_idx_on s12, gpr_idx(SRC0)
	v_mov_b32_e32 v101, v24
	s_set_gpr_idx_off
	v_mov_b32_e32 v82, s10
	s_add_i32 s14, s11, -11
	s_set_gpr_idx_on s13, gpr_idx(SRC0)
	v_mov_b32_e32 v100, v24
	s_set_gpr_idx_off
	s_add_i32 s15, s11, -12
	ds_read_b128 v[84:87], v82
	ds_read_b128 v[88:91], v82 offset:16
	ds_read_b128 v[92:95], v82 offset:32
	ds_read_b128 v[96:99], v82 offset:48
	s_set_gpr_idx_on s14, gpr_idx(SRC0)
	v_mov_b32_e32 v103, v24
	s_set_gpr_idx_off
	s_add_i32 s16, s11, -9
	s_set_gpr_idx_on s15, gpr_idx(SRC0)
	v_mov_b32_e32 v102, v24
	s_set_gpr_idx_off
	s_add_i32 s17, s11, -10
	;; [unrolled: 4-line block ×4, first 2 shown]
	s_waitcnt lgkmcnt(3)
	v_fmac_f64_e32 v[78:79], v[100:101], v[84:85]
	s_set_gpr_idx_on s18, gpr_idx(SRC0)
	v_mov_b32_e32 v85, v24
	s_set_gpr_idx_off
	s_add_i32 s20, s11, -5
	v_fmac_f64_e32 v[78:79], v[102:103], v[86:87]
	s_set_gpr_idx_on s19, gpr_idx(SRC0)
	v_mov_b32_e32 v84, v24
	s_set_gpr_idx_off
	s_add_i32 s21, s11, -6
	s_waitcnt lgkmcnt(2)
	v_fmac_f64_e32 v[78:79], v[104:105], v[88:89]
	s_set_gpr_idx_on s20, gpr_idx(SRC0)
	v_mov_b32_e32 v87, v24
	s_set_gpr_idx_off
	s_add_i32 s26, s11, -3
	v_fmac_f64_e32 v[78:79], v[84:85], v[90:91]
	s_set_gpr_idx_on s21, gpr_idx(SRC0)
	v_mov_b32_e32 v86, v24
	s_set_gpr_idx_off
	s_add_i32 s27, s11, -4
	s_waitcnt lgkmcnt(1)
	v_fmac_f64_e32 v[78:79], v[86:87], v[92:93]
	s_set_gpr_idx_on s26, gpr_idx(SRC0)
	v_mov_b32_e32 v85, v24
	s_set_gpr_idx_off
	s_add_i32 s28, s11, -1
	s_set_gpr_idx_on s27, gpr_idx(SRC0)
	v_mov_b32_e32 v84, v24
	s_set_gpr_idx_off
	s_add_i32 s29, s11, -2
	v_fmac_f64_e32 v[78:79], v[84:85], v[94:95]
	s_set_gpr_idx_on s28, gpr_idx(SRC0)
	v_mov_b32_e32 v85, v24
	s_set_gpr_idx_off
	s_add_u32 s4, s4, 8
	s_set_gpr_idx_on s29, gpr_idx(SRC0)
	v_mov_b32_e32 v84, v24
	s_set_gpr_idx_off
	v_add_u32_e32 v82, s4, v80
	s_waitcnt lgkmcnt(0)
	v_fmac_f64_e32 v[78:79], v[84:85], v[96:97]
	s_set_gpr_idx_on s11, gpr_idx(SRC0)
	v_mov_b32_e32 v85, v25
	s_set_gpr_idx_off
	s_addc_u32 s5, s5, 0
	s_add_i32 s10, s10, 64
	s_add_i32 s12, s4, -7
	v_cmp_eq_u32_e32 vcc, 7, v82
	s_set_gpr_idx_on s11, gpr_idx(SRC0)
	v_mov_b32_e32 v84, v24
	s_set_gpr_idx_off
	v_mov_b32_e32 v82, s12
	s_or_b64 s[8:9], vcc, s[8:9]
	v_fmac_f64_e32 v[78:79], v[84:85], v[98:99]
	s_andn2_b64 exec, exec, s[8:9]
	s_cbranch_execnz .LBB10_25
; %bb.26:
	s_or_b64 exec, exec, s[8:9]
.LBB10_27:
	s_or_b64 exec, exec, s[0:1]
	v_and_b32_e32 v46, 7, v0
	v_cmp_ne_u32_e32 vcc, 0, v46
	s_and_saveexec_b64 s[8:9], vcc
	s_cbranch_execz .LBB10_31
; %bb.28:
	v_mov_b32_e32 v47, 0x60
	v_lshl_add_u32 v48, v82, 3, v47
	v_mov_b32_e32 v47, 0
	s_mov_b64 s[10:11], 0
.LBB10_29:                              ; =>This Inner Loop Header: Depth=1
	v_cmp_eq_u32_e32 vcc, 1, v82
	v_cndmask_b32_e32 v49, v25, v27, vcc
	v_add_u32_e32 v46, -1, v46
	v_cmp_eq_u32_e64 s[0:1], 2, v82
	v_cndmask_b32_e64 v49, v49, v29, s[0:1]
	v_cndmask_b32_e32 v52, v24, v26, vcc
	v_cmp_eq_u32_e32 vcc, 0, v46
	v_cmp_eq_u32_e64 s[4:5], 3, v82
	v_cndmask_b32_e64 v49, v49, v31, s[4:5]
	v_cndmask_b32_e64 v52, v52, v28, s[0:1]
	s_or_b64 s[10:11], vcc, s[10:11]
	v_cmp_eq_u32_e32 vcc, 4, v82
	v_cndmask_b32_e32 v49, v49, v33, vcc
	v_cndmask_b32_e64 v52, v52, v30, s[4:5]
	v_cmp_eq_u32_e64 s[0:1], 5, v82
	v_cndmask_b32_e64 v49, v49, v35, s[0:1]
	v_cndmask_b32_e32 v52, v52, v32, vcc
	v_cmp_eq_u32_e32 vcc, 6, v82
	v_cndmask_b32_e32 v49, v49, v37, vcc
	v_cndmask_b32_e64 v52, v52, v34, s[0:1]
	v_cmp_eq_u32_e64 s[0:1], 7, v82
	ds_read_b64 v[50:51], v48
	v_cndmask_b32_e64 v49, v49, v39, s[0:1]
	v_cndmask_b32_e32 v52, v52, v36, vcc
	v_cmp_eq_u32_e32 vcc, 8, v82
	v_cndmask_b32_e32 v49, v49, v41, vcc
	v_cndmask_b32_e64 v52, v52, v38, s[0:1]
	v_cmp_eq_u32_e64 s[0:1], 9, v82
	v_cndmask_b32_e64 v49, v49, v43, s[0:1]
	v_cmp_eq_u32_e64 s[4:5], 10, v82
	v_cndmask_b32_e32 v52, v52, v40, vcc
	v_cndmask_b32_e64 v53, v49, v45, s[4:5]
	v_cndmask_b32_e64 v49, v52, v42, s[0:1]
	v_add_co_u32_e32 v82, vcc, 1, v82
	v_cndmask_b32_e64 v52, v49, v44, s[4:5]
	v_add_u32_e32 v48, 8, v48
	v_addc_co_u32_e32 v47, vcc, 0, v47, vcc
	s_waitcnt lgkmcnt(0)
	v_fmac_f64_e32 v[78:79], v[52:53], v[50:51]
	s_andn2_b64 exec, exec, s[10:11]
	s_cbranch_execnz .LBB10_29
; %bb.30:
	s_or_b64 exec, exec, s[10:11]
.LBB10_31:
	s_or_b64 exec, exec, s[8:9]
.LBB10_32:
	s_or_b64 exec, exec, s[6:7]
	v_mov_b32_e32 v38, 0
	ds_read_b64 v[38:39], v38 offset:56
	s_waitcnt lgkmcnt(0)
	v_mul_f64 v[38:39], v[78:79], v[38:39]
.LBB10_33:
	s_or_b64 exec, exec, s[24:25]
	v_cmp_lt_u32_e64 s[0:1], 6, v0
	ds_write_b64 v81, v[36:37]
	s_waitcnt lgkmcnt(0)
	; wave barrier
	s_waitcnt lgkmcnt(0)
	s_and_saveexec_b64 s[24:25], s[0:1]
	s_cbranch_execz .LBB10_49
; %bb.34:
	s_andn2_b64 vcc, exec, s[22:23]
	s_cbranch_vccnz .LBB10_36
; %bb.35:
	v_cmp_eq_u32_e32 vcc, 1, v0
	v_cndmask_b32_e32 v78, v25, v27, vcc
	v_cmp_eq_u32_e64 s[4:5], 2, v0
	v_cndmask_b32_e64 v78, v78, v29, s[4:5]
	v_cmp_eq_u32_e64 s[6:7], 3, v0
	v_cndmask_b32_e64 v78, v78, v31, s[6:7]
	;; [unrolled: 2-line block ×9, first 2 shown]
	v_cndmask_b32_e32 v78, v24, v26, vcc
	v_cndmask_b32_e64 v78, v78, v28, s[4:5]
	v_cndmask_b32_e64 v78, v78, v30, s[6:7]
	;; [unrolled: 1-line block ×5, first 2 shown]
	ds_read_b64 v[82:83], v81
	v_cndmask_b32_e64 v78, v78, v38, s[14:15]
	v_cndmask_b32_e64 v78, v78, v40, s[16:17]
	;; [unrolled: 1-line block ×4, first 2 shown]
	s_waitcnt lgkmcnt(0)
	v_mul_f64 v[78:79], v[78:79], v[82:83]
	s_cbranch_execz .LBB10_37
	s_branch .LBB10_38
.LBB10_36:
                                        ; implicit-def: $vgpr78_vgpr79
.LBB10_37:
	ds_read_b64 v[78:79], v81
.LBB10_38:
	s_and_saveexec_b64 s[6:7], s[2:3]
	s_cbranch_execz .LBB10_48
; %bb.39:
	v_add_u32_e32 v80, -8, v0
	v_add_u32_e32 v83, -7, v0
	v_cmp_lt_u32_e32 vcc, 6, v80
	v_mov_b32_e32 v80, 7
	s_and_saveexec_b64 s[2:3], vcc
	s_cbranch_execz .LBB10_43
; %bb.40:
	v_and_b32_e32 v80, -8, v83
	v_sub_u32_e32 v82, 0, v80
	s_mov_b64 s[4:5], 14
	s_movk_i32 s10, 0x98
	s_mov_b64 s[8:9], 0
.LBB10_41:                              ; =>This Inner Loop Header: Depth=1
	s_lshl_b32 s11, s4, 1
	s_add_i32 s12, s11, -13
	v_mov_b32_e32 v98, s10
	s_add_i32 s13, s11, -14
	s_set_gpr_idx_on s12, gpr_idx(SRC0)
	v_mov_b32_e32 v93, v24
	s_set_gpr_idx_off
	s_add_i32 s14, s11, -11
	s_set_gpr_idx_on s13, gpr_idx(SRC0)
	v_mov_b32_e32 v92, v24
	s_set_gpr_idx_off
	ds_read2_b64 v[84:87], v98 offset1:1
	s_add_i32 s15, s11, -12
	s_set_gpr_idx_on s14, gpr_idx(SRC0)
	v_mov_b32_e32 v95, v24
	s_set_gpr_idx_off
	s_add_i32 s16, s11, -9
	s_set_gpr_idx_on s15, gpr_idx(SRC0)
	v_mov_b32_e32 v94, v24
	s_set_gpr_idx_off
	;; [unrolled: 4-line block ×4, first 2 shown]
	ds_read2_b64 v[88:91], v98 offset0:2 offset1:3
	s_add_i32 s19, s11, -8
	s_waitcnt lgkmcnt(1)
	v_fmac_f64_e32 v[78:79], v[92:93], v[84:85]
	s_set_gpr_idx_on s18, gpr_idx(SRC0)
	v_mov_b32_e32 v93, v24
	s_set_gpr_idx_off
	s_add_i32 s20, s11, -5
	v_fmac_f64_e32 v[78:79], v[94:95], v[86:87]
	s_set_gpr_idx_on s19, gpr_idx(SRC0)
	v_mov_b32_e32 v92, v24
	s_set_gpr_idx_off
	s_add_i32 s21, s11, -6
	s_set_gpr_idx_on s20, gpr_idx(SRC0)
	v_mov_b32_e32 v95, v24
	s_set_gpr_idx_off
	s_add_i32 s26, s11, -3
	;; [unrolled: 4-line block ×3, first 2 shown]
	ds_read2_b64 v[84:87], v98 offset0:4 offset1:5
	s_waitcnt lgkmcnt(1)
	v_fmac_f64_e32 v[78:79], v[96:97], v[88:89]
	s_set_gpr_idx_on s26, gpr_idx(SRC0)
	v_mov_b32_e32 v97, v24
	s_set_gpr_idx_off
	s_add_i32 s28, s11, -1
	v_fmac_f64_e32 v[78:79], v[92:93], v[90:91]
	s_set_gpr_idx_on s27, gpr_idx(SRC0)
	v_mov_b32_e32 v96, v24
	s_set_gpr_idx_off
	s_add_i32 s29, s11, -2
	s_set_gpr_idx_on s28, gpr_idx(SRC0)
	v_mov_b32_e32 v93, v24
	s_set_gpr_idx_off
	s_set_gpr_idx_on s29, gpr_idx(SRC0)
	v_mov_b32_e32 v92, v24
	s_set_gpr_idx_off
	ds_read2_b64 v[88:91], v98 offset0:6 offset1:7
	s_add_u32 s4, s4, 8
	s_waitcnt lgkmcnt(1)
	v_fmac_f64_e32 v[78:79], v[94:95], v[84:85]
	s_set_gpr_idx_on s11, gpr_idx(SRC0)
	v_mov_b32_e32 v85, v25
	s_set_gpr_idx_off
	v_add_u32_e32 v80, s4, v82
	v_fmac_f64_e32 v[78:79], v[96:97], v[86:87]
	s_set_gpr_idx_on s11, gpr_idx(SRC0)
	v_mov_b32_e32 v84, v24
	s_set_gpr_idx_off
	s_addc_u32 s5, s5, 0
	s_add_i32 s10, s10, 64
	s_add_i32 s12, s4, -7
	v_cmp_eq_u32_e32 vcc, 14, v80
	s_waitcnt lgkmcnt(0)
	v_fmac_f64_e32 v[78:79], v[92:93], v[88:89]
	v_mov_b32_e32 v80, s12
	s_or_b64 s[8:9], vcc, s[8:9]
	v_fmac_f64_e32 v[78:79], v[84:85], v[90:91]
	s_andn2_b64 exec, exec, s[8:9]
	s_cbranch_execnz .LBB10_41
; %bb.42:
	s_or_b64 exec, exec, s[8:9]
.LBB10_43:
	s_or_b64 exec, exec, s[2:3]
	v_and_b32_e32 v46, 7, v83
	v_cmp_ne_u32_e32 vcc, 0, v46
	s_and_saveexec_b64 s[8:9], vcc
	s_cbranch_execz .LBB10_47
; %bb.44:
	v_mov_b32_e32 v47, 0x60
	v_lshl_add_u32 v48, v80, 3, v47
	v_mov_b32_e32 v47, 0
	s_mov_b64 s[10:11], 0
.LBB10_45:                              ; =>This Inner Loop Header: Depth=1
	v_cmp_eq_u32_e32 vcc, 1, v80
	v_cndmask_b32_e32 v49, v25, v27, vcc
	v_add_u32_e32 v46, -1, v46
	v_cmp_eq_u32_e64 s[2:3], 2, v80
	v_cndmask_b32_e64 v49, v49, v29, s[2:3]
	v_cndmask_b32_e32 v52, v24, v26, vcc
	v_cmp_eq_u32_e32 vcc, 0, v46
	v_cmp_eq_u32_e64 s[4:5], 3, v80
	v_cndmask_b32_e64 v49, v49, v31, s[4:5]
	v_cndmask_b32_e64 v52, v52, v28, s[2:3]
	s_or_b64 s[10:11], vcc, s[10:11]
	v_cmp_eq_u32_e32 vcc, 4, v80
	v_cndmask_b32_e32 v49, v49, v33, vcc
	v_cndmask_b32_e64 v52, v52, v30, s[4:5]
	v_cmp_eq_u32_e64 s[2:3], 5, v80
	v_cndmask_b32_e64 v49, v49, v35, s[2:3]
	v_cndmask_b32_e32 v52, v52, v32, vcc
	v_cmp_eq_u32_e32 vcc, 6, v80
	v_cndmask_b32_e32 v49, v49, v37, vcc
	v_cndmask_b32_e64 v52, v52, v34, s[2:3]
	v_cmp_eq_u32_e64 s[2:3], 7, v80
	ds_read_b64 v[50:51], v48
	v_cndmask_b32_e64 v49, v49, v39, s[2:3]
	v_cndmask_b32_e32 v52, v52, v36, vcc
	v_cmp_eq_u32_e32 vcc, 8, v80
	v_cndmask_b32_e32 v49, v49, v41, vcc
	v_cndmask_b32_e64 v52, v52, v38, s[2:3]
	v_cmp_eq_u32_e64 s[2:3], 9, v80
	v_cndmask_b32_e64 v49, v49, v43, s[2:3]
	v_cmp_eq_u32_e64 s[4:5], 10, v80
	v_cndmask_b32_e32 v52, v52, v40, vcc
	v_cndmask_b32_e64 v53, v49, v45, s[4:5]
	v_cndmask_b32_e64 v49, v52, v42, s[2:3]
	v_add_co_u32_e32 v80, vcc, 1, v80
	v_cndmask_b32_e64 v52, v49, v44, s[4:5]
	v_add_u32_e32 v48, 8, v48
	v_addc_co_u32_e32 v47, vcc, 0, v47, vcc
	s_waitcnt lgkmcnt(0)
	v_fmac_f64_e32 v[78:79], v[52:53], v[50:51]
	s_andn2_b64 exec, exec, s[10:11]
	s_cbranch_execnz .LBB10_45
; %bb.46:
	s_or_b64 exec, exec, s[10:11]
.LBB10_47:
	s_or_b64 exec, exec, s[8:9]
.LBB10_48:
	s_or_b64 exec, exec, s[6:7]
	v_mov_b32_e32 v36, 0
	ds_read_b64 v[36:37], v36 offset:48
	s_waitcnt lgkmcnt(0)
	v_mul_f64 v[36:37], v[78:79], v[36:37]
.LBB10_49:
	s_or_b64 exec, exec, s[24:25]
	v_cmp_lt_u32_e64 s[2:3], 5, v0
	ds_write_b64 v81, v[34:35]
	s_waitcnt lgkmcnt(0)
	; wave barrier
	s_waitcnt lgkmcnt(0)
	s_and_saveexec_b64 s[24:25], s[2:3]
	s_cbranch_execz .LBB10_65
; %bb.50:
	s_andn2_b64 vcc, exec, s[22:23]
	s_cbranch_vccnz .LBB10_52
; %bb.51:
	v_cmp_eq_u32_e32 vcc, 1, v0
	v_cndmask_b32_e32 v78, v25, v27, vcc
	v_cmp_eq_u32_e64 s[4:5], 2, v0
	v_cndmask_b32_e64 v78, v78, v29, s[4:5]
	v_cmp_eq_u32_e64 s[6:7], 3, v0
	v_cndmask_b32_e64 v78, v78, v31, s[6:7]
	;; [unrolled: 2-line block ×9, first 2 shown]
	v_cndmask_b32_e32 v78, v24, v26, vcc
	v_cndmask_b32_e64 v78, v78, v28, s[4:5]
	v_cndmask_b32_e64 v78, v78, v30, s[6:7]
	;; [unrolled: 1-line block ×5, first 2 shown]
	ds_read_b64 v[82:83], v81
	v_cndmask_b32_e64 v78, v78, v38, s[14:15]
	v_cndmask_b32_e64 v78, v78, v40, s[16:17]
	;; [unrolled: 1-line block ×4, first 2 shown]
	s_waitcnt lgkmcnt(0)
	v_mul_f64 v[78:79], v[78:79], v[82:83]
	s_cbranch_execz .LBB10_53
	s_branch .LBB10_54
.LBB10_52:
                                        ; implicit-def: $vgpr78_vgpr79
.LBB10_53:
	ds_read_b64 v[78:79], v81
.LBB10_54:
	s_and_saveexec_b64 s[6:7], s[0:1]
	s_cbranch_execz .LBB10_64
; %bb.55:
	v_add_u32_e32 v80, -7, v0
	v_add_u32_e32 v83, -6, v0
	v_cmp_lt_u32_e32 vcc, 6, v80
	v_mov_b32_e32 v82, 6
	s_and_saveexec_b64 s[0:1], vcc
	s_cbranch_execz .LBB10_59
; %bb.56:
	v_and_b32_e32 v80, -8, v83
	v_sub_u32_e32 v80, 0, v80
	s_mov_b64 s[4:5], 13
	s_movk_i32 s10, 0x90
	s_mov_b64 s[8:9], 0
.LBB10_57:                              ; =>This Inner Loop Header: Depth=1
	s_lshl_b32 s11, s4, 1
	s_add_i32 s12, s11, -13
	s_add_i32 s13, s11, -14
	s_set_gpr_idx_on s12, gpr_idx(SRC0)
	v_mov_b32_e32 v101, v24
	s_set_gpr_idx_off
	v_mov_b32_e32 v82, s10
	s_add_i32 s14, s11, -11
	s_set_gpr_idx_on s13, gpr_idx(SRC0)
	v_mov_b32_e32 v100, v24
	s_set_gpr_idx_off
	s_add_i32 s15, s11, -12
	ds_read_b128 v[84:87], v82
	ds_read_b128 v[88:91], v82 offset:16
	ds_read_b128 v[92:95], v82 offset:32
	;; [unrolled: 1-line block ×3, first 2 shown]
	s_set_gpr_idx_on s14, gpr_idx(SRC0)
	v_mov_b32_e32 v103, v24
	s_set_gpr_idx_off
	s_add_i32 s16, s11, -9
	s_set_gpr_idx_on s15, gpr_idx(SRC0)
	v_mov_b32_e32 v102, v24
	s_set_gpr_idx_off
	s_add_i32 s17, s11, -10
	;; [unrolled: 4-line block ×4, first 2 shown]
	s_waitcnt lgkmcnt(3)
	v_fmac_f64_e32 v[78:79], v[100:101], v[84:85]
	s_set_gpr_idx_on s18, gpr_idx(SRC0)
	v_mov_b32_e32 v85, v24
	s_set_gpr_idx_off
	s_add_i32 s20, s11, -5
	v_fmac_f64_e32 v[78:79], v[102:103], v[86:87]
	s_set_gpr_idx_on s19, gpr_idx(SRC0)
	v_mov_b32_e32 v84, v24
	s_set_gpr_idx_off
	s_add_i32 s21, s11, -6
	s_waitcnt lgkmcnt(2)
	v_fmac_f64_e32 v[78:79], v[104:105], v[88:89]
	s_set_gpr_idx_on s20, gpr_idx(SRC0)
	v_mov_b32_e32 v87, v24
	s_set_gpr_idx_off
	s_add_i32 s26, s11, -3
	v_fmac_f64_e32 v[78:79], v[84:85], v[90:91]
	s_set_gpr_idx_on s21, gpr_idx(SRC0)
	v_mov_b32_e32 v86, v24
	s_set_gpr_idx_off
	s_add_i32 s27, s11, -4
	s_waitcnt lgkmcnt(1)
	v_fmac_f64_e32 v[78:79], v[86:87], v[92:93]
	s_set_gpr_idx_on s26, gpr_idx(SRC0)
	v_mov_b32_e32 v85, v24
	s_set_gpr_idx_off
	s_add_i32 s28, s11, -1
	s_set_gpr_idx_on s27, gpr_idx(SRC0)
	v_mov_b32_e32 v84, v24
	s_set_gpr_idx_off
	s_add_i32 s29, s11, -2
	v_fmac_f64_e32 v[78:79], v[84:85], v[94:95]
	s_set_gpr_idx_on s28, gpr_idx(SRC0)
	v_mov_b32_e32 v85, v24
	s_set_gpr_idx_off
	s_add_u32 s4, s4, 8
	s_set_gpr_idx_on s29, gpr_idx(SRC0)
	v_mov_b32_e32 v84, v24
	s_set_gpr_idx_off
	v_add_u32_e32 v82, s4, v80
	s_waitcnt lgkmcnt(0)
	v_fmac_f64_e32 v[78:79], v[84:85], v[96:97]
	s_set_gpr_idx_on s11, gpr_idx(SRC0)
	v_mov_b32_e32 v85, v25
	s_set_gpr_idx_off
	s_addc_u32 s5, s5, 0
	s_add_i32 s10, s10, 64
	s_add_i32 s12, s4, -7
	v_cmp_eq_u32_e32 vcc, 13, v82
	s_set_gpr_idx_on s11, gpr_idx(SRC0)
	v_mov_b32_e32 v84, v24
	s_set_gpr_idx_off
	v_mov_b32_e32 v82, s12
	s_or_b64 s[8:9], vcc, s[8:9]
	v_fmac_f64_e32 v[78:79], v[84:85], v[98:99]
	s_andn2_b64 exec, exec, s[8:9]
	s_cbranch_execnz .LBB10_57
; %bb.58:
	s_or_b64 exec, exec, s[8:9]
.LBB10_59:
	s_or_b64 exec, exec, s[0:1]
	v_and_b32_e32 v46, 7, v83
	v_cmp_ne_u32_e32 vcc, 0, v46
	s_and_saveexec_b64 s[8:9], vcc
	s_cbranch_execz .LBB10_63
; %bb.60:
	v_mov_b32_e32 v47, 0x60
	v_lshl_add_u32 v48, v82, 3, v47
	v_mov_b32_e32 v47, 0
	s_mov_b64 s[10:11], 0
.LBB10_61:                              ; =>This Inner Loop Header: Depth=1
	v_cmp_eq_u32_e32 vcc, 1, v82
	v_cndmask_b32_e32 v49, v25, v27, vcc
	v_add_u32_e32 v46, -1, v46
	v_cmp_eq_u32_e64 s[0:1], 2, v82
	v_cndmask_b32_e64 v49, v49, v29, s[0:1]
	v_cndmask_b32_e32 v52, v24, v26, vcc
	v_cmp_eq_u32_e32 vcc, 0, v46
	v_cmp_eq_u32_e64 s[4:5], 3, v82
	v_cndmask_b32_e64 v49, v49, v31, s[4:5]
	v_cndmask_b32_e64 v52, v52, v28, s[0:1]
	s_or_b64 s[10:11], vcc, s[10:11]
	v_cmp_eq_u32_e32 vcc, 4, v82
	v_cndmask_b32_e32 v49, v49, v33, vcc
	v_cndmask_b32_e64 v52, v52, v30, s[4:5]
	v_cmp_eq_u32_e64 s[0:1], 5, v82
	v_cndmask_b32_e64 v49, v49, v35, s[0:1]
	v_cndmask_b32_e32 v52, v52, v32, vcc
	v_cmp_eq_u32_e32 vcc, 6, v82
	v_cndmask_b32_e32 v49, v49, v37, vcc
	v_cndmask_b32_e64 v52, v52, v34, s[0:1]
	v_cmp_eq_u32_e64 s[0:1], 7, v82
	ds_read_b64 v[50:51], v48
	v_cndmask_b32_e64 v49, v49, v39, s[0:1]
	v_cndmask_b32_e32 v52, v52, v36, vcc
	v_cmp_eq_u32_e32 vcc, 8, v82
	v_cndmask_b32_e32 v49, v49, v41, vcc
	v_cndmask_b32_e64 v52, v52, v38, s[0:1]
	v_cmp_eq_u32_e64 s[0:1], 9, v82
	v_cndmask_b32_e64 v49, v49, v43, s[0:1]
	v_cmp_eq_u32_e64 s[4:5], 10, v82
	v_cndmask_b32_e32 v52, v52, v40, vcc
	v_cndmask_b32_e64 v53, v49, v45, s[4:5]
	v_cndmask_b32_e64 v49, v52, v42, s[0:1]
	v_add_co_u32_e32 v82, vcc, 1, v82
	v_cndmask_b32_e64 v52, v49, v44, s[4:5]
	v_add_u32_e32 v48, 8, v48
	v_addc_co_u32_e32 v47, vcc, 0, v47, vcc
	s_waitcnt lgkmcnt(0)
	v_fmac_f64_e32 v[78:79], v[52:53], v[50:51]
	s_andn2_b64 exec, exec, s[10:11]
	s_cbranch_execnz .LBB10_61
; %bb.62:
	s_or_b64 exec, exec, s[10:11]
.LBB10_63:
	s_or_b64 exec, exec, s[8:9]
.LBB10_64:
	s_or_b64 exec, exec, s[6:7]
	v_mov_b32_e32 v34, 0
	ds_read_b64 v[34:35], v34 offset:40
	s_waitcnt lgkmcnt(0)
	v_mul_f64 v[34:35], v[78:79], v[34:35]
.LBB10_65:
	s_or_b64 exec, exec, s[24:25]
	v_cmp_lt_u32_e64 s[0:1], 4, v0
	ds_write_b64 v81, v[32:33]
	s_waitcnt lgkmcnt(0)
	; wave barrier
	s_waitcnt lgkmcnt(0)
	s_and_saveexec_b64 s[24:25], s[0:1]
	s_cbranch_execz .LBB10_81
; %bb.66:
	s_andn2_b64 vcc, exec, s[22:23]
	s_cbranch_vccnz .LBB10_68
; %bb.67:
	v_cmp_eq_u32_e32 vcc, 1, v0
	v_cndmask_b32_e32 v78, v25, v27, vcc
	v_cmp_eq_u32_e64 s[4:5], 2, v0
	v_cndmask_b32_e64 v78, v78, v29, s[4:5]
	v_cmp_eq_u32_e64 s[6:7], 3, v0
	v_cndmask_b32_e64 v78, v78, v31, s[6:7]
	;; [unrolled: 2-line block ×9, first 2 shown]
	v_cndmask_b32_e32 v78, v24, v26, vcc
	v_cndmask_b32_e64 v78, v78, v28, s[4:5]
	v_cndmask_b32_e64 v78, v78, v30, s[6:7]
	v_cndmask_b32_e64 v78, v78, v32, s[8:9]
	v_cndmask_b32_e64 v78, v78, v34, s[10:11]
	v_cndmask_b32_e64 v78, v78, v36, s[12:13]
	ds_read_b64 v[82:83], v81
	v_cndmask_b32_e64 v78, v78, v38, s[14:15]
	v_cndmask_b32_e64 v78, v78, v40, s[16:17]
	;; [unrolled: 1-line block ×4, first 2 shown]
	s_waitcnt lgkmcnt(0)
	v_mul_f64 v[78:79], v[78:79], v[82:83]
	s_cbranch_execz .LBB10_69
	s_branch .LBB10_70
.LBB10_68:
                                        ; implicit-def: $vgpr78_vgpr79
.LBB10_69:
	ds_read_b64 v[78:79], v81
.LBB10_70:
	s_and_saveexec_b64 s[6:7], s[2:3]
	s_cbranch_execz .LBB10_80
; %bb.71:
	v_add_u32_e32 v80, -6, v0
	v_add_u32_e32 v83, -5, v0
	v_cmp_lt_u32_e32 vcc, 6, v80
	v_mov_b32_e32 v80, 5
	s_and_saveexec_b64 s[2:3], vcc
	s_cbranch_execz .LBB10_75
; %bb.72:
	v_and_b32_e32 v80, -8, v83
	v_sub_u32_e32 v82, 0, v80
	s_mov_b64 s[4:5], 12
	s_movk_i32 s10, 0x88
	s_mov_b64 s[8:9], 0
.LBB10_73:                              ; =>This Inner Loop Header: Depth=1
	s_lshl_b32 s11, s4, 1
	s_add_i32 s12, s11, -13
	v_mov_b32_e32 v98, s10
	s_add_i32 s13, s11, -14
	s_set_gpr_idx_on s12, gpr_idx(SRC0)
	v_mov_b32_e32 v93, v24
	s_set_gpr_idx_off
	s_add_i32 s14, s11, -11
	s_set_gpr_idx_on s13, gpr_idx(SRC0)
	v_mov_b32_e32 v92, v24
	s_set_gpr_idx_off
	ds_read2_b64 v[84:87], v98 offset1:1
	s_add_i32 s15, s11, -12
	s_set_gpr_idx_on s14, gpr_idx(SRC0)
	v_mov_b32_e32 v95, v24
	s_set_gpr_idx_off
	s_add_i32 s16, s11, -9
	s_set_gpr_idx_on s15, gpr_idx(SRC0)
	v_mov_b32_e32 v94, v24
	s_set_gpr_idx_off
	;; [unrolled: 4-line block ×4, first 2 shown]
	ds_read2_b64 v[88:91], v98 offset0:2 offset1:3
	s_add_i32 s19, s11, -8
	s_waitcnt lgkmcnt(1)
	v_fmac_f64_e32 v[78:79], v[92:93], v[84:85]
	s_set_gpr_idx_on s18, gpr_idx(SRC0)
	v_mov_b32_e32 v93, v24
	s_set_gpr_idx_off
	s_add_i32 s20, s11, -5
	v_fmac_f64_e32 v[78:79], v[94:95], v[86:87]
	s_set_gpr_idx_on s19, gpr_idx(SRC0)
	v_mov_b32_e32 v92, v24
	s_set_gpr_idx_off
	s_add_i32 s21, s11, -6
	s_set_gpr_idx_on s20, gpr_idx(SRC0)
	v_mov_b32_e32 v95, v24
	s_set_gpr_idx_off
	s_add_i32 s26, s11, -3
	s_set_gpr_idx_on s21, gpr_idx(SRC0)
	v_mov_b32_e32 v94, v24
	s_set_gpr_idx_off
	s_add_i32 s27, s11, -4
	ds_read2_b64 v[84:87], v98 offset0:4 offset1:5
	s_waitcnt lgkmcnt(1)
	v_fmac_f64_e32 v[78:79], v[96:97], v[88:89]
	s_set_gpr_idx_on s26, gpr_idx(SRC0)
	v_mov_b32_e32 v97, v24
	s_set_gpr_idx_off
	s_add_i32 s28, s11, -1
	v_fmac_f64_e32 v[78:79], v[92:93], v[90:91]
	s_set_gpr_idx_on s27, gpr_idx(SRC0)
	v_mov_b32_e32 v96, v24
	s_set_gpr_idx_off
	s_add_i32 s29, s11, -2
	s_set_gpr_idx_on s28, gpr_idx(SRC0)
	v_mov_b32_e32 v93, v24
	s_set_gpr_idx_off
	s_set_gpr_idx_on s29, gpr_idx(SRC0)
	v_mov_b32_e32 v92, v24
	s_set_gpr_idx_off
	ds_read2_b64 v[88:91], v98 offset0:6 offset1:7
	s_add_u32 s4, s4, 8
	s_waitcnt lgkmcnt(1)
	v_fmac_f64_e32 v[78:79], v[94:95], v[84:85]
	s_set_gpr_idx_on s11, gpr_idx(SRC0)
	v_mov_b32_e32 v85, v25
	s_set_gpr_idx_off
	v_add_u32_e32 v80, s4, v82
	v_fmac_f64_e32 v[78:79], v[96:97], v[86:87]
	s_set_gpr_idx_on s11, gpr_idx(SRC0)
	v_mov_b32_e32 v84, v24
	s_set_gpr_idx_off
	s_addc_u32 s5, s5, 0
	s_add_i32 s10, s10, 64
	s_add_i32 s12, s4, -7
	v_cmp_eq_u32_e32 vcc, 12, v80
	s_waitcnt lgkmcnt(0)
	v_fmac_f64_e32 v[78:79], v[92:93], v[88:89]
	v_mov_b32_e32 v80, s12
	s_or_b64 s[8:9], vcc, s[8:9]
	v_fmac_f64_e32 v[78:79], v[84:85], v[90:91]
	s_andn2_b64 exec, exec, s[8:9]
	s_cbranch_execnz .LBB10_73
; %bb.74:
	s_or_b64 exec, exec, s[8:9]
.LBB10_75:
	s_or_b64 exec, exec, s[2:3]
	v_and_b32_e32 v46, 7, v83
	v_cmp_ne_u32_e32 vcc, 0, v46
	s_and_saveexec_b64 s[8:9], vcc
	s_cbranch_execz .LBB10_79
; %bb.76:
	v_mov_b32_e32 v47, 0x60
	v_lshl_add_u32 v48, v80, 3, v47
	v_mov_b32_e32 v47, 0
	s_mov_b64 s[10:11], 0
.LBB10_77:                              ; =>This Inner Loop Header: Depth=1
	v_cmp_eq_u32_e32 vcc, 1, v80
	v_cndmask_b32_e32 v49, v25, v27, vcc
	v_add_u32_e32 v46, -1, v46
	v_cmp_eq_u32_e64 s[2:3], 2, v80
	v_cndmask_b32_e64 v49, v49, v29, s[2:3]
	v_cndmask_b32_e32 v52, v24, v26, vcc
	v_cmp_eq_u32_e32 vcc, 0, v46
	v_cmp_eq_u32_e64 s[4:5], 3, v80
	v_cndmask_b32_e64 v49, v49, v31, s[4:5]
	v_cndmask_b32_e64 v52, v52, v28, s[2:3]
	s_or_b64 s[10:11], vcc, s[10:11]
	v_cmp_eq_u32_e32 vcc, 4, v80
	v_cndmask_b32_e32 v49, v49, v33, vcc
	v_cndmask_b32_e64 v52, v52, v30, s[4:5]
	v_cmp_eq_u32_e64 s[2:3], 5, v80
	v_cndmask_b32_e64 v49, v49, v35, s[2:3]
	v_cndmask_b32_e32 v52, v52, v32, vcc
	v_cmp_eq_u32_e32 vcc, 6, v80
	v_cndmask_b32_e32 v49, v49, v37, vcc
	v_cndmask_b32_e64 v52, v52, v34, s[2:3]
	v_cmp_eq_u32_e64 s[2:3], 7, v80
	ds_read_b64 v[50:51], v48
	v_cndmask_b32_e64 v49, v49, v39, s[2:3]
	v_cndmask_b32_e32 v52, v52, v36, vcc
	v_cmp_eq_u32_e32 vcc, 8, v80
	v_cndmask_b32_e32 v49, v49, v41, vcc
	v_cndmask_b32_e64 v52, v52, v38, s[2:3]
	v_cmp_eq_u32_e64 s[2:3], 9, v80
	v_cndmask_b32_e64 v49, v49, v43, s[2:3]
	v_cmp_eq_u32_e64 s[4:5], 10, v80
	v_cndmask_b32_e32 v52, v52, v40, vcc
	v_cndmask_b32_e64 v53, v49, v45, s[4:5]
	v_cndmask_b32_e64 v49, v52, v42, s[2:3]
	v_add_co_u32_e32 v80, vcc, 1, v80
	v_cndmask_b32_e64 v52, v49, v44, s[4:5]
	v_add_u32_e32 v48, 8, v48
	v_addc_co_u32_e32 v47, vcc, 0, v47, vcc
	s_waitcnt lgkmcnt(0)
	v_fmac_f64_e32 v[78:79], v[52:53], v[50:51]
	s_andn2_b64 exec, exec, s[10:11]
	s_cbranch_execnz .LBB10_77
; %bb.78:
	s_or_b64 exec, exec, s[10:11]
.LBB10_79:
	s_or_b64 exec, exec, s[8:9]
.LBB10_80:
	s_or_b64 exec, exec, s[6:7]
	v_mov_b32_e32 v32, 0
	ds_read_b64 v[32:33], v32 offset:32
	s_waitcnt lgkmcnt(0)
	v_mul_f64 v[32:33], v[78:79], v[32:33]
.LBB10_81:
	s_or_b64 exec, exec, s[24:25]
	v_cmp_lt_u32_e64 s[2:3], 3, v0
	ds_write_b64 v81, v[30:31]
	s_waitcnt lgkmcnt(0)
	; wave barrier
	s_waitcnt lgkmcnt(0)
	s_and_saveexec_b64 s[24:25], s[2:3]
	s_cbranch_execz .LBB10_97
; %bb.82:
	s_andn2_b64 vcc, exec, s[22:23]
	s_cbranch_vccnz .LBB10_84
; %bb.83:
	v_cmp_eq_u32_e32 vcc, 1, v0
	v_cndmask_b32_e32 v78, v25, v27, vcc
	v_cmp_eq_u32_e64 s[4:5], 2, v0
	v_cndmask_b32_e64 v78, v78, v29, s[4:5]
	v_cmp_eq_u32_e64 s[6:7], 3, v0
	v_cndmask_b32_e64 v78, v78, v31, s[6:7]
	;; [unrolled: 2-line block ×9, first 2 shown]
	v_cndmask_b32_e32 v78, v24, v26, vcc
	v_cndmask_b32_e64 v78, v78, v28, s[4:5]
	v_cndmask_b32_e64 v78, v78, v30, s[6:7]
	;; [unrolled: 1-line block ×5, first 2 shown]
	ds_read_b64 v[82:83], v81
	v_cndmask_b32_e64 v78, v78, v38, s[14:15]
	v_cndmask_b32_e64 v78, v78, v40, s[16:17]
	;; [unrolled: 1-line block ×4, first 2 shown]
	s_waitcnt lgkmcnt(0)
	v_mul_f64 v[78:79], v[78:79], v[82:83]
	s_cbranch_execz .LBB10_85
	s_branch .LBB10_86
.LBB10_84:
                                        ; implicit-def: $vgpr78_vgpr79
.LBB10_85:
	ds_read_b64 v[78:79], v81
.LBB10_86:
	s_and_saveexec_b64 s[6:7], s[0:1]
	s_cbranch_execz .LBB10_96
; %bb.87:
	v_add_u32_e32 v80, -5, v0
	v_add_u32_e32 v83, -4, v0
	v_cmp_lt_u32_e32 vcc, 6, v80
	v_mov_b32_e32 v82, 4
	s_and_saveexec_b64 s[0:1], vcc
	s_cbranch_execz .LBB10_91
; %bb.88:
	v_and_b32_e32 v80, -8, v83
	v_sub_u32_e32 v80, 0, v80
	s_mov_b64 s[4:5], 5
	s_movk_i32 s10, 0x80
	s_mov_b64 s[8:9], 0
.LBB10_89:                              ; =>This Inner Loop Header: Depth=1
	s_lshl_b32 s11, s4, 1
	s_add_i32 s12, s11, -1
	s_add_i32 s13, s11, -2
	s_set_gpr_idx_on s12, gpr_idx(SRC0)
	v_mov_b32_e32 v101, v24
	s_set_gpr_idx_off
	v_mov_b32_e32 v82, s10
	s_set_gpr_idx_on s13, gpr_idx(SRC0)
	v_mov_b32_e32 v100, v24
	s_set_gpr_idx_off
	ds_read_b128 v[84:87], v82
	ds_read_b128 v[88:91], v82 offset:16
	ds_read_b128 v[92:95], v82 offset:32
	;; [unrolled: 1-line block ×3, first 2 shown]
	s_set_gpr_idx_on s11, gpr_idx(SRC0)
	v_mov_b32_e32 v103, v25
	s_add_i32 s14, s11, 3
	v_mov_b32_e32 v102, v24
	s_set_gpr_idx_off
	s_add_i32 s15, s11, 2
	s_set_gpr_idx_on s14, gpr_idx(SRC0)
	v_mov_b32_e32 v105, v24
	s_set_gpr_idx_off
	s_add_i32 s16, s11, 5
	s_set_gpr_idx_on s15, gpr_idx(SRC0)
	v_mov_b32_e32 v104, v24
	s_set_gpr_idx_off
	s_add_i32 s17, s11, 4
	s_waitcnt lgkmcnt(3)
	v_fmac_f64_e32 v[78:79], v[100:101], v[84:85]
	s_set_gpr_idx_on s16, gpr_idx(SRC0)
	v_mov_b32_e32 v85, v24
	s_set_gpr_idx_off
	s_add_i32 s18, s11, 7
	v_fmac_f64_e32 v[78:79], v[102:103], v[86:87]
	s_set_gpr_idx_on s17, gpr_idx(SRC0)
	v_mov_b32_e32 v84, v24
	s_set_gpr_idx_off
	s_add_i32 s19, s11, 6
	s_waitcnt lgkmcnt(2)
	v_fmac_f64_e32 v[78:79], v[104:105], v[88:89]
	s_set_gpr_idx_on s18, gpr_idx(SRC0)
	v_mov_b32_e32 v87, v24
	s_set_gpr_idx_off
	s_add_i32 s20, s11, 9
	v_fmac_f64_e32 v[78:79], v[84:85], v[90:91]
	s_set_gpr_idx_on s19, gpr_idx(SRC0)
	v_mov_b32_e32 v86, v24
	s_set_gpr_idx_off
	s_add_i32 s21, s11, 8
	s_waitcnt lgkmcnt(1)
	v_fmac_f64_e32 v[78:79], v[86:87], v[92:93]
	s_set_gpr_idx_on s20, gpr_idx(SRC0)
	v_mov_b32_e32 v85, v24
	s_set_gpr_idx_off
	s_add_i32 s26, s11, 11
	s_set_gpr_idx_on s21, gpr_idx(SRC0)
	v_mov_b32_e32 v84, v24
	s_set_gpr_idx_off
	s_add_i32 s27, s11, 10
	s_add_i32 s28, s11, 13
	;; [unrolled: 1-line block ×3, first 2 shown]
	v_fmac_f64_e32 v[78:79], v[84:85], v[94:95]
	s_set_gpr_idx_on s26, gpr_idx(SRC0)
	v_mov_b32_e32 v85, v24
	s_set_gpr_idx_off
	s_add_u32 s4, s4, 8
	s_set_gpr_idx_on s27, gpr_idx(SRC0)
	v_mov_b32_e32 v84, v24
	s_set_gpr_idx_off
	v_add_u32_e32 v82, s4, v80
	s_waitcnt lgkmcnt(0)
	v_fmac_f64_e32 v[78:79], v[84:85], v[96:97]
	s_set_gpr_idx_on s28, gpr_idx(SRC0)
	v_mov_b32_e32 v85, v24
	s_set_gpr_idx_off
	s_addc_u32 s5, s5, 0
	s_add_i32 s10, s10, 64
	s_add_i32 s12, s4, -1
	v_cmp_eq_u32_e32 vcc, 5, v82
	s_set_gpr_idx_on s29, gpr_idx(SRC0)
	v_mov_b32_e32 v84, v24
	s_set_gpr_idx_off
	v_mov_b32_e32 v82, s12
	s_or_b64 s[8:9], vcc, s[8:9]
	v_fmac_f64_e32 v[78:79], v[84:85], v[98:99]
	s_andn2_b64 exec, exec, s[8:9]
	s_cbranch_execnz .LBB10_89
; %bb.90:
	s_or_b64 exec, exec, s[8:9]
.LBB10_91:
	s_or_b64 exec, exec, s[0:1]
	v_and_b32_e32 v46, 7, v83
	v_cmp_ne_u32_e32 vcc, 0, v46
	s_and_saveexec_b64 s[8:9], vcc
	s_cbranch_execz .LBB10_95
; %bb.92:
	v_mov_b32_e32 v47, 0x60
	v_lshl_add_u32 v48, v82, 3, v47
	v_mov_b32_e32 v47, 0
	s_mov_b64 s[10:11], 0
.LBB10_93:                              ; =>This Inner Loop Header: Depth=1
	v_cmp_eq_u32_e32 vcc, 1, v82
	v_cndmask_b32_e32 v49, v25, v27, vcc
	v_add_u32_e32 v46, -1, v46
	v_cmp_eq_u32_e64 s[0:1], 2, v82
	v_cndmask_b32_e64 v49, v49, v29, s[0:1]
	v_cndmask_b32_e32 v52, v24, v26, vcc
	v_cmp_eq_u32_e32 vcc, 0, v46
	v_cmp_eq_u32_e64 s[4:5], 3, v82
	v_cndmask_b32_e64 v49, v49, v31, s[4:5]
	v_cndmask_b32_e64 v52, v52, v28, s[0:1]
	s_or_b64 s[10:11], vcc, s[10:11]
	v_cmp_eq_u32_e32 vcc, 4, v82
	v_cndmask_b32_e32 v49, v49, v33, vcc
	v_cndmask_b32_e64 v52, v52, v30, s[4:5]
	v_cmp_eq_u32_e64 s[0:1], 5, v82
	v_cndmask_b32_e64 v49, v49, v35, s[0:1]
	v_cndmask_b32_e32 v52, v52, v32, vcc
	v_cmp_eq_u32_e32 vcc, 6, v82
	v_cndmask_b32_e32 v49, v49, v37, vcc
	v_cndmask_b32_e64 v52, v52, v34, s[0:1]
	v_cmp_eq_u32_e64 s[0:1], 7, v82
	ds_read_b64 v[50:51], v48
	v_cndmask_b32_e64 v49, v49, v39, s[0:1]
	v_cndmask_b32_e32 v52, v52, v36, vcc
	v_cmp_eq_u32_e32 vcc, 8, v82
	v_cndmask_b32_e32 v49, v49, v41, vcc
	v_cndmask_b32_e64 v52, v52, v38, s[0:1]
	v_cmp_eq_u32_e64 s[0:1], 9, v82
	v_cndmask_b32_e64 v49, v49, v43, s[0:1]
	v_cmp_eq_u32_e64 s[4:5], 10, v82
	v_cndmask_b32_e32 v52, v52, v40, vcc
	v_cndmask_b32_e64 v53, v49, v45, s[4:5]
	v_cndmask_b32_e64 v49, v52, v42, s[0:1]
	v_add_co_u32_e32 v82, vcc, 1, v82
	v_cndmask_b32_e64 v52, v49, v44, s[4:5]
	v_add_u32_e32 v48, 8, v48
	v_addc_co_u32_e32 v47, vcc, 0, v47, vcc
	s_waitcnt lgkmcnt(0)
	v_fmac_f64_e32 v[78:79], v[52:53], v[50:51]
	s_andn2_b64 exec, exec, s[10:11]
	s_cbranch_execnz .LBB10_93
; %bb.94:
	s_or_b64 exec, exec, s[10:11]
.LBB10_95:
	s_or_b64 exec, exec, s[8:9]
.LBB10_96:
	s_or_b64 exec, exec, s[6:7]
	v_mov_b32_e32 v30, 0
	ds_read_b64 v[30:31], v30 offset:24
	s_waitcnt lgkmcnt(0)
	v_mul_f64 v[30:31], v[78:79], v[30:31]
.LBB10_97:
	s_or_b64 exec, exec, s[24:25]
	v_cmp_lt_u32_e64 s[0:1], 2, v0
	ds_write_b64 v81, v[28:29]
	s_waitcnt lgkmcnt(0)
	; wave barrier
	s_waitcnt lgkmcnt(0)
	s_and_saveexec_b64 s[24:25], s[0:1]
	s_cbranch_execz .LBB10_113
; %bb.98:
	s_andn2_b64 vcc, exec, s[22:23]
	s_cbranch_vccnz .LBB10_100
; %bb.99:
	v_cmp_eq_u32_e32 vcc, 1, v0
	v_cndmask_b32_e32 v78, v25, v27, vcc
	v_cmp_eq_u32_e64 s[4:5], 2, v0
	v_cndmask_b32_e64 v78, v78, v29, s[4:5]
	v_cmp_eq_u32_e64 s[6:7], 3, v0
	v_cndmask_b32_e64 v78, v78, v31, s[6:7]
	;; [unrolled: 2-line block ×9, first 2 shown]
	v_cndmask_b32_e32 v78, v24, v26, vcc
	v_cndmask_b32_e64 v78, v78, v28, s[4:5]
	v_cndmask_b32_e64 v78, v78, v30, s[6:7]
	;; [unrolled: 1-line block ×5, first 2 shown]
	ds_read_b64 v[82:83], v81
	v_cndmask_b32_e64 v78, v78, v38, s[14:15]
	v_cndmask_b32_e64 v78, v78, v40, s[16:17]
	;; [unrolled: 1-line block ×4, first 2 shown]
	s_waitcnt lgkmcnt(0)
	v_mul_f64 v[78:79], v[78:79], v[82:83]
	s_cbranch_execz .LBB10_101
	s_branch .LBB10_102
.LBB10_100:
                                        ; implicit-def: $vgpr78_vgpr79
.LBB10_101:
	ds_read_b64 v[78:79], v81
.LBB10_102:
	s_and_saveexec_b64 s[6:7], s[2:3]
	s_cbranch_execz .LBB10_112
; %bb.103:
	v_add_u32_e32 v80, -4, v0
	v_add_u32_e32 v83, -3, v0
	v_cmp_lt_u32_e32 vcc, 6, v80
	v_mov_b32_e32 v80, 3
	s_and_saveexec_b64 s[2:3], vcc
	s_cbranch_execz .LBB10_107
; %bb.104:
	v_and_b32_e32 v80, -8, v83
	v_sub_u32_e32 v82, 0, v80
	s_mov_b64 s[4:5], 10
	s_movk_i32 s10, 0x78
	s_mov_b64 s[8:9], 0
.LBB10_105:                             ; =>This Inner Loop Header: Depth=1
	s_lshl_b32 s11, s4, 1
	s_add_i32 s12, s11, -13
	v_mov_b32_e32 v98, s10
	s_add_i32 s13, s11, -14
	s_set_gpr_idx_on s12, gpr_idx(SRC0)
	v_mov_b32_e32 v93, v24
	s_set_gpr_idx_off
	s_add_i32 s14, s11, -11
	s_set_gpr_idx_on s13, gpr_idx(SRC0)
	v_mov_b32_e32 v92, v24
	s_set_gpr_idx_off
	ds_read2_b64 v[84:87], v98 offset1:1
	s_add_i32 s15, s11, -12
	s_set_gpr_idx_on s14, gpr_idx(SRC0)
	v_mov_b32_e32 v95, v24
	s_set_gpr_idx_off
	s_add_i32 s16, s11, -9
	s_set_gpr_idx_on s15, gpr_idx(SRC0)
	v_mov_b32_e32 v94, v24
	s_set_gpr_idx_off
	;; [unrolled: 4-line block ×4, first 2 shown]
	ds_read2_b64 v[88:91], v98 offset0:2 offset1:3
	s_add_i32 s19, s11, -8
	s_waitcnt lgkmcnt(1)
	v_fmac_f64_e32 v[78:79], v[92:93], v[84:85]
	s_set_gpr_idx_on s18, gpr_idx(SRC0)
	v_mov_b32_e32 v93, v24
	s_set_gpr_idx_off
	s_add_i32 s20, s11, -5
	v_fmac_f64_e32 v[78:79], v[94:95], v[86:87]
	s_set_gpr_idx_on s19, gpr_idx(SRC0)
	v_mov_b32_e32 v92, v24
	s_set_gpr_idx_off
	s_add_i32 s21, s11, -6
	s_set_gpr_idx_on s20, gpr_idx(SRC0)
	v_mov_b32_e32 v95, v24
	s_set_gpr_idx_off
	s_add_i32 s26, s11, -3
	;; [unrolled: 4-line block ×3, first 2 shown]
	ds_read2_b64 v[84:87], v98 offset0:4 offset1:5
	s_waitcnt lgkmcnt(1)
	v_fmac_f64_e32 v[78:79], v[96:97], v[88:89]
	s_set_gpr_idx_on s26, gpr_idx(SRC0)
	v_mov_b32_e32 v97, v24
	s_set_gpr_idx_off
	s_add_i32 s28, s11, -1
	v_fmac_f64_e32 v[78:79], v[92:93], v[90:91]
	s_set_gpr_idx_on s27, gpr_idx(SRC0)
	v_mov_b32_e32 v96, v24
	s_set_gpr_idx_off
	s_add_i32 s29, s11, -2
	s_set_gpr_idx_on s28, gpr_idx(SRC0)
	v_mov_b32_e32 v93, v24
	s_set_gpr_idx_off
	s_set_gpr_idx_on s29, gpr_idx(SRC0)
	v_mov_b32_e32 v92, v24
	s_set_gpr_idx_off
	ds_read2_b64 v[88:91], v98 offset0:6 offset1:7
	s_add_u32 s4, s4, 8
	s_waitcnt lgkmcnt(1)
	v_fmac_f64_e32 v[78:79], v[94:95], v[84:85]
	s_set_gpr_idx_on s11, gpr_idx(SRC0)
	v_mov_b32_e32 v85, v25
	s_set_gpr_idx_off
	v_add_u32_e32 v80, s4, v82
	v_fmac_f64_e32 v[78:79], v[96:97], v[86:87]
	s_set_gpr_idx_on s11, gpr_idx(SRC0)
	v_mov_b32_e32 v84, v24
	s_set_gpr_idx_off
	s_addc_u32 s5, s5, 0
	s_add_i32 s10, s10, 64
	s_add_i32 s12, s4, -7
	v_cmp_eq_u32_e32 vcc, 10, v80
	s_waitcnt lgkmcnt(0)
	v_fmac_f64_e32 v[78:79], v[92:93], v[88:89]
	v_mov_b32_e32 v80, s12
	s_or_b64 s[8:9], vcc, s[8:9]
	v_fmac_f64_e32 v[78:79], v[84:85], v[90:91]
	s_andn2_b64 exec, exec, s[8:9]
	s_cbranch_execnz .LBB10_105
; %bb.106:
	s_or_b64 exec, exec, s[8:9]
.LBB10_107:
	s_or_b64 exec, exec, s[2:3]
	v_and_b32_e32 v46, 7, v83
	v_cmp_ne_u32_e32 vcc, 0, v46
	s_and_saveexec_b64 s[8:9], vcc
	s_cbranch_execz .LBB10_111
; %bb.108:
	v_mov_b32_e32 v47, 0x60
	v_lshl_add_u32 v48, v80, 3, v47
	v_mov_b32_e32 v47, 0
	s_mov_b64 s[10:11], 0
.LBB10_109:                             ; =>This Inner Loop Header: Depth=1
	v_cmp_eq_u32_e32 vcc, 1, v80
	v_cndmask_b32_e32 v49, v25, v27, vcc
	v_add_u32_e32 v46, -1, v46
	v_cmp_eq_u32_e64 s[2:3], 2, v80
	v_cndmask_b32_e64 v49, v49, v29, s[2:3]
	v_cndmask_b32_e32 v52, v24, v26, vcc
	v_cmp_eq_u32_e32 vcc, 0, v46
	v_cmp_eq_u32_e64 s[4:5], 3, v80
	v_cndmask_b32_e64 v49, v49, v31, s[4:5]
	v_cndmask_b32_e64 v52, v52, v28, s[2:3]
	s_or_b64 s[10:11], vcc, s[10:11]
	v_cmp_eq_u32_e32 vcc, 4, v80
	v_cndmask_b32_e32 v49, v49, v33, vcc
	v_cndmask_b32_e64 v52, v52, v30, s[4:5]
	v_cmp_eq_u32_e64 s[2:3], 5, v80
	v_cndmask_b32_e64 v49, v49, v35, s[2:3]
	v_cndmask_b32_e32 v52, v52, v32, vcc
	v_cmp_eq_u32_e32 vcc, 6, v80
	v_cndmask_b32_e32 v49, v49, v37, vcc
	v_cndmask_b32_e64 v52, v52, v34, s[2:3]
	v_cmp_eq_u32_e64 s[2:3], 7, v80
	ds_read_b64 v[50:51], v48
	v_cndmask_b32_e64 v49, v49, v39, s[2:3]
	v_cndmask_b32_e32 v52, v52, v36, vcc
	v_cmp_eq_u32_e32 vcc, 8, v80
	v_cndmask_b32_e32 v49, v49, v41, vcc
	v_cndmask_b32_e64 v52, v52, v38, s[2:3]
	v_cmp_eq_u32_e64 s[2:3], 9, v80
	v_cndmask_b32_e64 v49, v49, v43, s[2:3]
	v_cmp_eq_u32_e64 s[4:5], 10, v80
	v_cndmask_b32_e32 v52, v52, v40, vcc
	v_cndmask_b32_e64 v53, v49, v45, s[4:5]
	v_cndmask_b32_e64 v49, v52, v42, s[2:3]
	v_add_co_u32_e32 v80, vcc, 1, v80
	v_cndmask_b32_e64 v52, v49, v44, s[4:5]
	v_add_u32_e32 v48, 8, v48
	v_addc_co_u32_e32 v47, vcc, 0, v47, vcc
	s_waitcnt lgkmcnt(0)
	v_fmac_f64_e32 v[78:79], v[52:53], v[50:51]
	s_andn2_b64 exec, exec, s[10:11]
	s_cbranch_execnz .LBB10_109
; %bb.110:
	s_or_b64 exec, exec, s[10:11]
.LBB10_111:
	s_or_b64 exec, exec, s[8:9]
.LBB10_112:
	s_or_b64 exec, exec, s[6:7]
	v_mov_b32_e32 v28, 0
	ds_read_b64 v[28:29], v28 offset:16
	s_waitcnt lgkmcnt(0)
	v_mul_f64 v[28:29], v[78:79], v[28:29]
.LBB10_113:
	s_or_b64 exec, exec, s[24:25]
	v_cmp_lt_u32_e64 s[2:3], 1, v0
	ds_write_b64 v81, v[26:27]
	s_waitcnt lgkmcnt(0)
	; wave barrier
	s_waitcnt lgkmcnt(0)
	s_and_saveexec_b64 s[24:25], s[2:3]
	s_cbranch_execz .LBB10_129
; %bb.114:
	s_andn2_b64 vcc, exec, s[22:23]
	s_cbranch_vccnz .LBB10_116
; %bb.115:
	v_cmp_eq_u32_e32 vcc, 1, v0
	v_cndmask_b32_e32 v78, v25, v27, vcc
	v_cmp_eq_u32_e64 s[4:5], 2, v0
	v_cndmask_b32_e64 v78, v78, v29, s[4:5]
	v_cmp_eq_u32_e64 s[6:7], 3, v0
	v_cndmask_b32_e64 v78, v78, v31, s[6:7]
	;; [unrolled: 2-line block ×9, first 2 shown]
	v_cndmask_b32_e32 v78, v24, v26, vcc
	v_cndmask_b32_e64 v78, v78, v28, s[4:5]
	v_cndmask_b32_e64 v78, v78, v30, s[6:7]
	;; [unrolled: 1-line block ×5, first 2 shown]
	ds_read_b64 v[82:83], v81
	v_cndmask_b32_e64 v78, v78, v38, s[14:15]
	v_cndmask_b32_e64 v78, v78, v40, s[16:17]
	;; [unrolled: 1-line block ×4, first 2 shown]
	s_waitcnt lgkmcnt(0)
	v_mul_f64 v[78:79], v[78:79], v[82:83]
	s_cbranch_execz .LBB10_117
	s_branch .LBB10_118
.LBB10_116:
                                        ; implicit-def: $vgpr78_vgpr79
.LBB10_117:
	ds_read_b64 v[78:79], v81
.LBB10_118:
	s_and_saveexec_b64 s[6:7], s[0:1]
	s_cbranch_execz .LBB10_128
; %bb.119:
	v_add_u32_e32 v80, -3, v0
	v_add_u32_e32 v83, -2, v0
	v_cmp_lt_u32_e32 vcc, 6, v80
	v_mov_b32_e32 v82, 2
	s_and_saveexec_b64 s[0:1], vcc
	s_cbranch_execz .LBB10_123
; %bb.120:
	v_and_b32_e32 v80, -8, v83
	v_sub_u32_e32 v80, 0, v80
	s_mov_b64 s[4:5], 9
	s_movk_i32 s10, 0x70
	s_mov_b64 s[8:9], 0
.LBB10_121:                             ; =>This Inner Loop Header: Depth=1
	s_lshl_b32 s11, s4, 1
	s_add_i32 s12, s11, -13
	s_add_i32 s13, s11, -14
	s_set_gpr_idx_on s12, gpr_idx(SRC0)
	v_mov_b32_e32 v101, v24
	s_set_gpr_idx_off
	v_mov_b32_e32 v82, s10
	s_add_i32 s14, s11, -11
	s_set_gpr_idx_on s13, gpr_idx(SRC0)
	v_mov_b32_e32 v100, v24
	s_set_gpr_idx_off
	s_add_i32 s15, s11, -12
	ds_read_b128 v[84:87], v82
	ds_read_b128 v[88:91], v82 offset:16
	ds_read_b128 v[92:95], v82 offset:32
	;; [unrolled: 1-line block ×3, first 2 shown]
	s_set_gpr_idx_on s14, gpr_idx(SRC0)
	v_mov_b32_e32 v103, v24
	s_set_gpr_idx_off
	s_add_i32 s16, s11, -9
	s_set_gpr_idx_on s15, gpr_idx(SRC0)
	v_mov_b32_e32 v102, v24
	s_set_gpr_idx_off
	s_add_i32 s17, s11, -10
	;; [unrolled: 4-line block ×4, first 2 shown]
	s_waitcnt lgkmcnt(3)
	v_fmac_f64_e32 v[78:79], v[100:101], v[84:85]
	s_set_gpr_idx_on s18, gpr_idx(SRC0)
	v_mov_b32_e32 v85, v24
	s_set_gpr_idx_off
	s_add_i32 s20, s11, -5
	v_fmac_f64_e32 v[78:79], v[102:103], v[86:87]
	s_set_gpr_idx_on s19, gpr_idx(SRC0)
	v_mov_b32_e32 v84, v24
	s_set_gpr_idx_off
	s_add_i32 s21, s11, -6
	s_waitcnt lgkmcnt(2)
	v_fmac_f64_e32 v[78:79], v[104:105], v[88:89]
	s_set_gpr_idx_on s20, gpr_idx(SRC0)
	v_mov_b32_e32 v87, v24
	s_set_gpr_idx_off
	s_add_i32 s26, s11, -3
	v_fmac_f64_e32 v[78:79], v[84:85], v[90:91]
	s_set_gpr_idx_on s21, gpr_idx(SRC0)
	v_mov_b32_e32 v86, v24
	s_set_gpr_idx_off
	s_add_i32 s27, s11, -4
	s_waitcnt lgkmcnt(1)
	v_fmac_f64_e32 v[78:79], v[86:87], v[92:93]
	s_set_gpr_idx_on s26, gpr_idx(SRC0)
	v_mov_b32_e32 v85, v24
	s_set_gpr_idx_off
	s_add_i32 s28, s11, -1
	s_set_gpr_idx_on s27, gpr_idx(SRC0)
	v_mov_b32_e32 v84, v24
	s_set_gpr_idx_off
	s_add_i32 s29, s11, -2
	v_fmac_f64_e32 v[78:79], v[84:85], v[94:95]
	s_set_gpr_idx_on s28, gpr_idx(SRC0)
	v_mov_b32_e32 v85, v24
	s_set_gpr_idx_off
	s_add_u32 s4, s4, 8
	s_set_gpr_idx_on s29, gpr_idx(SRC0)
	v_mov_b32_e32 v84, v24
	s_set_gpr_idx_off
	v_add_u32_e32 v82, s4, v80
	s_waitcnt lgkmcnt(0)
	v_fmac_f64_e32 v[78:79], v[84:85], v[96:97]
	s_set_gpr_idx_on s11, gpr_idx(SRC0)
	v_mov_b32_e32 v85, v25
	s_set_gpr_idx_off
	s_addc_u32 s5, s5, 0
	s_add_i32 s10, s10, 64
	s_add_i32 s12, s4, -7
	v_cmp_eq_u32_e32 vcc, 9, v82
	s_set_gpr_idx_on s11, gpr_idx(SRC0)
	v_mov_b32_e32 v84, v24
	s_set_gpr_idx_off
	v_mov_b32_e32 v82, s12
	s_or_b64 s[8:9], vcc, s[8:9]
	v_fmac_f64_e32 v[78:79], v[84:85], v[98:99]
	s_andn2_b64 exec, exec, s[8:9]
	s_cbranch_execnz .LBB10_121
; %bb.122:
	s_or_b64 exec, exec, s[8:9]
.LBB10_123:
	s_or_b64 exec, exec, s[0:1]
	v_and_b32_e32 v46, 7, v83
	v_cmp_ne_u32_e32 vcc, 0, v46
	s_and_saveexec_b64 s[8:9], vcc
	s_cbranch_execz .LBB10_127
; %bb.124:
	v_mov_b32_e32 v47, 0x60
	v_lshl_add_u32 v48, v82, 3, v47
	v_mov_b32_e32 v47, 0
	s_mov_b64 s[10:11], 0
.LBB10_125:                             ; =>This Inner Loop Header: Depth=1
	v_cmp_eq_u32_e32 vcc, 1, v82
	v_cndmask_b32_e32 v49, v25, v27, vcc
	v_add_u32_e32 v46, -1, v46
	v_cmp_eq_u32_e64 s[0:1], 2, v82
	v_cndmask_b32_e64 v49, v49, v29, s[0:1]
	v_cndmask_b32_e32 v52, v24, v26, vcc
	v_cmp_eq_u32_e32 vcc, 0, v46
	v_cmp_eq_u32_e64 s[4:5], 3, v82
	v_cndmask_b32_e64 v49, v49, v31, s[4:5]
	v_cndmask_b32_e64 v52, v52, v28, s[0:1]
	s_or_b64 s[10:11], vcc, s[10:11]
	v_cmp_eq_u32_e32 vcc, 4, v82
	v_cndmask_b32_e32 v49, v49, v33, vcc
	v_cndmask_b32_e64 v52, v52, v30, s[4:5]
	v_cmp_eq_u32_e64 s[0:1], 5, v82
	v_cndmask_b32_e64 v49, v49, v35, s[0:1]
	v_cndmask_b32_e32 v52, v52, v32, vcc
	v_cmp_eq_u32_e32 vcc, 6, v82
	v_cndmask_b32_e32 v49, v49, v37, vcc
	v_cndmask_b32_e64 v52, v52, v34, s[0:1]
	v_cmp_eq_u32_e64 s[0:1], 7, v82
	ds_read_b64 v[50:51], v48
	v_cndmask_b32_e64 v49, v49, v39, s[0:1]
	v_cndmask_b32_e32 v52, v52, v36, vcc
	v_cmp_eq_u32_e32 vcc, 8, v82
	v_cndmask_b32_e32 v49, v49, v41, vcc
	v_cndmask_b32_e64 v52, v52, v38, s[0:1]
	v_cmp_eq_u32_e64 s[0:1], 9, v82
	v_cndmask_b32_e64 v49, v49, v43, s[0:1]
	v_cmp_eq_u32_e64 s[4:5], 10, v82
	v_cndmask_b32_e32 v52, v52, v40, vcc
	v_cndmask_b32_e64 v53, v49, v45, s[4:5]
	v_cndmask_b32_e64 v49, v52, v42, s[0:1]
	v_add_co_u32_e32 v82, vcc, 1, v82
	v_cndmask_b32_e64 v52, v49, v44, s[4:5]
	v_add_u32_e32 v48, 8, v48
	v_addc_co_u32_e32 v47, vcc, 0, v47, vcc
	s_waitcnt lgkmcnt(0)
	v_fmac_f64_e32 v[78:79], v[52:53], v[50:51]
	s_andn2_b64 exec, exec, s[10:11]
	s_cbranch_execnz .LBB10_125
; %bb.126:
	s_or_b64 exec, exec, s[10:11]
.LBB10_127:
	s_or_b64 exec, exec, s[8:9]
.LBB10_128:
	s_or_b64 exec, exec, s[6:7]
	v_mov_b32_e32 v26, 0
	ds_read_b64 v[26:27], v26 offset:8
	s_waitcnt lgkmcnt(0)
	v_mul_f64 v[26:27], v[78:79], v[26:27]
.LBB10_129:
	s_or_b64 exec, exec, s[24:25]
	v_cmp_ne_u32_e32 vcc, 0, v0
	ds_write_b64 v81, v[24:25]
	s_waitcnt lgkmcnt(0)
	; wave barrier
	s_waitcnt lgkmcnt(0)
	s_and_saveexec_b64 s[20:21], vcc
	s_cbranch_execz .LBB10_145
; %bb.130:
	s_andn2_b64 vcc, exec, s[22:23]
	s_cbranch_vccnz .LBB10_132
; %bb.131:
	v_cmp_eq_u32_e32 vcc, 1, v0
	v_cndmask_b32_e32 v78, v25, v27, vcc
	v_cmp_eq_u32_e64 s[0:1], 2, v0
	v_cndmask_b32_e64 v78, v78, v29, s[0:1]
	v_cmp_eq_u32_e64 s[4:5], 3, v0
	v_cndmask_b32_e64 v78, v78, v31, s[4:5]
	;; [unrolled: 2-line block ×9, first 2 shown]
	v_cndmask_b32_e32 v78, v24, v26, vcc
	v_cndmask_b32_e64 v78, v78, v28, s[0:1]
	v_cndmask_b32_e64 v78, v78, v30, s[4:5]
	;; [unrolled: 1-line block ×5, first 2 shown]
	ds_read_b64 v[82:83], v81
	v_cndmask_b32_e64 v78, v78, v38, s[12:13]
	v_cndmask_b32_e64 v78, v78, v40, s[14:15]
	;; [unrolled: 1-line block ×4, first 2 shown]
	s_waitcnt lgkmcnt(0)
	v_mul_f64 v[78:79], v[78:79], v[82:83]
	s_cbranch_execz .LBB10_133
	s_branch .LBB10_134
.LBB10_132:
                                        ; implicit-def: $vgpr78_vgpr79
.LBB10_133:
	ds_read_b64 v[78:79], v81
.LBB10_134:
	s_and_saveexec_b64 s[4:5], s[2:3]
	s_cbranch_execz .LBB10_144
; %bb.135:
	v_add_u32_e32 v80, -2, v0
	v_add_u32_e32 v83, -1, v0
	v_cmp_lt_u32_e32 vcc, 6, v80
	v_mov_b32_e32 v80, 1
	s_and_saveexec_b64 s[0:1], vcc
	s_cbranch_execz .LBB10_139
; %bb.136:
	v_and_b32_e32 v80, -8, v83
	v_sub_u32_e32 v82, 0, v80
	s_mov_b64 s[2:3], 8
	s_movk_i32 s8, 0x68
	s_mov_b64 s[6:7], 0
.LBB10_137:                             ; =>This Inner Loop Header: Depth=1
	s_lshl_b32 s9, s2, 1
	s_add_i32 s10, s9, -13
	v_mov_b32_e32 v98, s8
	s_add_i32 s11, s9, -14
	s_set_gpr_idx_on s10, gpr_idx(SRC0)
	v_mov_b32_e32 v93, v24
	s_set_gpr_idx_off
	s_add_i32 s12, s9, -11
	s_set_gpr_idx_on s11, gpr_idx(SRC0)
	v_mov_b32_e32 v92, v24
	s_set_gpr_idx_off
	ds_read2_b64 v[84:87], v98 offset1:1
	s_add_i32 s13, s9, -12
	s_set_gpr_idx_on s12, gpr_idx(SRC0)
	v_mov_b32_e32 v95, v24
	s_set_gpr_idx_off
	s_add_i32 s14, s9, -9
	s_set_gpr_idx_on s13, gpr_idx(SRC0)
	v_mov_b32_e32 v94, v24
	s_set_gpr_idx_off
	s_add_i32 s15, s9, -10
	s_set_gpr_idx_on s14, gpr_idx(SRC0)
	v_mov_b32_e32 v97, v24
	s_set_gpr_idx_off
	s_add_i32 s16, s9, -7
	s_set_gpr_idx_on s15, gpr_idx(SRC0)
	v_mov_b32_e32 v96, v24
	s_set_gpr_idx_off
	ds_read2_b64 v[88:91], v98 offset0:2 offset1:3
	s_add_i32 s17, s9, -8
	s_waitcnt lgkmcnt(1)
	v_fmac_f64_e32 v[78:79], v[92:93], v[84:85]
	s_set_gpr_idx_on s16, gpr_idx(SRC0)
	v_mov_b32_e32 v93, v24
	s_set_gpr_idx_off
	s_add_i32 s18, s9, -5
	v_fmac_f64_e32 v[78:79], v[94:95], v[86:87]
	s_set_gpr_idx_on s17, gpr_idx(SRC0)
	v_mov_b32_e32 v92, v24
	s_set_gpr_idx_off
	s_add_i32 s19, s9, -6
	s_set_gpr_idx_on s18, gpr_idx(SRC0)
	v_mov_b32_e32 v95, v24
	s_set_gpr_idx_off
	s_add_i32 s24, s9, -3
	;; [unrolled: 4-line block ×3, first 2 shown]
	ds_read2_b64 v[84:87], v98 offset0:4 offset1:5
	s_waitcnt lgkmcnt(1)
	v_fmac_f64_e32 v[78:79], v[96:97], v[88:89]
	s_set_gpr_idx_on s24, gpr_idx(SRC0)
	v_mov_b32_e32 v97, v24
	s_set_gpr_idx_off
	s_add_i32 s26, s9, -1
	v_fmac_f64_e32 v[78:79], v[92:93], v[90:91]
	s_set_gpr_idx_on s25, gpr_idx(SRC0)
	v_mov_b32_e32 v96, v24
	s_set_gpr_idx_off
	s_add_i32 s27, s9, -2
	s_set_gpr_idx_on s26, gpr_idx(SRC0)
	v_mov_b32_e32 v93, v24
	s_set_gpr_idx_off
	s_set_gpr_idx_on s27, gpr_idx(SRC0)
	v_mov_b32_e32 v92, v24
	s_set_gpr_idx_off
	ds_read2_b64 v[88:91], v98 offset0:6 offset1:7
	s_add_u32 s2, s2, 8
	s_waitcnt lgkmcnt(1)
	v_fmac_f64_e32 v[78:79], v[94:95], v[84:85]
	s_set_gpr_idx_on s9, gpr_idx(SRC0)
	v_mov_b32_e32 v85, v25
	s_set_gpr_idx_off
	v_add_u32_e32 v80, s2, v82
	v_fmac_f64_e32 v[78:79], v[96:97], v[86:87]
	s_set_gpr_idx_on s9, gpr_idx(SRC0)
	v_mov_b32_e32 v84, v24
	s_set_gpr_idx_off
	s_addc_u32 s3, s3, 0
	s_add_i32 s8, s8, 64
	s_add_i32 s10, s2, -7
	v_cmp_eq_u32_e32 vcc, 8, v80
	s_waitcnt lgkmcnt(0)
	v_fmac_f64_e32 v[78:79], v[92:93], v[88:89]
	v_mov_b32_e32 v80, s10
	s_or_b64 s[6:7], vcc, s[6:7]
	v_fmac_f64_e32 v[78:79], v[84:85], v[90:91]
	s_andn2_b64 exec, exec, s[6:7]
	s_cbranch_execnz .LBB10_137
; %bb.138:
	s_or_b64 exec, exec, s[6:7]
.LBB10_139:
	s_or_b64 exec, exec, s[0:1]
	v_and_b32_e32 v46, 7, v83
	v_cmp_ne_u32_e32 vcc, 0, v46
	s_and_saveexec_b64 s[6:7], vcc
	s_cbranch_execz .LBB10_143
; %bb.140:
	v_mov_b32_e32 v47, 0x60
	v_lshl_add_u32 v48, v80, 3, v47
	v_mov_b32_e32 v47, 0
	s_mov_b64 s[8:9], 0
.LBB10_141:                             ; =>This Inner Loop Header: Depth=1
	v_cmp_eq_u32_e32 vcc, 1, v80
	v_cndmask_b32_e32 v49, v25, v27, vcc
	v_add_u32_e32 v46, -1, v46
	v_cmp_eq_u32_e64 s[0:1], 2, v80
	v_cndmask_b32_e64 v49, v49, v29, s[0:1]
	v_cndmask_b32_e32 v52, v24, v26, vcc
	v_cmp_eq_u32_e32 vcc, 0, v46
	v_cmp_eq_u32_e64 s[2:3], 3, v80
	v_cndmask_b32_e64 v49, v49, v31, s[2:3]
	v_cndmask_b32_e64 v52, v52, v28, s[0:1]
	s_or_b64 s[8:9], vcc, s[8:9]
	v_cmp_eq_u32_e32 vcc, 4, v80
	v_cndmask_b32_e32 v49, v49, v33, vcc
	v_cndmask_b32_e64 v52, v52, v30, s[2:3]
	v_cmp_eq_u32_e64 s[0:1], 5, v80
	v_cndmask_b32_e64 v49, v49, v35, s[0:1]
	v_cndmask_b32_e32 v52, v52, v32, vcc
	v_cmp_eq_u32_e32 vcc, 6, v80
	v_cndmask_b32_e32 v49, v49, v37, vcc
	v_cndmask_b32_e64 v52, v52, v34, s[0:1]
	v_cmp_eq_u32_e64 s[0:1], 7, v80
	ds_read_b64 v[50:51], v48
	v_cndmask_b32_e64 v49, v49, v39, s[0:1]
	v_cndmask_b32_e32 v52, v52, v36, vcc
	v_cmp_eq_u32_e32 vcc, 8, v80
	v_cndmask_b32_e32 v49, v49, v41, vcc
	v_cndmask_b32_e64 v52, v52, v38, s[0:1]
	v_cmp_eq_u32_e64 s[0:1], 9, v80
	v_cndmask_b32_e64 v49, v49, v43, s[0:1]
	v_cmp_eq_u32_e64 s[2:3], 10, v80
	v_cndmask_b32_e32 v52, v52, v40, vcc
	v_cndmask_b32_e64 v53, v49, v45, s[2:3]
	v_cndmask_b32_e64 v49, v52, v42, s[0:1]
	v_add_co_u32_e32 v80, vcc, 1, v80
	v_cndmask_b32_e64 v52, v49, v44, s[2:3]
	v_add_u32_e32 v48, 8, v48
	v_addc_co_u32_e32 v47, vcc, 0, v47, vcc
	s_waitcnt lgkmcnt(0)
	v_fmac_f64_e32 v[78:79], v[52:53], v[50:51]
	s_andn2_b64 exec, exec, s[8:9]
	s_cbranch_execnz .LBB10_141
; %bb.142:
	s_or_b64 exec, exec, s[8:9]
.LBB10_143:
	s_or_b64 exec, exec, s[6:7]
.LBB10_144:
	s_or_b64 exec, exec, s[4:5]
	v_mov_b32_e32 v24, 0
	ds_read_b64 v[24:25], v24
	s_waitcnt lgkmcnt(0)
	v_mul_f64 v[24:25], v[78:79], v[24:25]
.LBB10_145:
	s_or_b64 exec, exec, s[20:21]
	s_branch .LBB10_251
.LBB10_146:
	v_cmp_eq_u32_e64 s[0:1], 0, v0
	s_waitcnt vmcnt(10)
	ds_write_b64 v81, v[4:5]
	s_waitcnt lgkmcnt(0)
	; wave barrier
	s_waitcnt lgkmcnt(0)
	s_and_saveexec_b64 s[20:21], s[0:1]
	s_cbranch_execz .LBB10_152
; %bb.147:
	s_and_b64 vcc, exec, s[22:23]
	s_cbranch_vccz .LBB10_149
; %bb.148:
	v_cmp_eq_u32_e32 vcc, 1, v0
	s_waitcnt vmcnt(1)
	v_cndmask_b32_e32 v5, v3, v5, vcc
	v_cmp_eq_u32_e64 s[2:3], 2, v0
	v_cndmask_b32_e32 v4, v2, v4, vcc
	v_cndmask_b32_e64 v5, v5, v7, s[2:3]
	v_cmp_eq_u32_e64 s[4:5], 3, v0
	v_cndmask_b32_e64 v4, v4, v6, s[2:3]
	v_cndmask_b32_e64 v5, v5, v9, s[4:5]
	v_cmp_eq_u32_e64 s[6:7], 4, v0
	v_cndmask_b32_e64 v4, v4, v8, s[4:5]
	;; [unrolled: 3-line block ×5, first 2 shown]
	ds_read_b64 v[24:25], v81
	v_cndmask_b32_e64 v5, v5, v17, s[12:13]
	v_cmp_eq_u32_e64 s[14:15], 8, v0
	v_cndmask_b32_e64 v4, v4, v16, s[12:13]
	v_cndmask_b32_e64 v5, v5, v19, s[14:15]
	v_cmp_eq_u32_e64 s[16:17], 9, v0
	v_cndmask_b32_e64 v4, v4, v18, s[14:15]
	;; [unrolled: 3-line block ×3, first 2 shown]
	s_waitcnt vmcnt(0)
	v_cndmask_b32_e64 v5, v5, v23, s[18:19]
	v_cndmask_b32_e64 v4, v4, v22, s[18:19]
	s_waitcnt lgkmcnt(0)
	v_mul_f64 v[4:5], v[4:5], v[24:25]
	s_cbranch_execz .LBB10_150
	s_branch .LBB10_151
.LBB10_149:
                                        ; implicit-def: $vgpr4_vgpr5
.LBB10_150:
	ds_read_b64 v[4:5], v81
.LBB10_151:
	v_mov_b32_e32 v24, 0
	ds_read_b64 v[24:25], v24 offset:8
	s_waitcnt lgkmcnt(0)
	v_mul_f64 v[4:5], v[4:5], v[24:25]
.LBB10_152:
	s_or_b64 exec, exec, s[20:21]
	v_cndmask_b32_e64 v24, 0, 1, s[22:23]
	v_add_u32_e32 v28, 1, v0
	v_cmp_gt_u32_e32 vcc, 2, v0
	v_cmp_ne_u32_e64 s[2:3], 1, v24
	s_waitcnt vmcnt(9)
	ds_write_b64 v81, v[6:7]
	s_waitcnt lgkmcnt(0)
	; wave barrier
	s_waitcnt lgkmcnt(0)
	s_and_saveexec_b64 s[22:23], vcc
	s_cbranch_execz .LBB10_160
; %bb.153:
	s_and_b64 vcc, exec, s[2:3]
	s_cbranch_vccnz .LBB10_155
; %bb.154:
	v_cmp_eq_u32_e32 vcc, 1, v0
	s_waitcnt vmcnt(1)
	v_cndmask_b32_e32 v24, v3, v5, vcc
	v_cmp_eq_u32_e64 s[4:5], 2, v0
	v_cndmask_b32_e64 v24, v24, v7, s[4:5]
	v_cmp_eq_u32_e64 s[6:7], 3, v0
	v_cndmask_b32_e64 v24, v24, v9, s[6:7]
	;; [unrolled: 2-line block ×8, first 2 shown]
	v_cmp_eq_u32_e64 s[20:21], 10, v0
	s_waitcnt vmcnt(0)
	v_cndmask_b32_e64 v25, v24, v23, s[20:21]
	v_cndmask_b32_e32 v24, v2, v4, vcc
	v_cndmask_b32_e64 v24, v24, v6, s[4:5]
	v_cndmask_b32_e64 v24, v24, v8, s[6:7]
	;; [unrolled: 1-line block ×5, first 2 shown]
	ds_read_b64 v[26:27], v81
	v_cndmask_b32_e64 v24, v24, v16, s[14:15]
	v_cndmask_b32_e64 v24, v24, v18, s[16:17]
	;; [unrolled: 1-line block ×4, first 2 shown]
	s_waitcnt lgkmcnt(0)
	v_mul_f64 v[24:25], v[24:25], v[26:27]
	s_cbranch_execz .LBB10_156
	s_branch .LBB10_157
.LBB10_155:
                                        ; implicit-def: $vgpr24_vgpr25
.LBB10_156:
	ds_read_b64 v[24:25], v81
.LBB10_157:
	s_and_saveexec_b64 s[24:25], s[0:1]
	s_cbranch_execz .LBB10_159
; %bb.158:
	v_cmp_eq_u32_e32 vcc, 1, v28
	s_waitcnt vmcnt(1)
	v_cndmask_b32_e32 v26, v3, v5, vcc
	v_cmp_eq_u32_e64 s[4:5], 2, v28
	v_cndmask_b32_e64 v7, v26, v7, s[4:5]
	v_cndmask_b32_e32 v26, v2, v4, vcc
	v_cmp_eq_u32_e64 s[6:7], 3, v28
	v_cndmask_b32_e64 v6, v26, v6, s[4:5]
	v_cndmask_b32_e64 v7, v7, v9, s[6:7]
	v_cmp_eq_u32_e64 s[8:9], 4, v28
	v_cndmask_b32_e64 v6, v6, v8, s[6:7]
	v_cndmask_b32_e64 v7, v7, v11, s[8:9]
	;; [unrolled: 3-line block ×4, first 2 shown]
	v_cmp_eq_u32_e64 s[14:15], 7, v28
	v_cndmask_b32_e64 v6, v6, v14, s[12:13]
	ds_read_b64 v[26:27], v81 offset:8
	v_cndmask_b32_e64 v7, v7, v17, s[14:15]
	v_cmp_eq_u32_e64 s[16:17], 8, v28
	v_cndmask_b32_e64 v6, v6, v16, s[14:15]
	v_cndmask_b32_e64 v7, v7, v19, s[16:17]
	v_cmp_eq_u32_e64 s[18:19], 9, v28
	v_cndmask_b32_e64 v6, v6, v18, s[16:17]
	;; [unrolled: 3-line block ×3, first 2 shown]
	s_waitcnt vmcnt(0)
	v_cndmask_b32_e64 v7, v7, v23, s[20:21]
	v_cndmask_b32_e64 v6, v6, v22, s[20:21]
	s_waitcnt lgkmcnt(0)
	v_fmac_f64_e32 v[24:25], v[6:7], v[26:27]
.LBB10_159:
	s_or_b64 exec, exec, s[24:25]
	v_mov_b32_e32 v6, 0
	ds_read_b64 v[6:7], v6 offset:16
	s_waitcnt lgkmcnt(0)
	v_mul_f64 v[6:7], v[24:25], v[6:7]
.LBB10_160:
	s_or_b64 exec, exec, s[22:23]
	v_cmp_gt_u32_e64 s[4:5], 3, v0
	s_waitcnt vmcnt(8)
	ds_write_b64 v81, v[8:9]
	s_waitcnt lgkmcnt(0)
	; wave barrier
	s_waitcnt lgkmcnt(0)
	s_and_saveexec_b64 s[24:25], s[4:5]
	s_cbranch_execz .LBB10_168
; %bb.161:
	s_and_b64 vcc, exec, s[2:3]
	s_cbranch_vccnz .LBB10_163
; %bb.162:
	v_cmp_eq_u32_e32 vcc, 1, v0
	s_waitcnt vmcnt(1)
	v_cndmask_b32_e32 v24, v3, v5, vcc
	v_cmp_eq_u32_e64 s[6:7], 2, v0
	v_cndmask_b32_e64 v24, v24, v7, s[6:7]
	v_cmp_eq_u32_e64 s[8:9], 3, v0
	v_cndmask_b32_e64 v24, v24, v9, s[8:9]
	;; [unrolled: 2-line block ×8, first 2 shown]
	v_cmp_eq_u32_e64 s[22:23], 10, v0
	s_waitcnt vmcnt(0)
	v_cndmask_b32_e64 v25, v24, v23, s[22:23]
	v_cndmask_b32_e32 v24, v2, v4, vcc
	v_cndmask_b32_e64 v24, v24, v6, s[6:7]
	v_cndmask_b32_e64 v24, v24, v8, s[8:9]
	;; [unrolled: 1-line block ×5, first 2 shown]
	ds_read_b64 v[26:27], v81
	v_cndmask_b32_e64 v24, v24, v16, s[16:17]
	v_cndmask_b32_e64 v24, v24, v18, s[18:19]
	;; [unrolled: 1-line block ×4, first 2 shown]
	s_waitcnt lgkmcnt(0)
	v_mul_f64 v[24:25], v[24:25], v[26:27]
	s_cbranch_execz .LBB10_164
	s_branch .LBB10_165
.LBB10_163:
                                        ; implicit-def: $vgpr24_vgpr25
.LBB10_164:
	ds_read_b64 v[24:25], v81
.LBB10_165:
	v_cmp_ne_u32_e32 vcc, 2, v0
	s_and_saveexec_b64 s[26:27], vcc
	s_cbranch_execz .LBB10_167
; %bb.166:
	v_cmp_eq_u32_e32 vcc, 1, v28
	s_waitcnt vmcnt(1)
	v_cndmask_b32_e32 v26, v3, v5, vcc
	v_cmp_eq_u32_e64 s[6:7], 2, v28
	v_cndmask_b32_e64 v26, v26, v7, s[6:7]
	v_cmp_eq_u32_e64 s[8:9], 3, v28
	v_cndmask_b32_e64 v9, v26, v9, s[8:9]
	v_cndmask_b32_e32 v26, v2, v4, vcc
	v_cndmask_b32_e64 v26, v26, v6, s[6:7]
	v_cmp_eq_u32_e64 s[10:11], 4, v28
	v_cndmask_b32_e64 v8, v26, v8, s[8:9]
	v_cndmask_b32_e64 v9, v9, v11, s[10:11]
	v_cmp_eq_u32_e64 s[12:13], 5, v28
	v_cndmask_b32_e64 v8, v8, v10, s[10:11]
	;; [unrolled: 3-line block ×5, first 2 shown]
	v_mov_b32_e32 v29, 0
	ds_read_b64 v[26:27], v81 offset:8
	ds_read_b64 v[30:31], v29 offset:112
	v_cndmask_b32_e64 v9, v9, v19, s[18:19]
	v_cmp_eq_u32_e64 s[20:21], 9, v28
	v_cndmask_b32_e64 v8, v8, v18, s[18:19]
	v_cndmask_b32_e64 v9, v9, v21, s[20:21]
	v_cmp_eq_u32_e64 s[22:23], 10, v28
	v_cndmask_b32_e64 v8, v8, v20, s[20:21]
	s_waitcnt vmcnt(0)
	v_cndmask_b32_e64 v9, v9, v23, s[22:23]
	v_cndmask_b32_e64 v8, v8, v22, s[22:23]
	s_waitcnt lgkmcnt(1)
	v_fmac_f64_e32 v[24:25], v[8:9], v[26:27]
	s_waitcnt lgkmcnt(0)
	v_fma_f64 v[8:9], v[6:7], v[30:31], v[24:25]
	v_cndmask_b32_e64 v25, v25, v9, s[0:1]
	v_cndmask_b32_e64 v24, v24, v8, s[0:1]
.LBB10_167:
	s_or_b64 exec, exec, s[26:27]
	v_mov_b32_e32 v8, 0
	ds_read_b64 v[8:9], v8 offset:24
	s_waitcnt lgkmcnt(0)
	v_mul_f64 v[8:9], v[24:25], v[8:9]
.LBB10_168:
	s_or_b64 exec, exec, s[24:25]
	v_cmp_gt_u32_e32 vcc, 4, v0
	s_waitcnt vmcnt(7)
	ds_write_b64 v81, v[10:11]
	s_waitcnt lgkmcnt(0)
	; wave barrier
	s_waitcnt lgkmcnt(0)
	s_and_saveexec_b64 s[24:25], vcc
	s_cbranch_execz .LBB10_178
; %bb.169:
	s_and_b64 vcc, exec, s[2:3]
	s_cbranch_vccnz .LBB10_171
; %bb.170:
	v_cmp_eq_u32_e32 vcc, 1, v0
	s_waitcnt vmcnt(1)
	v_cndmask_b32_e32 v24, v3, v5, vcc
	v_cmp_eq_u32_e64 s[6:7], 2, v0
	v_cndmask_b32_e64 v24, v24, v7, s[6:7]
	v_cmp_eq_u32_e64 s[8:9], 3, v0
	v_cndmask_b32_e64 v24, v24, v9, s[8:9]
	;; [unrolled: 2-line block ×8, first 2 shown]
	v_cmp_eq_u32_e64 s[22:23], 10, v0
	s_waitcnt vmcnt(0)
	v_cndmask_b32_e64 v25, v24, v23, s[22:23]
	v_cndmask_b32_e32 v24, v2, v4, vcc
	v_cndmask_b32_e64 v24, v24, v6, s[6:7]
	v_cndmask_b32_e64 v24, v24, v8, s[8:9]
	;; [unrolled: 1-line block ×5, first 2 shown]
	ds_read_b64 v[26:27], v81
	v_cndmask_b32_e64 v24, v24, v16, s[16:17]
	v_cndmask_b32_e64 v24, v24, v18, s[18:19]
	;; [unrolled: 1-line block ×4, first 2 shown]
	s_waitcnt lgkmcnt(0)
	v_mul_f64 v[24:25], v[24:25], v[26:27]
	s_cbranch_execz .LBB10_172
	s_branch .LBB10_173
.LBB10_171:
                                        ; implicit-def: $vgpr24_vgpr25
.LBB10_172:
	ds_read_b64 v[24:25], v81
.LBB10_173:
	v_cmp_ne_u32_e32 vcc, 3, v0
	s_and_saveexec_b64 s[10:11], vcc
	s_cbranch_execz .LBB10_177
; %bb.174:
	v_mov_b32_e32 v26, 0x68
	v_lshl_add_u32 v29, v0, 3, v26
	s_mov_b64 s[12:13], 0
	v_pk_mov_b32 v[26:27], v[0:1], v[0:1] op_sel:[0,1]
.LBB10_175:                             ; =>This Inner Loop Header: Depth=1
	v_add_co_u32_e32 v26, vcc, 1, v26
	v_addc_co_u32_e32 v27, vcc, 0, v27, vcc
	v_cmp_eq_u32_e32 vcc, 1, v26
	s_waitcnt vmcnt(1)
	v_cndmask_b32_e32 v32, v3, v5, vcc
	v_cmp_eq_u32_e64 s[8:9], 2, v26
	v_cmp_lt_u32_e64 s[6:7], 2, v26
	v_cndmask_b32_e64 v32, v32, v7, s[8:9]
	v_cndmask_b32_e32 v33, v2, v4, vcc
	v_cmp_eq_u32_e32 vcc, 3, v26
	s_or_b64 s[12:13], s[6:7], s[12:13]
	v_cndmask_b32_e32 v32, v32, v9, vcc
	v_cndmask_b32_e64 v33, v33, v6, s[8:9]
	v_cmp_eq_u32_e64 s[6:7], 4, v26
	v_cndmask_b32_e64 v32, v32, v11, s[6:7]
	v_cndmask_b32_e32 v33, v33, v8, vcc
	v_cmp_eq_u32_e32 vcc, 5, v26
	v_cndmask_b32_e32 v32, v32, v13, vcc
	v_cndmask_b32_e64 v33, v33, v10, s[6:7]
	v_cmp_eq_u32_e64 s[6:7], 6, v26
	v_cndmask_b32_e64 v32, v32, v15, s[6:7]
	v_cndmask_b32_e32 v33, v33, v12, vcc
	v_cmp_eq_u32_e32 vcc, 7, v26
	ds_read_b64 v[30:31], v29
	v_cndmask_b32_e32 v32, v32, v17, vcc
	v_cndmask_b32_e64 v33, v33, v14, s[6:7]
	v_cmp_eq_u32_e64 s[6:7], 8, v26
	v_cndmask_b32_e64 v32, v32, v19, s[6:7]
	v_cndmask_b32_e32 v33, v33, v16, vcc
	v_cmp_eq_u32_e32 vcc, 9, v26
	v_cndmask_b32_e32 v32, v32, v21, vcc
	v_cndmask_b32_e64 v34, v33, v18, s[6:7]
	v_cmp_eq_u32_e64 s[6:7], 10, v26
	s_waitcnt vmcnt(0)
	v_cndmask_b32_e64 v33, v32, v23, s[6:7]
	v_cndmask_b32_e32 v32, v34, v20, vcc
	v_cndmask_b32_e64 v32, v32, v22, s[6:7]
	v_add_u32_e32 v29, 8, v29
	s_waitcnt lgkmcnt(0)
	v_fmac_f64_e32 v[24:25], v[32:33], v[30:31]
	s_andn2_b64 exec, exec, s[12:13]
	s_cbranch_execnz .LBB10_175
; %bb.176:
	s_or_b64 exec, exec, s[12:13]
.LBB10_177:
	s_or_b64 exec, exec, s[10:11]
	v_mov_b32_e32 v10, 0
	ds_read_b64 v[10:11], v10 offset:32
	s_waitcnt lgkmcnt(0)
	v_mul_f64 v[10:11], v[24:25], v[10:11]
.LBB10_178:
	s_or_b64 exec, exec, s[24:25]
	v_cmp_gt_u32_e64 s[6:7], 5, v0
	s_waitcnt vmcnt(6)
	ds_write_b64 v81, v[12:13]
	s_waitcnt lgkmcnt(0)
	; wave barrier
	s_waitcnt lgkmcnt(0)
	s_and_saveexec_b64 s[26:27], s[6:7]
	s_cbranch_execz .LBB10_188
; %bb.179:
	s_and_b64 vcc, exec, s[2:3]
	s_cbranch_vccnz .LBB10_181
; %bb.180:
	v_cmp_eq_u32_e32 vcc, 1, v0
	s_waitcnt vmcnt(1)
	v_cndmask_b32_e32 v24, v3, v5, vcc
	v_cmp_eq_u32_e64 s[8:9], 2, v0
	v_cndmask_b32_e64 v24, v24, v7, s[8:9]
	v_cmp_eq_u32_e64 s[10:11], 3, v0
	v_cndmask_b32_e64 v24, v24, v9, s[10:11]
	;; [unrolled: 2-line block ×8, first 2 shown]
	v_cmp_eq_u32_e64 s[24:25], 10, v0
	s_waitcnt vmcnt(0)
	v_cndmask_b32_e64 v25, v24, v23, s[24:25]
	v_cndmask_b32_e32 v24, v2, v4, vcc
	v_cndmask_b32_e64 v24, v24, v6, s[8:9]
	v_cndmask_b32_e64 v24, v24, v8, s[10:11]
	;; [unrolled: 1-line block ×5, first 2 shown]
	ds_read_b64 v[26:27], v81
	v_cndmask_b32_e64 v24, v24, v16, s[18:19]
	v_cndmask_b32_e64 v24, v24, v18, s[20:21]
	;; [unrolled: 1-line block ×4, first 2 shown]
	s_waitcnt lgkmcnt(0)
	v_mul_f64 v[24:25], v[24:25], v[26:27]
	s_cbranch_execz .LBB10_182
	s_branch .LBB10_183
.LBB10_181:
                                        ; implicit-def: $vgpr24_vgpr25
.LBB10_182:
	ds_read_b64 v[24:25], v81
.LBB10_183:
	v_cmp_ne_u32_e32 vcc, 4, v0
	s_and_saveexec_b64 s[12:13], vcc
	s_cbranch_execz .LBB10_187
; %bb.184:
	v_mov_b32_e32 v26, 0x68
	v_lshl_add_u32 v29, v0, 3, v26
	s_mov_b64 s[14:15], 0
	v_pk_mov_b32 v[26:27], v[0:1], v[0:1] op_sel:[0,1]
.LBB10_185:                             ; =>This Inner Loop Header: Depth=1
	v_add_co_u32_e32 v26, vcc, 1, v26
	v_addc_co_u32_e32 v27, vcc, 0, v27, vcc
	v_cmp_eq_u32_e32 vcc, 1, v26
	s_waitcnt vmcnt(1)
	v_cndmask_b32_e32 v32, v3, v5, vcc
	v_cmp_eq_u32_e64 s[10:11], 2, v26
	v_cmp_lt_u32_e64 s[8:9], 3, v26
	v_cndmask_b32_e64 v32, v32, v7, s[10:11]
	v_cndmask_b32_e32 v33, v2, v4, vcc
	v_cmp_eq_u32_e32 vcc, 3, v26
	s_or_b64 s[14:15], s[8:9], s[14:15]
	v_cndmask_b32_e32 v32, v32, v9, vcc
	v_cndmask_b32_e64 v33, v33, v6, s[10:11]
	v_cmp_eq_u32_e64 s[8:9], 4, v26
	v_cndmask_b32_e64 v32, v32, v11, s[8:9]
	v_cndmask_b32_e32 v33, v33, v8, vcc
	v_cmp_eq_u32_e32 vcc, 5, v26
	v_cndmask_b32_e32 v32, v32, v13, vcc
	v_cndmask_b32_e64 v33, v33, v10, s[8:9]
	v_cmp_eq_u32_e64 s[8:9], 6, v26
	v_cndmask_b32_e64 v32, v32, v15, s[8:9]
	v_cndmask_b32_e32 v33, v33, v12, vcc
	v_cmp_eq_u32_e32 vcc, 7, v26
	ds_read_b64 v[30:31], v29
	v_cndmask_b32_e32 v32, v32, v17, vcc
	v_cndmask_b32_e64 v33, v33, v14, s[8:9]
	v_cmp_eq_u32_e64 s[8:9], 8, v26
	v_cndmask_b32_e64 v32, v32, v19, s[8:9]
	v_cndmask_b32_e32 v33, v33, v16, vcc
	v_cmp_eq_u32_e32 vcc, 9, v26
	v_cndmask_b32_e32 v32, v32, v21, vcc
	v_cndmask_b32_e64 v34, v33, v18, s[8:9]
	v_cmp_eq_u32_e64 s[8:9], 10, v26
	s_waitcnt vmcnt(0)
	v_cndmask_b32_e64 v33, v32, v23, s[8:9]
	v_cndmask_b32_e32 v32, v34, v20, vcc
	v_cndmask_b32_e64 v32, v32, v22, s[8:9]
	v_add_u32_e32 v29, 8, v29
	s_waitcnt lgkmcnt(0)
	v_fmac_f64_e32 v[24:25], v[32:33], v[30:31]
	s_andn2_b64 exec, exec, s[14:15]
	s_cbranch_execnz .LBB10_185
; %bb.186:
	s_or_b64 exec, exec, s[14:15]
.LBB10_187:
	s_or_b64 exec, exec, s[12:13]
	v_mov_b32_e32 v12, 0
	ds_read_b64 v[12:13], v12 offset:40
	s_waitcnt lgkmcnt(0)
	v_mul_f64 v[12:13], v[24:25], v[12:13]
.LBB10_188:
	s_or_b64 exec, exec, s[26:27]
	v_cmp_gt_u32_e32 vcc, 6, v0
	s_waitcnt vmcnt(5)
	ds_write_b64 v81, v[14:15]
	s_waitcnt lgkmcnt(0)
	; wave barrier
	s_waitcnt lgkmcnt(0)
	s_and_saveexec_b64 s[26:27], vcc
	s_cbranch_execz .LBB10_198
; %bb.189:
	s_and_b64 vcc, exec, s[2:3]
	s_cbranch_vccnz .LBB10_191
; %bb.190:
	v_cmp_eq_u32_e32 vcc, 1, v0
	s_waitcnt vmcnt(1)
	v_cndmask_b32_e32 v24, v3, v5, vcc
	v_cmp_eq_u32_e64 s[8:9], 2, v0
	v_cndmask_b32_e64 v24, v24, v7, s[8:9]
	v_cmp_eq_u32_e64 s[10:11], 3, v0
	v_cndmask_b32_e64 v24, v24, v9, s[10:11]
	;; [unrolled: 2-line block ×8, first 2 shown]
	v_cmp_eq_u32_e64 s[24:25], 10, v0
	s_waitcnt vmcnt(0)
	v_cndmask_b32_e64 v25, v24, v23, s[24:25]
	v_cndmask_b32_e32 v24, v2, v4, vcc
	v_cndmask_b32_e64 v24, v24, v6, s[8:9]
	v_cndmask_b32_e64 v24, v24, v8, s[10:11]
	;; [unrolled: 1-line block ×5, first 2 shown]
	ds_read_b64 v[26:27], v81
	v_cndmask_b32_e64 v24, v24, v16, s[18:19]
	v_cndmask_b32_e64 v24, v24, v18, s[20:21]
	;; [unrolled: 1-line block ×4, first 2 shown]
	s_waitcnt lgkmcnt(0)
	v_mul_f64 v[24:25], v[24:25], v[26:27]
	s_cbranch_execz .LBB10_192
	s_branch .LBB10_193
.LBB10_191:
                                        ; implicit-def: $vgpr24_vgpr25
.LBB10_192:
	ds_read_b64 v[24:25], v81
.LBB10_193:
	v_cmp_ne_u32_e32 vcc, 5, v0
	s_and_saveexec_b64 s[12:13], vcc
	s_cbranch_execz .LBB10_197
; %bb.194:
	v_mov_b32_e32 v26, 0x68
	v_lshl_add_u32 v29, v0, 3, v26
	s_mov_b64 s[14:15], 0
	v_pk_mov_b32 v[26:27], v[0:1], v[0:1] op_sel:[0,1]
.LBB10_195:                             ; =>This Inner Loop Header: Depth=1
	v_add_co_u32_e32 v26, vcc, 1, v26
	v_addc_co_u32_e32 v27, vcc, 0, v27, vcc
	v_cmp_eq_u32_e32 vcc, 1, v26
	s_waitcnt vmcnt(1)
	v_cndmask_b32_e32 v32, v3, v5, vcc
	v_cmp_eq_u32_e64 s[10:11], 2, v26
	v_cmp_lt_u32_e64 s[8:9], 4, v26
	v_cndmask_b32_e64 v32, v32, v7, s[10:11]
	v_cndmask_b32_e32 v33, v2, v4, vcc
	v_cmp_eq_u32_e32 vcc, 3, v26
	s_or_b64 s[14:15], s[8:9], s[14:15]
	v_cndmask_b32_e32 v32, v32, v9, vcc
	v_cndmask_b32_e64 v33, v33, v6, s[10:11]
	v_cmp_eq_u32_e64 s[8:9], 4, v26
	v_cndmask_b32_e64 v32, v32, v11, s[8:9]
	v_cndmask_b32_e32 v33, v33, v8, vcc
	v_cmp_eq_u32_e32 vcc, 5, v26
	v_cndmask_b32_e32 v32, v32, v13, vcc
	v_cndmask_b32_e64 v33, v33, v10, s[8:9]
	v_cmp_eq_u32_e64 s[8:9], 6, v26
	v_cndmask_b32_e64 v32, v32, v15, s[8:9]
	v_cndmask_b32_e32 v33, v33, v12, vcc
	v_cmp_eq_u32_e32 vcc, 7, v26
	ds_read_b64 v[30:31], v29
	v_cndmask_b32_e32 v32, v32, v17, vcc
	v_cndmask_b32_e64 v33, v33, v14, s[8:9]
	v_cmp_eq_u32_e64 s[8:9], 8, v26
	v_cndmask_b32_e64 v32, v32, v19, s[8:9]
	v_cndmask_b32_e32 v33, v33, v16, vcc
	v_cmp_eq_u32_e32 vcc, 9, v26
	v_cndmask_b32_e32 v32, v32, v21, vcc
	v_cndmask_b32_e64 v34, v33, v18, s[8:9]
	v_cmp_eq_u32_e64 s[8:9], 10, v26
	s_waitcnt vmcnt(0)
	v_cndmask_b32_e64 v33, v32, v23, s[8:9]
	v_cndmask_b32_e32 v32, v34, v20, vcc
	v_cndmask_b32_e64 v32, v32, v22, s[8:9]
	v_add_u32_e32 v29, 8, v29
	s_waitcnt lgkmcnt(0)
	v_fmac_f64_e32 v[24:25], v[32:33], v[30:31]
	s_andn2_b64 exec, exec, s[14:15]
	s_cbranch_execnz .LBB10_195
; %bb.196:
	s_or_b64 exec, exec, s[14:15]
.LBB10_197:
	s_or_b64 exec, exec, s[12:13]
	v_mov_b32_e32 v14, 0
	ds_read_b64 v[14:15], v14 offset:48
	s_waitcnt lgkmcnt(0)
	v_mul_f64 v[14:15], v[24:25], v[14:15]
.LBB10_198:
	s_or_b64 exec, exec, s[26:27]
	v_cmp_gt_u32_e64 s[8:9], 7, v0
	s_waitcnt vmcnt(4)
	ds_write_b64 v81, v[16:17]
	s_waitcnt lgkmcnt(0)
	; wave barrier
	s_waitcnt lgkmcnt(0)
	s_and_saveexec_b64 s[28:29], s[8:9]
	s_cbranch_execz .LBB10_208
; %bb.199:
	s_and_b64 vcc, exec, s[2:3]
	s_cbranch_vccnz .LBB10_201
; %bb.200:
	v_cmp_eq_u32_e32 vcc, 1, v0
	s_waitcnt vmcnt(1)
	v_cndmask_b32_e32 v24, v3, v5, vcc
	v_cmp_eq_u32_e64 s[10:11], 2, v0
	v_cndmask_b32_e64 v24, v24, v7, s[10:11]
	v_cmp_eq_u32_e64 s[12:13], 3, v0
	v_cndmask_b32_e64 v24, v24, v9, s[12:13]
	;; [unrolled: 2-line block ×8, first 2 shown]
	v_cmp_eq_u32_e64 s[26:27], 10, v0
	s_waitcnt vmcnt(0)
	v_cndmask_b32_e64 v25, v24, v23, s[26:27]
	v_cndmask_b32_e32 v24, v2, v4, vcc
	v_cndmask_b32_e64 v24, v24, v6, s[10:11]
	v_cndmask_b32_e64 v24, v24, v8, s[12:13]
	;; [unrolled: 1-line block ×5, first 2 shown]
	ds_read_b64 v[26:27], v81
	v_cndmask_b32_e64 v24, v24, v16, s[20:21]
	v_cndmask_b32_e64 v24, v24, v18, s[22:23]
	;; [unrolled: 1-line block ×4, first 2 shown]
	s_waitcnt lgkmcnt(0)
	v_mul_f64 v[24:25], v[24:25], v[26:27]
	s_cbranch_execz .LBB10_202
	s_branch .LBB10_203
.LBB10_201:
                                        ; implicit-def: $vgpr24_vgpr25
.LBB10_202:
	ds_read_b64 v[24:25], v81
.LBB10_203:
	v_cmp_ne_u32_e32 vcc, 6, v0
	s_and_saveexec_b64 s[14:15], vcc
	s_cbranch_execz .LBB10_207
; %bb.204:
	v_mov_b32_e32 v26, 0x68
	v_lshl_add_u32 v29, v0, 3, v26
	s_mov_b64 s[16:17], 0
	v_pk_mov_b32 v[26:27], v[0:1], v[0:1] op_sel:[0,1]
.LBB10_205:                             ; =>This Inner Loop Header: Depth=1
	v_add_co_u32_e32 v26, vcc, 1, v26
	v_addc_co_u32_e32 v27, vcc, 0, v27, vcc
	v_cmp_eq_u32_e32 vcc, 1, v26
	s_waitcnt vmcnt(1)
	v_cndmask_b32_e32 v32, v3, v5, vcc
	v_cmp_eq_u32_e64 s[12:13], 2, v26
	v_cmp_lt_u32_e64 s[10:11], 5, v26
	v_cndmask_b32_e64 v32, v32, v7, s[12:13]
	v_cndmask_b32_e32 v33, v2, v4, vcc
	v_cmp_eq_u32_e32 vcc, 3, v26
	s_or_b64 s[16:17], s[10:11], s[16:17]
	v_cndmask_b32_e32 v32, v32, v9, vcc
	v_cndmask_b32_e64 v33, v33, v6, s[12:13]
	v_cmp_eq_u32_e64 s[10:11], 4, v26
	v_cndmask_b32_e64 v32, v32, v11, s[10:11]
	v_cndmask_b32_e32 v33, v33, v8, vcc
	v_cmp_eq_u32_e32 vcc, 5, v26
	v_cndmask_b32_e32 v32, v32, v13, vcc
	v_cndmask_b32_e64 v33, v33, v10, s[10:11]
	v_cmp_eq_u32_e64 s[10:11], 6, v26
	v_cndmask_b32_e64 v32, v32, v15, s[10:11]
	v_cndmask_b32_e32 v33, v33, v12, vcc
	v_cmp_eq_u32_e32 vcc, 7, v26
	ds_read_b64 v[30:31], v29
	v_cndmask_b32_e32 v32, v32, v17, vcc
	v_cndmask_b32_e64 v33, v33, v14, s[10:11]
	v_cmp_eq_u32_e64 s[10:11], 8, v26
	v_cndmask_b32_e64 v32, v32, v19, s[10:11]
	v_cndmask_b32_e32 v33, v33, v16, vcc
	v_cmp_eq_u32_e32 vcc, 9, v26
	v_cndmask_b32_e32 v32, v32, v21, vcc
	v_cndmask_b32_e64 v34, v33, v18, s[10:11]
	v_cmp_eq_u32_e64 s[10:11], 10, v26
	s_waitcnt vmcnt(0)
	v_cndmask_b32_e64 v33, v32, v23, s[10:11]
	v_cndmask_b32_e32 v32, v34, v20, vcc
	v_cndmask_b32_e64 v32, v32, v22, s[10:11]
	v_add_u32_e32 v29, 8, v29
	s_waitcnt lgkmcnt(0)
	v_fmac_f64_e32 v[24:25], v[32:33], v[30:31]
	s_andn2_b64 exec, exec, s[16:17]
	s_cbranch_execnz .LBB10_205
; %bb.206:
	s_or_b64 exec, exec, s[16:17]
.LBB10_207:
	s_or_b64 exec, exec, s[14:15]
	v_mov_b32_e32 v16, 0
	ds_read_b64 v[16:17], v16 offset:56
	s_waitcnt lgkmcnt(0)
	v_mul_f64 v[16:17], v[24:25], v[16:17]
.LBB10_208:
	s_or_b64 exec, exec, s[28:29]
	v_cmp_gt_u32_e32 vcc, 8, v0
	s_waitcnt vmcnt(3)
	ds_write_b64 v81, v[18:19]
	s_waitcnt lgkmcnt(0)
	; wave barrier
	s_waitcnt lgkmcnt(0)
	s_and_saveexec_b64 s[28:29], vcc
	s_cbranch_execz .LBB10_218
; %bb.209:
	s_and_b64 vcc, exec, s[2:3]
	s_cbranch_vccnz .LBB10_211
; %bb.210:
	v_cmp_eq_u32_e32 vcc, 1, v0
	s_waitcnt vmcnt(1)
	v_cndmask_b32_e32 v24, v3, v5, vcc
	v_cmp_eq_u32_e64 s[10:11], 2, v0
	v_cndmask_b32_e64 v24, v24, v7, s[10:11]
	v_cmp_eq_u32_e64 s[12:13], 3, v0
	v_cndmask_b32_e64 v24, v24, v9, s[12:13]
	;; [unrolled: 2-line block ×8, first 2 shown]
	v_cmp_eq_u32_e64 s[26:27], 10, v0
	s_waitcnt vmcnt(0)
	v_cndmask_b32_e64 v25, v24, v23, s[26:27]
	v_cndmask_b32_e32 v24, v2, v4, vcc
	v_cndmask_b32_e64 v24, v24, v6, s[10:11]
	v_cndmask_b32_e64 v24, v24, v8, s[12:13]
	;; [unrolled: 1-line block ×5, first 2 shown]
	ds_read_b64 v[26:27], v81
	v_cndmask_b32_e64 v24, v24, v16, s[20:21]
	v_cndmask_b32_e64 v24, v24, v18, s[22:23]
	;; [unrolled: 1-line block ×4, first 2 shown]
	s_waitcnt lgkmcnt(0)
	v_mul_f64 v[24:25], v[24:25], v[26:27]
	s_cbranch_execz .LBB10_212
	s_branch .LBB10_213
.LBB10_211:
                                        ; implicit-def: $vgpr24_vgpr25
.LBB10_212:
	ds_read_b64 v[24:25], v81
.LBB10_213:
	v_cmp_ne_u32_e32 vcc, 7, v0
	s_and_saveexec_b64 s[14:15], vcc
	s_cbranch_execz .LBB10_217
; %bb.214:
	v_mov_b32_e32 v26, 0x68
	v_lshl_add_u32 v29, v0, 3, v26
	s_mov_b64 s[16:17], 0
	v_pk_mov_b32 v[26:27], v[0:1], v[0:1] op_sel:[0,1]
.LBB10_215:                             ; =>This Inner Loop Header: Depth=1
	v_add_co_u32_e32 v26, vcc, 1, v26
	v_addc_co_u32_e32 v27, vcc, 0, v27, vcc
	v_cmp_eq_u32_e32 vcc, 1, v26
	s_waitcnt vmcnt(1)
	v_cndmask_b32_e32 v32, v3, v5, vcc
	v_cmp_eq_u32_e64 s[12:13], 2, v26
	v_cmp_lt_u32_e64 s[10:11], 6, v26
	v_cndmask_b32_e64 v32, v32, v7, s[12:13]
	v_cndmask_b32_e32 v33, v2, v4, vcc
	v_cmp_eq_u32_e32 vcc, 3, v26
	s_or_b64 s[16:17], s[10:11], s[16:17]
	v_cndmask_b32_e32 v32, v32, v9, vcc
	v_cndmask_b32_e64 v33, v33, v6, s[12:13]
	v_cmp_eq_u32_e64 s[10:11], 4, v26
	v_cndmask_b32_e64 v32, v32, v11, s[10:11]
	v_cndmask_b32_e32 v33, v33, v8, vcc
	v_cmp_eq_u32_e32 vcc, 5, v26
	v_cndmask_b32_e32 v32, v32, v13, vcc
	v_cndmask_b32_e64 v33, v33, v10, s[10:11]
	v_cmp_eq_u32_e64 s[10:11], 6, v26
	v_cndmask_b32_e64 v32, v32, v15, s[10:11]
	v_cndmask_b32_e32 v33, v33, v12, vcc
	v_cmp_eq_u32_e32 vcc, 7, v26
	ds_read_b64 v[30:31], v29
	v_cndmask_b32_e32 v32, v32, v17, vcc
	v_cndmask_b32_e64 v33, v33, v14, s[10:11]
	v_cmp_eq_u32_e64 s[10:11], 8, v26
	v_cndmask_b32_e64 v32, v32, v19, s[10:11]
	v_cndmask_b32_e32 v33, v33, v16, vcc
	v_cmp_eq_u32_e32 vcc, 9, v26
	v_cndmask_b32_e32 v32, v32, v21, vcc
	v_cndmask_b32_e64 v34, v33, v18, s[10:11]
	v_cmp_eq_u32_e64 s[10:11], 10, v26
	s_waitcnt vmcnt(0)
	v_cndmask_b32_e64 v33, v32, v23, s[10:11]
	v_cndmask_b32_e32 v32, v34, v20, vcc
	v_cndmask_b32_e64 v32, v32, v22, s[10:11]
	v_add_u32_e32 v29, 8, v29
	s_waitcnt lgkmcnt(0)
	v_fmac_f64_e32 v[24:25], v[32:33], v[30:31]
	s_andn2_b64 exec, exec, s[16:17]
	s_cbranch_execnz .LBB10_215
; %bb.216:
	s_or_b64 exec, exec, s[16:17]
.LBB10_217:
	s_or_b64 exec, exec, s[14:15]
	v_mov_b32_e32 v18, 0
	ds_read_b64 v[18:19], v18 offset:64
	s_waitcnt lgkmcnt(0)
	v_mul_f64 v[18:19], v[24:25], v[18:19]
.LBB10_218:
	s_or_b64 exec, exec, s[28:29]
	v_cmp_gt_u32_e64 s[10:11], 9, v0
	s_waitcnt vmcnt(2)
	ds_write_b64 v81, v[20:21]
	s_waitcnt lgkmcnt(0)
	; wave barrier
	s_waitcnt lgkmcnt(0)
	s_and_saveexec_b64 s[30:31], s[10:11]
	s_cbranch_execz .LBB10_240
; %bb.219:
	s_and_b64 vcc, exec, s[2:3]
	s_cbranch_vccnz .LBB10_221
; %bb.220:
	v_cmp_eq_u32_e32 vcc, 1, v0
	s_waitcnt vmcnt(1)
	v_cndmask_b32_e32 v24, v3, v5, vcc
	v_cmp_eq_u32_e64 s[12:13], 2, v0
	v_cndmask_b32_e64 v24, v24, v7, s[12:13]
	v_cmp_eq_u32_e64 s[14:15], 3, v0
	v_cndmask_b32_e64 v24, v24, v9, s[14:15]
	;; [unrolled: 2-line block ×8, first 2 shown]
	v_cmp_eq_u32_e64 s[28:29], 10, v0
	s_waitcnt vmcnt(0)
	v_cndmask_b32_e64 v25, v24, v23, s[28:29]
	v_cndmask_b32_e32 v24, v2, v4, vcc
	v_cndmask_b32_e64 v24, v24, v6, s[12:13]
	v_cndmask_b32_e64 v24, v24, v8, s[14:15]
	;; [unrolled: 1-line block ×5, first 2 shown]
	ds_read_b64 v[26:27], v81
	v_cndmask_b32_e64 v24, v24, v16, s[22:23]
	v_cndmask_b32_e64 v24, v24, v18, s[24:25]
	;; [unrolled: 1-line block ×4, first 2 shown]
	s_waitcnt lgkmcnt(0)
	v_mul_f64 v[24:25], v[24:25], v[26:27]
	s_cbranch_execz .LBB10_222
	s_branch .LBB10_223
.LBB10_221:
                                        ; implicit-def: $vgpr24_vgpr25
.LBB10_222:
	ds_read_b64 v[24:25], v81
.LBB10_223:
	v_cmp_ne_u32_e32 vcc, 8, v0
	s_and_saveexec_b64 s[34:35], vcc
	s_cbranch_execz .LBB10_239
; %bb.224:
	v_cmp_eq_u32_e32 vcc, 1, v28
	s_waitcnt vmcnt(1)
	v_cndmask_b32_e32 v26, v3, v5, vcc
	v_cmp_eq_u32_e64 s[12:13], 2, v28
	v_cndmask_b32_e64 v26, v26, v7, s[12:13]
	v_cmp_eq_u32_e64 s[14:15], 3, v28
	v_cndmask_b32_e64 v26, v26, v9, s[14:15]
	;; [unrolled: 2-line block ×8, first 2 shown]
	v_cmp_eq_u32_e64 s[28:29], 10, v28
	s_waitcnt vmcnt(0)
	v_cndmask_b32_e64 v27, v26, v23, s[28:29]
	v_cndmask_b32_e32 v26, v2, v4, vcc
	v_cndmask_b32_e64 v26, v26, v6, s[12:13]
	v_cndmask_b32_e64 v26, v26, v8, s[14:15]
	;; [unrolled: 1-line block ×5, first 2 shown]
	ds_read_b64 v[28:29], v81 offset:8
	v_cndmask_b32_e64 v26, v26, v16, s[22:23]
	v_cndmask_b32_e64 v26, v26, v18, s[24:25]
	;; [unrolled: 1-line block ×4, first 2 shown]
	s_waitcnt lgkmcnt(0)
	v_fmac_f64_e32 v[24:25], v[26:27], v[28:29]
	s_and_saveexec_b64 s[28:29], s[8:9]
	s_cbranch_execz .LBB10_238
; %bb.225:
	v_add_u32_e32 v26, 2, v0
	v_cmp_eq_u32_e32 vcc, 1, v26
	v_cndmask_b32_e32 v27, v3, v5, vcc
	v_cmp_eq_u32_e64 s[8:9], 2, v26
	v_cmp_eq_u32_e64 s[12:13], 3, v26
	;; [unrolled: 1-line block ×9, first 2 shown]
	v_cndmask_b32_e32 v26, v2, v4, vcc
	v_cndmask_b32_e64 v27, v27, v7, s[8:9]
	v_cndmask_b32_e64 v26, v26, v6, s[8:9]
	;; [unrolled: 1-line block ×10, first 2 shown]
	ds_read_b64 v[28:29], v81 offset:16
	v_cndmask_b32_e64 v27, v27, v17, s[20:21]
	v_cndmask_b32_e64 v26, v26, v16, s[20:21]
	;; [unrolled: 1-line block ×8, first 2 shown]
	s_waitcnt lgkmcnt(0)
	v_fmac_f64_e32 v[24:25], v[26:27], v[28:29]
	v_cmp_ne_u32_e32 vcc, 6, v0
	s_and_saveexec_b64 s[36:37], vcc
	s_cbranch_execz .LBB10_237
; %bb.226:
	v_add_u32_e32 v26, 3, v0
	v_cmp_eq_u32_e32 vcc, 1, v26
	v_cndmask_b32_e32 v27, v3, v5, vcc
	v_cmp_eq_u32_e64 s[8:9], 2, v26
	v_cmp_eq_u32_e64 s[12:13], 3, v26
	;; [unrolled: 1-line block ×9, first 2 shown]
	v_cndmask_b32_e32 v26, v2, v4, vcc
	v_cndmask_b32_e64 v27, v27, v7, s[8:9]
	v_cndmask_b32_e64 v26, v26, v6, s[8:9]
	;; [unrolled: 1-line block ×10, first 2 shown]
	ds_read_b64 v[28:29], v81 offset:24
	v_cndmask_b32_e64 v27, v27, v17, s[20:21]
	v_cndmask_b32_e64 v26, v26, v16, s[20:21]
	v_cndmask_b32_e64 v27, v27, v19, s[22:23]
	v_cndmask_b32_e64 v26, v26, v18, s[22:23]
	v_cndmask_b32_e64 v27, v27, v21, s[24:25]
	v_cndmask_b32_e64 v26, v26, v20, s[24:25]
	v_cndmask_b32_e64 v27, v27, v23, s[26:27]
	v_cndmask_b32_e64 v26, v26, v22, s[26:27]
	s_waitcnt lgkmcnt(0)
	v_fmac_f64_e32 v[24:25], v[26:27], v[28:29]
	s_and_saveexec_b64 s[26:27], s[6:7]
	s_cbranch_execz .LBB10_236
; %bb.227:
	v_add_u32_e32 v26, 4, v0
	v_cmp_eq_u32_e32 vcc, 1, v26
	v_cndmask_b32_e32 v27, v3, v5, vcc
	v_cmp_eq_u32_e64 s[6:7], 2, v26
	v_cmp_eq_u32_e64 s[8:9], 3, v26
	v_cmp_eq_u32_e64 s[12:13], 4, v26
	v_cmp_eq_u32_e64 s[14:15], 5, v26
	v_cmp_eq_u32_e64 s[16:17], 6, v26
	v_cmp_eq_u32_e64 s[18:19], 7, v26
	v_cmp_eq_u32_e64 s[20:21], 8, v26
	v_cmp_eq_u32_e64 s[22:23], 9, v26
	v_cmp_eq_u32_e64 s[24:25], 10, v26
	v_cndmask_b32_e32 v26, v2, v4, vcc
	v_cndmask_b32_e64 v27, v27, v7, s[6:7]
	v_cndmask_b32_e64 v26, v26, v6, s[6:7]
	;; [unrolled: 1-line block ×10, first 2 shown]
	ds_read_b64 v[28:29], v81 offset:32
	v_cndmask_b32_e64 v27, v27, v17, s[18:19]
	v_cndmask_b32_e64 v26, v26, v16, s[18:19]
	;; [unrolled: 1-line block ×8, first 2 shown]
	s_waitcnt lgkmcnt(0)
	v_fmac_f64_e32 v[24:25], v[26:27], v[28:29]
	v_cmp_ne_u32_e32 vcc, 4, v0
	s_and_saveexec_b64 s[38:39], vcc
	s_cbranch_execz .LBB10_235
; %bb.228:
	v_add_u32_e32 v26, 5, v0
	v_cmp_eq_u32_e32 vcc, 1, v26
	v_cndmask_b32_e32 v27, v3, v5, vcc
	v_cmp_eq_u32_e64 s[6:7], 2, v26
	v_cmp_eq_u32_e64 s[8:9], 3, v26
	;; [unrolled: 1-line block ×9, first 2 shown]
	v_cndmask_b32_e32 v26, v2, v4, vcc
	v_cndmask_b32_e64 v27, v27, v7, s[6:7]
	v_cndmask_b32_e64 v26, v26, v6, s[6:7]
	;; [unrolled: 1-line block ×10, first 2 shown]
	ds_read_b64 v[28:29], v81 offset:40
	v_cndmask_b32_e64 v27, v27, v17, s[18:19]
	v_cndmask_b32_e64 v26, v26, v16, s[18:19]
	;; [unrolled: 1-line block ×8, first 2 shown]
	s_waitcnt lgkmcnt(0)
	v_fmac_f64_e32 v[24:25], v[26:27], v[28:29]
	s_and_saveexec_b64 s[24:25], s[4:5]
	s_cbranch_execz .LBB10_234
; %bb.229:
	v_add_u32_e32 v26, 6, v0
	v_cmp_eq_u32_e32 vcc, 1, v26
	v_cndmask_b32_e32 v27, v3, v5, vcc
	v_cmp_eq_u32_e64 s[4:5], 2, v26
	v_cmp_eq_u32_e64 s[6:7], 3, v26
	;; [unrolled: 1-line block ×9, first 2 shown]
	v_cndmask_b32_e32 v26, v2, v4, vcc
	v_cndmask_b32_e64 v27, v27, v7, s[4:5]
	v_cndmask_b32_e64 v26, v26, v6, s[4:5]
	;; [unrolled: 1-line block ×10, first 2 shown]
	ds_read_b64 v[28:29], v81 offset:48
	v_cndmask_b32_e64 v27, v27, v17, s[16:17]
	v_cndmask_b32_e64 v26, v26, v16, s[16:17]
	v_cndmask_b32_e64 v27, v27, v19, s[18:19]
	v_cndmask_b32_e64 v26, v26, v18, s[18:19]
	v_cndmask_b32_e64 v27, v27, v21, s[20:21]
	v_cndmask_b32_e64 v26, v26, v20, s[20:21]
	v_cndmask_b32_e64 v27, v27, v23, s[22:23]
	v_cndmask_b32_e64 v26, v26, v22, s[22:23]
	s_waitcnt lgkmcnt(0)
	v_fmac_f64_e32 v[24:25], v[26:27], v[28:29]
	v_cmp_ne_u32_e32 vcc, 2, v0
	s_and_saveexec_b64 s[40:41], vcc
	s_cbranch_execz .LBB10_233
; %bb.230:
	v_add_u32_e32 v26, 7, v0
	v_cmp_eq_u32_e32 vcc, 1, v26
	v_cndmask_b32_e32 v27, v3, v5, vcc
	v_cmp_eq_u32_e64 s[4:5], 2, v26
	v_cndmask_b32_e64 v27, v27, v7, s[4:5]
	v_cmp_eq_u32_e64 s[6:7], 3, v26
	v_cndmask_b32_e64 v27, v27, v9, s[6:7]
	;; [unrolled: 2-line block ×3, first 2 shown]
	v_cmp_eq_u32_e64 s[12:13], 5, v26
	v_cmp_eq_u32_e64 s[14:15], 6, v26
	;; [unrolled: 1-line block ×6, first 2 shown]
	v_cndmask_b32_e32 v26, v2, v4, vcc
	v_cndmask_b32_e64 v27, v27, v13, s[12:13]
	v_cndmask_b32_e64 v26, v26, v6, s[4:5]
	v_cndmask_b32_e64 v27, v27, v15, s[14:15]
	v_cndmask_b32_e64 v26, v26, v8, s[6:7]
	v_cndmask_b32_e64 v27, v27, v17, s[16:17]
	v_cndmask_b32_e64 v26, v26, v10, s[8:9]
	v_cndmask_b32_e64 v27, v27, v19, s[18:19]
	v_cndmask_b32_e64 v26, v26, v12, s[12:13]
	v_cndmask_b32_e64 v21, v27, v21, s[20:21]
	v_cndmask_b32_e64 v28, v26, v14, s[14:15]
	ds_read_b64 v[26:27], v81 offset:56
	v_cndmask_b32_e64 v28, v28, v16, s[16:17]
	v_cndmask_b32_e64 v28, v28, v18, s[18:19]
	;; [unrolled: 1-line block ×5, first 2 shown]
	s_waitcnt lgkmcnt(0)
	v_fmac_f64_e32 v[24:25], v[20:21], v[26:27]
	s_and_saveexec_b64 s[4:5], s[0:1]
	s_cbranch_execz .LBB10_232
; %bb.231:
	ds_read_b64 v[20:21], v81 offset:64
	s_waitcnt lgkmcnt(0)
	v_fmac_f64_e32 v[24:25], v[18:19], v[20:21]
.LBB10_232:
	s_or_b64 exec, exec, s[4:5]
.LBB10_233:
	s_or_b64 exec, exec, s[40:41]
.LBB10_234:
	s_or_b64 exec, exec, s[24:25]
.LBB10_235:
	s_or_b64 exec, exec, s[38:39]
.LBB10_236:
	s_or_b64 exec, exec, s[26:27]
.LBB10_237:
	s_or_b64 exec, exec, s[36:37]
.LBB10_238:
	s_or_b64 exec, exec, s[28:29]
.LBB10_239:
	s_or_b64 exec, exec, s[34:35]
	v_mov_b32_e32 v20, 0
	ds_read_b64 v[20:21], v20 offset:72
	s_waitcnt lgkmcnt(0)
	v_mul_f64 v[20:21], v[24:25], v[20:21]
.LBB10_240:
	s_or_b64 exec, exec, s[30:31]
	v_cmp_ne_u32_e32 vcc, 10, v0
	s_waitcnt vmcnt(0)
	ds_write_b64 v81, v[22:23]
	s_waitcnt lgkmcnt(0)
	; wave barrier
	s_waitcnt lgkmcnt(0)
	s_and_saveexec_b64 s[20:21], vcc
	s_cbranch_execz .LBB10_250
; %bb.241:
	s_and_b64 vcc, exec, s[2:3]
	s_cbranch_vccnz .LBB10_243
; %bb.242:
	v_cmp_eq_u32_e32 vcc, 1, v0
	v_cndmask_b32_e32 v24, v3, v5, vcc
	v_cmp_eq_u32_e64 s[0:1], 2, v0
	v_cndmask_b32_e64 v24, v24, v7, s[0:1]
	v_cmp_eq_u32_e64 s[2:3], 3, v0
	v_cndmask_b32_e64 v24, v24, v9, s[2:3]
	;; [unrolled: 2-line block ×9, first 2 shown]
	v_cndmask_b32_e32 v24, v2, v4, vcc
	v_cndmask_b32_e64 v24, v24, v6, s[0:1]
	v_cndmask_b32_e64 v24, v24, v8, s[2:3]
	v_cndmask_b32_e64 v24, v24, v10, s[4:5]
	v_cndmask_b32_e64 v24, v24, v12, s[6:7]
	v_cndmask_b32_e64 v24, v24, v14, s[8:9]
	ds_read_b64 v[26:27], v81
	v_cndmask_b32_e64 v24, v24, v16, s[12:13]
	v_cndmask_b32_e64 v24, v24, v18, s[14:15]
	;; [unrolled: 1-line block ×4, first 2 shown]
	s_waitcnt lgkmcnt(0)
	v_mul_f64 v[24:25], v[24:25], v[26:27]
	s_cbranch_execz .LBB10_244
	s_branch .LBB10_245
.LBB10_243:
                                        ; implicit-def: $vgpr24_vgpr25
.LBB10_244:
	ds_read_b64 v[24:25], v81
.LBB10_245:
	s_and_saveexec_b64 s[4:5], s[10:11]
	s_cbranch_execz .LBB10_249
; %bb.246:
	v_mov_b32_e32 v26, 0x68
	v_lshl_add_u32 v26, v0, 3, v26
	s_mov_b64 s[6:7], 0
.LBB10_247:                             ; =>This Inner Loop Header: Depth=1
	v_add_co_u32_e32 v0, vcc, 1, v0
	v_addc_co_u32_e32 v1, vcc, 0, v1, vcc
	v_cmp_eq_u32_e32 vcc, 1, v0
	v_cndmask_b32_e32 v27, v3, v5, vcc
	v_cmp_eq_u32_e64 s[2:3], 2, v0
	v_cmp_lt_u32_e64 s[0:1], 8, v0
	v_cndmask_b32_e64 v27, v27, v7, s[2:3]
	v_cndmask_b32_e32 v30, v2, v4, vcc
	v_cmp_eq_u32_e32 vcc, 3, v0
	s_or_b64 s[6:7], s[0:1], s[6:7]
	v_cndmask_b32_e32 v27, v27, v9, vcc
	v_cndmask_b32_e64 v30, v30, v6, s[2:3]
	v_cmp_eq_u32_e64 s[0:1], 4, v0
	v_cndmask_b32_e64 v27, v27, v11, s[0:1]
	v_cndmask_b32_e32 v30, v30, v8, vcc
	v_cmp_eq_u32_e32 vcc, 5, v0
	v_cndmask_b32_e32 v27, v27, v13, vcc
	v_cndmask_b32_e64 v30, v30, v10, s[0:1]
	v_cmp_eq_u32_e64 s[0:1], 6, v0
	v_cndmask_b32_e64 v27, v27, v15, s[0:1]
	v_cndmask_b32_e32 v30, v30, v12, vcc
	v_cmp_eq_u32_e32 vcc, 7, v0
	ds_read_b64 v[28:29], v26
	v_cndmask_b32_e32 v27, v27, v17, vcc
	v_cndmask_b32_e64 v30, v30, v14, s[0:1]
	v_cmp_eq_u32_e64 s[0:1], 8, v0
	v_cndmask_b32_e64 v27, v27, v19, s[0:1]
	v_cndmask_b32_e32 v30, v30, v16, vcc
	v_cmp_eq_u32_e32 vcc, 9, v0
	v_cndmask_b32_e32 v27, v27, v21, vcc
	v_cndmask_b32_e64 v30, v30, v18, s[0:1]
	v_cmp_eq_u32_e64 s[0:1], 10, v0
	v_cndmask_b32_e64 v31, v27, v23, s[0:1]
	v_cndmask_b32_e32 v27, v30, v20, vcc
	v_cndmask_b32_e64 v30, v27, v22, s[0:1]
	v_add_u32_e32 v26, 8, v26
	s_waitcnt lgkmcnt(0)
	v_fmac_f64_e32 v[24:25], v[30:31], v[28:29]
	s_andn2_b64 exec, exec, s[6:7]
	s_cbranch_execnz .LBB10_247
; %bb.248:
	s_or_b64 exec, exec, s[6:7]
.LBB10_249:
	s_or_b64 exec, exec, s[4:5]
	v_mov_b32_e32 v0, 0
	ds_read_b64 v[0:1], v0 offset:80
	s_waitcnt lgkmcnt(0)
	v_mul_f64 v[22:23], v[24:25], v[0:1]
.LBB10_250:
	s_or_b64 exec, exec, s[20:21]
	v_pk_mov_b32 v[54:55], v[32:33], v[32:33] op_sel:[0,1]
	v_pk_mov_b32 v[52:53], v[30:31], v[30:31] op_sel:[0,1]
	;; [unrolled: 1-line block ×16, first 2 shown]
.LBB10_251:
	global_store_dwordx2 v[56:57], v[24:25], off
	global_store_dwordx2 v[58:59], v[26:27], off
	;; [unrolled: 1-line block ×11, first 2 shown]
.LBB10_252:
	s_endpgm
	.section	.rodata,"a",@progbits
	.p2align	6, 0x0
	.amdhsa_kernel _ZN9rocsolver6v33100L18trti2_kernel_smallILi11EdPdEEv13rocblas_fill_17rocblas_diagonal_T1_iil
		.amdhsa_group_segment_fixed_size 184
		.amdhsa_private_segment_fixed_size 0
		.amdhsa_kernarg_size 32
		.amdhsa_user_sgpr_count 6
		.amdhsa_user_sgpr_private_segment_buffer 1
		.amdhsa_user_sgpr_dispatch_ptr 0
		.amdhsa_user_sgpr_queue_ptr 0
		.amdhsa_user_sgpr_kernarg_segment_ptr 1
		.amdhsa_user_sgpr_dispatch_id 0
		.amdhsa_user_sgpr_flat_scratch_init 0
		.amdhsa_user_sgpr_kernarg_preload_length 0
		.amdhsa_user_sgpr_kernarg_preload_offset 0
		.amdhsa_user_sgpr_private_segment_size 0
		.amdhsa_uses_dynamic_stack 0
		.amdhsa_system_sgpr_private_segment_wavefront_offset 0
		.amdhsa_system_sgpr_workgroup_id_x 1
		.amdhsa_system_sgpr_workgroup_id_y 0
		.amdhsa_system_sgpr_workgroup_id_z 0
		.amdhsa_system_sgpr_workgroup_info 0
		.amdhsa_system_vgpr_workitem_id 0
		.amdhsa_next_free_vgpr 106
		.amdhsa_next_free_sgpr 42
		.amdhsa_accum_offset 108
		.amdhsa_reserve_vcc 1
		.amdhsa_reserve_flat_scratch 0
		.amdhsa_float_round_mode_32 0
		.amdhsa_float_round_mode_16_64 0
		.amdhsa_float_denorm_mode_32 3
		.amdhsa_float_denorm_mode_16_64 3
		.amdhsa_dx10_clamp 1
		.amdhsa_ieee_mode 1
		.amdhsa_fp16_overflow 0
		.amdhsa_tg_split 0
		.amdhsa_exception_fp_ieee_invalid_op 0
		.amdhsa_exception_fp_denorm_src 0
		.amdhsa_exception_fp_ieee_div_zero 0
		.amdhsa_exception_fp_ieee_overflow 0
		.amdhsa_exception_fp_ieee_underflow 0
		.amdhsa_exception_fp_ieee_inexact 0
		.amdhsa_exception_int_div_zero 0
	.end_amdhsa_kernel
	.section	.text._ZN9rocsolver6v33100L18trti2_kernel_smallILi11EdPdEEv13rocblas_fill_17rocblas_diagonal_T1_iil,"axG",@progbits,_ZN9rocsolver6v33100L18trti2_kernel_smallILi11EdPdEEv13rocblas_fill_17rocblas_diagonal_T1_iil,comdat
.Lfunc_end10:
	.size	_ZN9rocsolver6v33100L18trti2_kernel_smallILi11EdPdEEv13rocblas_fill_17rocblas_diagonal_T1_iil, .Lfunc_end10-_ZN9rocsolver6v33100L18trti2_kernel_smallILi11EdPdEEv13rocblas_fill_17rocblas_diagonal_T1_iil
                                        ; -- End function
	.section	.AMDGPU.csdata,"",@progbits
; Kernel info:
; codeLenInByte = 18164
; NumSgprs: 46
; NumVgprs: 106
; NumAgprs: 0
; TotalNumVgprs: 106
; ScratchSize: 0
; MemoryBound: 0
; FloatMode: 240
; IeeeMode: 1
; LDSByteSize: 184 bytes/workgroup (compile time only)
; SGPRBlocks: 5
; VGPRBlocks: 13
; NumSGPRsForWavesPerEU: 46
; NumVGPRsForWavesPerEU: 106
; AccumOffset: 108
; Occupancy: 4
; WaveLimiterHint : 0
; COMPUTE_PGM_RSRC2:SCRATCH_EN: 0
; COMPUTE_PGM_RSRC2:USER_SGPR: 6
; COMPUTE_PGM_RSRC2:TRAP_HANDLER: 0
; COMPUTE_PGM_RSRC2:TGID_X_EN: 1
; COMPUTE_PGM_RSRC2:TGID_Y_EN: 0
; COMPUTE_PGM_RSRC2:TGID_Z_EN: 0
; COMPUTE_PGM_RSRC2:TIDIG_COMP_CNT: 0
; COMPUTE_PGM_RSRC3_GFX90A:ACCUM_OFFSET: 26
; COMPUTE_PGM_RSRC3_GFX90A:TG_SPLIT: 0
	.section	.text._ZN9rocsolver6v33100L18trti2_kernel_smallILi12EdPdEEv13rocblas_fill_17rocblas_diagonal_T1_iil,"axG",@progbits,_ZN9rocsolver6v33100L18trti2_kernel_smallILi12EdPdEEv13rocblas_fill_17rocblas_diagonal_T1_iil,comdat
	.globl	_ZN9rocsolver6v33100L18trti2_kernel_smallILi12EdPdEEv13rocblas_fill_17rocblas_diagonal_T1_iil ; -- Begin function _ZN9rocsolver6v33100L18trti2_kernel_smallILi12EdPdEEv13rocblas_fill_17rocblas_diagonal_T1_iil
	.p2align	8
	.type	_ZN9rocsolver6v33100L18trti2_kernel_smallILi12EdPdEEv13rocblas_fill_17rocblas_diagonal_T1_iil,@function
_ZN9rocsolver6v33100L18trti2_kernel_smallILi12EdPdEEv13rocblas_fill_17rocblas_diagonal_T1_iil: ; @_ZN9rocsolver6v33100L18trti2_kernel_smallILi12EdPdEEv13rocblas_fill_17rocblas_diagonal_T1_iil
; %bb.0:
	v_cmp_gt_u32_e32 vcc, 12, v0
	s_and_saveexec_b64 s[0:1], vcc
	s_cbranch_execz .LBB11_278
; %bb.1:
	s_load_dwordx8 s[24:31], s[4:5], 0x0
	s_ashr_i32 s2, s6, 31
	v_lshlrev_b32_e32 v28, 3, v0
	v_mov_b32_e32 v26, 0
	v_mov_b32_e32 v27, 0xbff00000
	s_waitcnt lgkmcnt(0)
	s_mul_i32 s3, s6, s31
	s_mul_hi_u32 s4, s6, s30
	s_add_i32 s3, s4, s3
	s_mul_i32 s2, s2, s30
	s_add_i32 s3, s3, s2
	s_mul_i32 s2, s6, s30
	s_ashr_i32 s1, s28, 31
	s_lshl_b64 s[2:3], s[2:3], 3
	s_mov_b32 s0, s28
	s_add_u32 s2, s26, s2
	s_addc_u32 s3, s27, s3
	s_lshl_b64 s[0:1], s[0:1], 3
	s_add_u32 s0, s2, s0
	s_addc_u32 s1, s3, s1
	v_mov_b32_e32 v1, s1
	v_add_co_u32_e32 v58, vcc, s0, v28
	s_ashr_i32 s3, s29, 31
	s_mov_b32 s2, s29
	v_addc_co_u32_e32 v59, vcc, 0, v1, vcc
	s_lshl_b64 s[2:3], s[2:3], 3
	v_add_co_u32_e32 v60, vcc, s2, v58
	s_add_i32 s2, s29, s29
	v_add_u32_e32 v2, s2, v0
	v_mov_b32_e32 v1, s3
	v_ashrrev_i32_e32 v3, 31, v2
	v_addc_co_u32_e32 v61, vcc, v59, v1, vcc
	v_lshlrev_b64 v[4:5], 3, v[2:3]
	v_add_u32_e32 v2, s29, v2
	v_mov_b32_e32 v1, s1
	v_add_co_u32_e32 v62, vcc, s0, v4
	v_ashrrev_i32_e32 v3, 31, v2
	v_addc_co_u32_e32 v63, vcc, v1, v5, vcc
	v_lshlrev_b64 v[4:5], 3, v[2:3]
	v_add_u32_e32 v2, s29, v2
	v_add_co_u32_e32 v64, vcc, s0, v4
	v_ashrrev_i32_e32 v3, 31, v2
	v_addc_co_u32_e32 v65, vcc, v1, v5, vcc
	v_lshlrev_b64 v[4:5], 3, v[2:3]
	v_add_u32_e32 v2, s29, v2
	;; [unrolled: 5-line block ×8, first 2 shown]
	v_add_co_u32_e32 v78, vcc, s0, v4
	v_ashrrev_i32_e32 v3, 31, v2
	v_addc_co_u32_e32 v79, vcc, v1, v5, vcc
	v_lshlrev_b64 v[2:3], 3, v[2:3]
	v_add_co_u32_e32 v80, vcc, s0, v2
	v_addc_co_u32_e32 v81, vcc, v1, v3, vcc
	global_load_dwordx2 v[4:5], v[60:61], off
	global_load_dwordx2 v[6:7], v[62:63], off
	global_load_dwordx2 v[8:9], v[64:65], off
	global_load_dwordx2 v[10:11], v[66:67], off
	global_load_dwordx2 v[12:13], v[68:69], off
	global_load_dwordx2 v[14:15], v[70:71], off
	global_load_dwordx2 v[16:17], v[72:73], off
	global_load_dwordx2 v[18:19], v[74:75], off
	global_load_dwordx2 v[20:21], v[76:77], off
	global_load_dwordx2 v[22:23], v[78:79], off
	global_load_dwordx2 v[2:3], v28, s[0:1]
	global_load_dwordx2 v[24:25], v[80:81], off
	s_cmpk_lg_i32 s25, 0x84
	v_mov_b32_e32 v1, 0
	s_cselect_b64 s[26:27], -1, 0
	s_cmpk_eq_i32 s25, 0x84
	v_cmp_eq_u32_e64 s[0:1], 0, v0
	s_cbranch_scc1 .LBB11_3
; %bb.2:
	v_cmp_eq_u32_e64 s[2:3], 1, v0
	s_waitcnt vmcnt(1)
	v_cndmask_b32_e64 v26, v3, v5, s[2:3]
	v_cmp_eq_u32_e64 s[4:5], 2, v0
	v_cndmask_b32_e64 v26, v26, v7, s[4:5]
	v_cmp_eq_u32_e64 s[6:7], 3, v0
	;; [unrolled: 2-line block ×10, first 2 shown]
	s_waitcnt vmcnt(0)
	v_cndmask_b32_e64 v27, v26, v25, s[22:23]
	v_cndmask_b32_e64 v26, v2, v4, s[2:3]
	;; [unrolled: 1-line block ×12, first 2 shown]
	v_div_scale_f64 v[30:31], s[28:29], v[26:27], v[26:27], 1.0
	v_rcp_f64_e32 v[32:33], v[30:31]
	v_fma_f64 v[34:35], -v[30:31], v[32:33], 1.0
	v_fmac_f64_e32 v[32:33], v[32:33], v[34:35]
	v_fma_f64 v[34:35], -v[30:31], v[32:33], 1.0
	v_fmac_f64_e32 v[32:33], v[32:33], v[34:35]
	v_div_scale_f64 v[34:35], vcc, 1.0, v[26:27], 1.0
	v_mul_f64 v[36:37], v[34:35], v[32:33]
	v_fma_f64 v[30:31], -v[30:31], v[36:37], v[34:35]
	s_nop 1
	v_div_fmas_f64 v[30:31], v[30:31], v[32:33], v[36:37]
	v_div_fixup_f64 v[26:27], v[30:31], v[26:27], 1.0
	v_cndmask_b32_e64 v25, v25, v27, s[22:23]
	v_cndmask_b32_e64 v24, v24, v26, s[22:23]
	;; [unrolled: 1-line block ×24, first 2 shown]
	v_xor_b32_e32 v27, 0x80000000, v27
.LBB11_3:
	s_cmpk_eq_i32 s24, 0x79
	v_add_u32_e32 v85, 0x60, v28
	ds_write_b64 v28, v[26:27]
	s_cbranch_scc1 .LBB11_7
; %bb.4:
	s_waitcnt vmcnt(0)
	v_pk_mov_b32 v[56:57], v[32:33], v[32:33] op_sel:[0,1]
	v_cmp_eq_u32_e64 s[0:1], 11, v0
	v_pk_mov_b32 v[54:55], v[30:31], v[30:31] op_sel:[0,1]
	v_pk_mov_b32 v[52:53], v[28:29], v[28:29] op_sel:[0,1]
	;; [unrolled: 1-line block ×15, first 2 shown]
	ds_write_b64 v85, v[22:23]
	s_waitcnt lgkmcnt(0)
	; wave barrier
	s_waitcnt lgkmcnt(0)
	s_and_saveexec_b64 s[22:23], s[0:1]
	s_cbranch_execz .LBB11_11
; %bb.5:
	s_and_b64 vcc, exec, s[26:27]
	s_cbranch_vccz .LBB11_8
; %bb.6:
	v_cmp_eq_u32_e32 vcc, 1, v0
	v_cndmask_b32_e32 v26, v3, v5, vcc
	v_cmp_eq_u32_e64 s[2:3], 2, v0
	v_cndmask_b32_e64 v26, v26, v7, s[2:3]
	v_cmp_eq_u32_e64 s[4:5], 3, v0
	v_cndmask_b32_e64 v26, v26, v9, s[4:5]
	;; [unrolled: 2-line block ×10, first 2 shown]
	v_cndmask_b32_e32 v26, v2, v4, vcc
	v_cndmask_b32_e64 v26, v26, v6, s[2:3]
	v_cndmask_b32_e64 v26, v26, v8, s[4:5]
	;; [unrolled: 1-line block ×6, first 2 shown]
	ds_read_b64 v[28:29], v85
	v_cndmask_b32_e64 v26, v26, v18, s[14:15]
	v_cndmask_b32_e64 v26, v26, v20, s[16:17]
	;; [unrolled: 1-line block ×4, first 2 shown]
	s_waitcnt lgkmcnt(0)
	v_mul_f64 v[30:31], v[26:27], v[28:29]
	s_cbranch_execz .LBB11_9
	s_branch .LBB11_10
.LBB11_7:
                                        ; implicit-def: $vgpr26_vgpr27_vgpr28_vgpr29_vgpr30_vgpr31_vgpr32_vgpr33_vgpr34_vgpr35_vgpr36_vgpr37_vgpr38_vgpr39_vgpr40_vgpr41_vgpr42_vgpr43_vgpr44_vgpr45_vgpr46_vgpr47_vgpr48_vgpr49_vgpr50_vgpr51_vgpr52_vgpr53_vgpr54_vgpr55_vgpr56_vgpr57
	s_cbranch_execnz .LBB11_162
	s_branch .LBB11_277
.LBB11_8:
                                        ; implicit-def: $vgpr30_vgpr31
.LBB11_9:
	ds_read_b64 v[30:31], v85
.LBB11_10:
	v_mov_b32_e32 v26, 0
	ds_read_b64 v[32:33], v26 offset:80
	v_mov_b32_e32 v26, v2
	v_mov_b32_e32 v27, v3
	;; [unrolled: 1-line block ×4, first 2 shown]
	s_waitcnt lgkmcnt(0)
	v_mul_f64 v[46:47], v[30:31], v[32:33]
	v_mov_b32_e32 v30, v6
	v_mov_b32_e32 v31, v7
	;; [unrolled: 1-line block ×18, first 2 shown]
.LBB11_11:
	s_or_b64 exec, exec, s[22:23]
	v_cmp_lt_u32_e64 s[2:3], 9, v0
	ds_write_b64 v85, v[44:45]
	s_waitcnt lgkmcnt(0)
	; wave barrier
	s_waitcnt lgkmcnt(0)
	s_and_saveexec_b64 s[24:25], s[2:3]
	s_cbranch_execz .LBB11_17
; %bb.12:
	s_andn2_b64 vcc, exec, s[26:27]
	s_cbranch_vccnz .LBB11_14
; %bb.13:
	v_cmp_eq_u32_e32 vcc, 1, v0
	v_cndmask_b32_e32 v50, v27, v29, vcc
	v_cmp_eq_u32_e64 s[4:5], 2, v0
	v_cndmask_b32_e64 v50, v50, v31, s[4:5]
	v_cmp_eq_u32_e64 s[6:7], 3, v0
	v_cndmask_b32_e64 v50, v50, v33, s[6:7]
	;; [unrolled: 2-line block ×8, first 2 shown]
	v_cndmask_b32_e32 v50, v26, v28, vcc
	v_cndmask_b32_e64 v50, v50, v30, s[4:5]
	v_cndmask_b32_e64 v50, v50, v32, s[6:7]
	;; [unrolled: 1-line block ×6, first 2 shown]
	ds_read_b64 v[50:51], v85
	v_cndmask_b32_e64 v52, v52, v42, s[16:17]
	v_cmp_eq_u32_e64 s[20:21], 10, v0
	v_cndmask_b32_e64 v44, v52, v44, s[18:19]
	v_cndmask_b32_e64 v45, v45, v47, s[20:21]
	v_cmp_eq_u32_e64 s[22:23], 11, v0
	v_cndmask_b32_e64 v44, v44, v46, s[20:21]
	v_cndmask_b32_e64 v45, v45, v49, s[22:23]
	;; [unrolled: 1-line block ×3, first 2 shown]
	s_waitcnt lgkmcnt(0)
	v_mul_f64 v[44:45], v[44:45], v[50:51]
	s_cbranch_execz .LBB11_15
	s_branch .LBB11_16
.LBB11_14:
                                        ; implicit-def: $vgpr44_vgpr45
.LBB11_15:
	ds_read_b64 v[44:45], v85
.LBB11_16:
	v_mov_b32_e32 v50, 0
	ds_read2_b64 v[50:53], v50 offset0:9 offset1:22
	s_waitcnt lgkmcnt(0)
	v_fma_f64 v[52:53], v[46:47], v[52:53], v[44:45]
	v_cndmask_b32_e64 v45, v45, v53, s[0:1]
	v_cndmask_b32_e64 v44, v44, v52, s[0:1]
	v_mul_f64 v[44:45], v[44:45], v[50:51]
.LBB11_17:
	s_or_b64 exec, exec, s[24:25]
	v_cmp_lt_u32_e64 s[0:1], 8, v0
	ds_write_b64 v85, v[42:43]
	s_waitcnt lgkmcnt(0)
	; wave barrier
	s_waitcnt lgkmcnt(0)
	s_and_saveexec_b64 s[24:25], s[0:1]
	s_cbranch_execz .LBB11_33
; %bb.18:
	s_andn2_b64 vcc, exec, s[26:27]
	s_cbranch_vccnz .LBB11_20
; %bb.19:
	v_cmp_eq_u32_e32 vcc, 1, v0
	v_cndmask_b32_e32 v82, v27, v29, vcc
	v_cmp_eq_u32_e64 s[4:5], 2, v0
	v_cndmask_b32_e64 v82, v82, v31, s[4:5]
	v_cmp_eq_u32_e64 s[6:7], 3, v0
	v_cndmask_b32_e64 v82, v82, v33, s[6:7]
	;; [unrolled: 2-line block ×10, first 2 shown]
	v_cndmask_b32_e32 v82, v26, v28, vcc
	v_cndmask_b32_e64 v82, v82, v30, s[4:5]
	v_cndmask_b32_e64 v82, v82, v32, s[6:7]
	;; [unrolled: 1-line block ×6, first 2 shown]
	ds_read_b64 v[86:87], v85
	v_cndmask_b32_e64 v82, v82, v42, s[16:17]
	v_cndmask_b32_e64 v82, v82, v44, s[18:19]
	v_cndmask_b32_e64 v82, v82, v46, s[20:21]
	v_cndmask_b32_e64 v82, v82, v48, s[22:23]
	s_waitcnt lgkmcnt(0)
	v_mul_f64 v[82:83], v[82:83], v[86:87]
	s_cbranch_execz .LBB11_21
	s_branch .LBB11_22
.LBB11_20:
                                        ; implicit-def: $vgpr82_vgpr83
.LBB11_21:
	ds_read_b64 v[82:83], v85
.LBB11_22:
	s_and_saveexec_b64 s[6:7], s[2:3]
	s_cbranch_execz .LBB11_32
; %bb.23:
	v_add_u32_e32 v84, -10, v0
	v_add_u32_e32 v87, -9, v0
	v_cmp_lt_u32_e32 vcc, 6, v84
	v_mov_b32_e32 v84, 9
	s_and_saveexec_b64 s[2:3], vcc
	s_cbranch_execz .LBB11_27
; %bb.24:
	v_and_b32_e32 v84, -8, v87
	v_sub_u32_e32 v86, 0, v84
	s_mov_b64 s[4:5], 16
	s_movk_i32 s10, 0xa8
	s_mov_b64 s[8:9], 0
.LBB11_25:                              ; =>This Inner Loop Header: Depth=1
	s_lshl_b32 s11, s4, 1
	s_add_i32 s12, s11, -13
	v_mov_b32_e32 v102, s10
	s_add_i32 s13, s11, -14
	s_set_gpr_idx_on s12, gpr_idx(SRC0)
	v_mov_b32_e32 v97, v26
	s_set_gpr_idx_off
	s_add_i32 s14, s11, -11
	s_set_gpr_idx_on s13, gpr_idx(SRC0)
	v_mov_b32_e32 v96, v26
	s_set_gpr_idx_off
	ds_read2_b64 v[88:91], v102 offset1:1
	s_add_i32 s15, s11, -12
	s_set_gpr_idx_on s14, gpr_idx(SRC0)
	v_mov_b32_e32 v99, v26
	s_set_gpr_idx_off
	s_add_i32 s16, s11, -9
	s_set_gpr_idx_on s15, gpr_idx(SRC0)
	v_mov_b32_e32 v98, v26
	s_set_gpr_idx_off
	;; [unrolled: 4-line block ×4, first 2 shown]
	ds_read2_b64 v[92:95], v102 offset0:2 offset1:3
	s_add_i32 s19, s11, -8
	s_waitcnt lgkmcnt(1)
	v_fmac_f64_e32 v[82:83], v[96:97], v[88:89]
	s_set_gpr_idx_on s18, gpr_idx(SRC0)
	v_mov_b32_e32 v97, v26
	s_set_gpr_idx_off
	s_add_i32 s20, s11, -5
	v_fmac_f64_e32 v[82:83], v[98:99], v[90:91]
	s_set_gpr_idx_on s19, gpr_idx(SRC0)
	v_mov_b32_e32 v96, v26
	s_set_gpr_idx_off
	s_add_i32 s21, s11, -6
	s_set_gpr_idx_on s20, gpr_idx(SRC0)
	v_mov_b32_e32 v99, v26
	s_set_gpr_idx_off
	s_add_i32 s22, s11, -3
	;; [unrolled: 4-line block ×3, first 2 shown]
	ds_read2_b64 v[88:91], v102 offset0:4 offset1:5
	s_waitcnt lgkmcnt(1)
	v_fmac_f64_e32 v[82:83], v[100:101], v[92:93]
	s_set_gpr_idx_on s22, gpr_idx(SRC0)
	v_mov_b32_e32 v101, v26
	s_set_gpr_idx_off
	s_add_i32 s28, s11, -1
	v_fmac_f64_e32 v[82:83], v[96:97], v[94:95]
	s_set_gpr_idx_on s23, gpr_idx(SRC0)
	v_mov_b32_e32 v100, v26
	s_set_gpr_idx_off
	s_add_i32 s29, s11, -2
	s_set_gpr_idx_on s28, gpr_idx(SRC0)
	v_mov_b32_e32 v97, v26
	s_set_gpr_idx_off
	s_set_gpr_idx_on s29, gpr_idx(SRC0)
	v_mov_b32_e32 v96, v26
	s_set_gpr_idx_off
	ds_read2_b64 v[92:95], v102 offset0:6 offset1:7
	s_add_u32 s4, s4, 8
	s_waitcnt lgkmcnt(1)
	v_fmac_f64_e32 v[82:83], v[98:99], v[88:89]
	s_set_gpr_idx_on s11, gpr_idx(SRC0)
	v_mov_b32_e32 v89, v27
	s_set_gpr_idx_off
	v_add_u32_e32 v84, s4, v86
	v_fmac_f64_e32 v[82:83], v[100:101], v[90:91]
	s_set_gpr_idx_on s11, gpr_idx(SRC0)
	v_mov_b32_e32 v88, v26
	s_set_gpr_idx_off
	s_addc_u32 s5, s5, 0
	s_add_i32 s10, s10, 64
	s_add_i32 s12, s4, -7
	v_cmp_eq_u32_e32 vcc, 16, v84
	s_waitcnt lgkmcnt(0)
	v_fmac_f64_e32 v[82:83], v[96:97], v[92:93]
	v_mov_b32_e32 v84, s12
	s_or_b64 s[8:9], vcc, s[8:9]
	v_fmac_f64_e32 v[82:83], v[88:89], v[94:95]
	s_andn2_b64 exec, exec, s[8:9]
	s_cbranch_execnz .LBB11_25
; %bb.26:
	s_or_b64 exec, exec, s[8:9]
.LBB11_27:
	s_or_b64 exec, exec, s[2:3]
	v_and_b32_e32 v50, 7, v87
	v_cmp_ne_u32_e32 vcc, 0, v50
	s_and_saveexec_b64 s[8:9], vcc
	s_cbranch_execz .LBB11_31
; %bb.28:
	v_mov_b32_e32 v51, 0x60
	v_lshl_add_u32 v52, v84, 3, v51
	v_mov_b32_e32 v51, 0
	s_mov_b64 s[10:11], 0
.LBB11_29:                              ; =>This Inner Loop Header: Depth=1
	v_cmp_eq_u32_e32 vcc, 1, v84
	v_cndmask_b32_e32 v53, v27, v29, vcc
	v_add_u32_e32 v50, -1, v50
	v_cmp_eq_u32_e64 s[2:3], 2, v84
	v_cndmask_b32_e64 v53, v53, v31, s[2:3]
	v_cndmask_b32_e32 v56, v26, v28, vcc
	v_cmp_eq_u32_e32 vcc, 0, v50
	v_cmp_eq_u32_e64 s[4:5], 3, v84
	v_cndmask_b32_e64 v53, v53, v33, s[4:5]
	v_cndmask_b32_e64 v56, v56, v30, s[2:3]
	s_or_b64 s[10:11], vcc, s[10:11]
	v_cmp_eq_u32_e32 vcc, 4, v84
	v_cndmask_b32_e32 v53, v53, v35, vcc
	v_cndmask_b32_e64 v56, v56, v32, s[4:5]
	v_cmp_eq_u32_e64 s[2:3], 5, v84
	v_cndmask_b32_e64 v53, v53, v37, s[2:3]
	v_cndmask_b32_e32 v56, v56, v34, vcc
	v_cmp_eq_u32_e32 vcc, 6, v84
	v_cndmask_b32_e32 v53, v53, v39, vcc
	v_cndmask_b32_e64 v56, v56, v36, s[2:3]
	v_cmp_eq_u32_e64 s[2:3], 7, v84
	v_cndmask_b32_e64 v53, v53, v41, s[2:3]
	v_cndmask_b32_e32 v56, v56, v38, vcc
	v_cmp_eq_u32_e32 vcc, 8, v84
	ds_read_b64 v[54:55], v52
	v_cndmask_b32_e32 v53, v53, v43, vcc
	v_cndmask_b32_e64 v56, v56, v40, s[2:3]
	v_cmp_eq_u32_e64 s[2:3], 9, v84
	v_cndmask_b32_e64 v53, v53, v45, s[2:3]
	v_cndmask_b32_e32 v56, v56, v42, vcc
	v_cmp_eq_u32_e32 vcc, 10, v84
	v_cndmask_b32_e32 v53, v53, v47, vcc
	v_cmp_eq_u32_e64 s[4:5], 11, v84
	v_cndmask_b32_e64 v56, v56, v44, s[2:3]
	v_cndmask_b32_e64 v57, v53, v49, s[4:5]
	v_cndmask_b32_e32 v53, v56, v46, vcc
	v_add_co_u32_e64 v84, s[2:3], 1, v84
	v_cndmask_b32_e64 v56, v53, v48, s[4:5]
	v_add_u32_e32 v52, 8, v52
	v_addc_co_u32_e64 v51, s[2:3], 0, v51, s[2:3]
	s_waitcnt lgkmcnt(0)
	v_fmac_f64_e32 v[82:83], v[56:57], v[54:55]
	s_andn2_b64 exec, exec, s[10:11]
	s_cbranch_execnz .LBB11_29
; %bb.30:
	s_or_b64 exec, exec, s[10:11]
.LBB11_31:
	s_or_b64 exec, exec, s[8:9]
.LBB11_32:
	s_or_b64 exec, exec, s[6:7]
	v_mov_b32_e32 v42, 0
	ds_read_b64 v[42:43], v42 offset:64
	s_waitcnt lgkmcnt(0)
	v_mul_f64 v[42:43], v[82:83], v[42:43]
.LBB11_33:
	s_or_b64 exec, exec, s[24:25]
	v_cmp_lt_u32_e64 s[2:3], 7, v0
	ds_write_b64 v85, v[40:41]
	s_waitcnt lgkmcnt(0)
	; wave barrier
	s_waitcnt lgkmcnt(0)
	s_and_saveexec_b64 s[24:25], s[2:3]
	s_cbranch_execz .LBB11_49
; %bb.34:
	s_andn2_b64 vcc, exec, s[26:27]
	s_cbranch_vccnz .LBB11_36
; %bb.35:
	v_cmp_eq_u32_e32 vcc, 1, v0
	v_cndmask_b32_e32 v82, v27, v29, vcc
	v_cmp_eq_u32_e64 s[4:5], 2, v0
	v_cndmask_b32_e64 v82, v82, v31, s[4:5]
	v_cmp_eq_u32_e64 s[6:7], 3, v0
	v_cndmask_b32_e64 v82, v82, v33, s[6:7]
	;; [unrolled: 2-line block ×10, first 2 shown]
	v_cndmask_b32_e32 v82, v26, v28, vcc
	v_cndmask_b32_e64 v82, v82, v30, s[4:5]
	v_cndmask_b32_e64 v82, v82, v32, s[6:7]
	;; [unrolled: 1-line block ×6, first 2 shown]
	ds_read_b64 v[86:87], v85
	v_cndmask_b32_e64 v82, v82, v42, s[16:17]
	v_cndmask_b32_e64 v82, v82, v44, s[18:19]
	;; [unrolled: 1-line block ×4, first 2 shown]
	s_waitcnt lgkmcnt(0)
	v_mul_f64 v[82:83], v[82:83], v[86:87]
	s_cbranch_execz .LBB11_37
	s_branch .LBB11_38
.LBB11_36:
                                        ; implicit-def: $vgpr82_vgpr83
.LBB11_37:
	ds_read_b64 v[82:83], v85
.LBB11_38:
	s_and_saveexec_b64 s[6:7], s[0:1]
	s_cbranch_execz .LBB11_48
; %bb.39:
	v_add_u32_e32 v84, -9, v0
	v_cmp_lt_u32_e32 vcc, 6, v84
	v_mov_b32_e32 v84, 8
	s_and_saveexec_b64 s[0:1], vcc
	s_cbranch_execz .LBB11_43
; %bb.40:
	v_and_b32_e32 v84, 8, v0
	v_sub_u32_e32 v86, 0, v84
	s_mov_b64 s[4:5], 15
	s_movk_i32 s10, 0xa0
	s_mov_b64 s[8:9], 0
.LBB11_41:                              ; =>This Inner Loop Header: Depth=1
	s_lshl_b32 s11, s4, 1
	s_add_i32 s12, s11, -13
	s_add_i32 s13, s11, -14
	s_set_gpr_idx_on s12, gpr_idx(SRC0)
	v_mov_b32_e32 v105, v26
	s_set_gpr_idx_off
	v_mov_b32_e32 v84, s10
	s_add_i32 s14, s11, -11
	s_set_gpr_idx_on s13, gpr_idx(SRC0)
	v_mov_b32_e32 v104, v26
	s_set_gpr_idx_off
	s_add_i32 s15, s11, -12
	ds_read_b128 v[88:91], v84
	ds_read_b128 v[92:95], v84 offset:16
	ds_read_b128 v[96:99], v84 offset:32
	;; [unrolled: 1-line block ×3, first 2 shown]
	s_set_gpr_idx_on s14, gpr_idx(SRC0)
	v_mov_b32_e32 v107, v26
	s_set_gpr_idx_off
	s_add_i32 s16, s11, -9
	s_set_gpr_idx_on s15, gpr_idx(SRC0)
	v_mov_b32_e32 v106, v26
	s_set_gpr_idx_off
	s_add_i32 s17, s11, -10
	;; [unrolled: 4-line block ×4, first 2 shown]
	s_waitcnt lgkmcnt(3)
	v_fmac_f64_e32 v[82:83], v[104:105], v[88:89]
	s_set_gpr_idx_on s18, gpr_idx(SRC0)
	v_mov_b32_e32 v89, v26
	s_set_gpr_idx_off
	s_add_i32 s20, s11, -5
	v_fmac_f64_e32 v[82:83], v[106:107], v[90:91]
	s_set_gpr_idx_on s19, gpr_idx(SRC0)
	v_mov_b32_e32 v88, v26
	s_set_gpr_idx_off
	s_add_i32 s21, s11, -6
	s_waitcnt lgkmcnt(2)
	v_fmac_f64_e32 v[82:83], v[108:109], v[92:93]
	s_set_gpr_idx_on s20, gpr_idx(SRC0)
	v_mov_b32_e32 v91, v26
	s_set_gpr_idx_off
	s_add_i32 s22, s11, -3
	v_fmac_f64_e32 v[82:83], v[88:89], v[94:95]
	s_set_gpr_idx_on s21, gpr_idx(SRC0)
	v_mov_b32_e32 v90, v26
	s_set_gpr_idx_off
	s_add_i32 s23, s11, -4
	s_waitcnt lgkmcnt(1)
	v_fmac_f64_e32 v[82:83], v[90:91], v[96:97]
	s_set_gpr_idx_on s22, gpr_idx(SRC0)
	v_mov_b32_e32 v89, v26
	s_set_gpr_idx_off
	s_add_i32 s28, s11, -1
	s_set_gpr_idx_on s23, gpr_idx(SRC0)
	v_mov_b32_e32 v88, v26
	s_set_gpr_idx_off
	s_add_i32 s29, s11, -2
	v_fmac_f64_e32 v[82:83], v[88:89], v[98:99]
	s_set_gpr_idx_on s28, gpr_idx(SRC0)
	v_mov_b32_e32 v89, v26
	s_set_gpr_idx_off
	s_add_u32 s4, s4, 8
	s_set_gpr_idx_on s29, gpr_idx(SRC0)
	v_mov_b32_e32 v88, v26
	s_set_gpr_idx_off
	v_add_u32_e32 v84, s4, v86
	s_waitcnt lgkmcnt(0)
	v_fmac_f64_e32 v[82:83], v[88:89], v[100:101]
	s_set_gpr_idx_on s11, gpr_idx(SRC0)
	v_mov_b32_e32 v89, v27
	s_set_gpr_idx_off
	s_addc_u32 s5, s5, 0
	s_add_i32 s10, s10, 64
	s_add_i32 s12, s4, -7
	v_cmp_eq_u32_e32 vcc, 7, v84
	s_set_gpr_idx_on s11, gpr_idx(SRC0)
	v_mov_b32_e32 v88, v26
	s_set_gpr_idx_off
	v_mov_b32_e32 v84, s12
	s_or_b64 s[8:9], vcc, s[8:9]
	v_fmac_f64_e32 v[82:83], v[88:89], v[102:103]
	s_andn2_b64 exec, exec, s[8:9]
	s_cbranch_execnz .LBB11_41
; %bb.42:
	s_or_b64 exec, exec, s[8:9]
.LBB11_43:
	s_or_b64 exec, exec, s[0:1]
	v_and_b32_e32 v50, 7, v0
	v_cmp_ne_u32_e32 vcc, 0, v50
	s_and_saveexec_b64 s[8:9], vcc
	s_cbranch_execz .LBB11_47
; %bb.44:
	v_mov_b32_e32 v51, 0x60
	v_lshl_add_u32 v52, v84, 3, v51
	v_mov_b32_e32 v51, 0
	s_mov_b64 s[10:11], 0
.LBB11_45:                              ; =>This Inner Loop Header: Depth=1
	v_cmp_eq_u32_e32 vcc, 1, v84
	v_cndmask_b32_e32 v53, v27, v29, vcc
	v_add_u32_e32 v50, -1, v50
	v_cmp_eq_u32_e64 s[0:1], 2, v84
	v_cndmask_b32_e64 v53, v53, v31, s[0:1]
	v_cndmask_b32_e32 v56, v26, v28, vcc
	v_cmp_eq_u32_e32 vcc, 0, v50
	v_cmp_eq_u32_e64 s[4:5], 3, v84
	v_cndmask_b32_e64 v53, v53, v33, s[4:5]
	v_cndmask_b32_e64 v56, v56, v30, s[0:1]
	s_or_b64 s[10:11], vcc, s[10:11]
	v_cmp_eq_u32_e32 vcc, 4, v84
	v_cndmask_b32_e32 v53, v53, v35, vcc
	v_cndmask_b32_e64 v56, v56, v32, s[4:5]
	v_cmp_eq_u32_e64 s[0:1], 5, v84
	v_cndmask_b32_e64 v53, v53, v37, s[0:1]
	v_cndmask_b32_e32 v56, v56, v34, vcc
	v_cmp_eq_u32_e32 vcc, 6, v84
	v_cndmask_b32_e32 v53, v53, v39, vcc
	v_cndmask_b32_e64 v56, v56, v36, s[0:1]
	v_cmp_eq_u32_e64 s[0:1], 7, v84
	v_cndmask_b32_e64 v53, v53, v41, s[0:1]
	v_cndmask_b32_e32 v56, v56, v38, vcc
	v_cmp_eq_u32_e32 vcc, 8, v84
	ds_read_b64 v[54:55], v52
	v_cndmask_b32_e32 v53, v53, v43, vcc
	v_cndmask_b32_e64 v56, v56, v40, s[0:1]
	v_cmp_eq_u32_e64 s[0:1], 9, v84
	v_cndmask_b32_e64 v53, v53, v45, s[0:1]
	v_cndmask_b32_e32 v56, v56, v42, vcc
	v_cmp_eq_u32_e32 vcc, 10, v84
	v_cndmask_b32_e32 v53, v53, v47, vcc
	v_cmp_eq_u32_e64 s[4:5], 11, v84
	v_cndmask_b32_e64 v56, v56, v44, s[0:1]
	v_cndmask_b32_e64 v57, v53, v49, s[4:5]
	v_cndmask_b32_e32 v53, v56, v46, vcc
	v_add_co_u32_e64 v84, s[0:1], 1, v84
	v_cndmask_b32_e64 v56, v53, v48, s[4:5]
	v_add_u32_e32 v52, 8, v52
	v_addc_co_u32_e64 v51, s[0:1], 0, v51, s[0:1]
	s_waitcnt lgkmcnt(0)
	v_fmac_f64_e32 v[82:83], v[56:57], v[54:55]
	s_andn2_b64 exec, exec, s[10:11]
	s_cbranch_execnz .LBB11_45
; %bb.46:
	s_or_b64 exec, exec, s[10:11]
.LBB11_47:
	s_or_b64 exec, exec, s[8:9]
.LBB11_48:
	s_or_b64 exec, exec, s[6:7]
	v_mov_b32_e32 v40, 0
	ds_read_b64 v[40:41], v40 offset:56
	s_waitcnt lgkmcnt(0)
	v_mul_f64 v[40:41], v[82:83], v[40:41]
.LBB11_49:
	s_or_b64 exec, exec, s[24:25]
	v_cmp_lt_u32_e64 s[0:1], 6, v0
	ds_write_b64 v85, v[38:39]
	s_waitcnt lgkmcnt(0)
	; wave barrier
	s_waitcnt lgkmcnt(0)
	s_and_saveexec_b64 s[24:25], s[0:1]
	s_cbranch_execz .LBB11_65
; %bb.50:
	s_andn2_b64 vcc, exec, s[26:27]
	s_cbranch_vccnz .LBB11_52
; %bb.51:
	v_cmp_eq_u32_e32 vcc, 1, v0
	v_cndmask_b32_e32 v82, v27, v29, vcc
	v_cmp_eq_u32_e64 s[4:5], 2, v0
	v_cndmask_b32_e64 v82, v82, v31, s[4:5]
	v_cmp_eq_u32_e64 s[6:7], 3, v0
	v_cndmask_b32_e64 v82, v82, v33, s[6:7]
	;; [unrolled: 2-line block ×10, first 2 shown]
	v_cndmask_b32_e32 v82, v26, v28, vcc
	v_cndmask_b32_e64 v82, v82, v30, s[4:5]
	v_cndmask_b32_e64 v82, v82, v32, s[6:7]
	;; [unrolled: 1-line block ×6, first 2 shown]
	ds_read_b64 v[86:87], v85
	v_cndmask_b32_e64 v82, v82, v42, s[16:17]
	v_cndmask_b32_e64 v82, v82, v44, s[18:19]
	;; [unrolled: 1-line block ×4, first 2 shown]
	s_waitcnt lgkmcnt(0)
	v_mul_f64 v[82:83], v[82:83], v[86:87]
	s_cbranch_execz .LBB11_53
	s_branch .LBB11_54
.LBB11_52:
                                        ; implicit-def: $vgpr82_vgpr83
.LBB11_53:
	ds_read_b64 v[82:83], v85
.LBB11_54:
	s_and_saveexec_b64 s[6:7], s[2:3]
	s_cbranch_execz .LBB11_64
; %bb.55:
	v_add_u32_e32 v84, -8, v0
	v_add_u32_e32 v87, -7, v0
	v_cmp_lt_u32_e32 vcc, 6, v84
	v_mov_b32_e32 v84, 7
	s_and_saveexec_b64 s[2:3], vcc
	s_cbranch_execz .LBB11_59
; %bb.56:
	v_and_b32_e32 v84, -8, v87
	v_sub_u32_e32 v86, 0, v84
	s_mov_b64 s[4:5], 14
	s_movk_i32 s10, 0x98
	s_mov_b64 s[8:9], 0
.LBB11_57:                              ; =>This Inner Loop Header: Depth=1
	s_lshl_b32 s11, s4, 1
	s_add_i32 s12, s11, -13
	v_mov_b32_e32 v102, s10
	s_add_i32 s13, s11, -14
	s_set_gpr_idx_on s12, gpr_idx(SRC0)
	v_mov_b32_e32 v97, v26
	s_set_gpr_idx_off
	s_add_i32 s14, s11, -11
	s_set_gpr_idx_on s13, gpr_idx(SRC0)
	v_mov_b32_e32 v96, v26
	s_set_gpr_idx_off
	ds_read2_b64 v[88:91], v102 offset1:1
	s_add_i32 s15, s11, -12
	s_set_gpr_idx_on s14, gpr_idx(SRC0)
	v_mov_b32_e32 v99, v26
	s_set_gpr_idx_off
	s_add_i32 s16, s11, -9
	s_set_gpr_idx_on s15, gpr_idx(SRC0)
	v_mov_b32_e32 v98, v26
	s_set_gpr_idx_off
	;; [unrolled: 4-line block ×4, first 2 shown]
	ds_read2_b64 v[92:95], v102 offset0:2 offset1:3
	s_add_i32 s19, s11, -8
	s_waitcnt lgkmcnt(1)
	v_fmac_f64_e32 v[82:83], v[96:97], v[88:89]
	s_set_gpr_idx_on s18, gpr_idx(SRC0)
	v_mov_b32_e32 v97, v26
	s_set_gpr_idx_off
	s_add_i32 s20, s11, -5
	v_fmac_f64_e32 v[82:83], v[98:99], v[90:91]
	s_set_gpr_idx_on s19, gpr_idx(SRC0)
	v_mov_b32_e32 v96, v26
	s_set_gpr_idx_off
	s_add_i32 s21, s11, -6
	s_set_gpr_idx_on s20, gpr_idx(SRC0)
	v_mov_b32_e32 v99, v26
	s_set_gpr_idx_off
	s_add_i32 s22, s11, -3
	;; [unrolled: 4-line block ×3, first 2 shown]
	ds_read2_b64 v[88:91], v102 offset0:4 offset1:5
	s_waitcnt lgkmcnt(1)
	v_fmac_f64_e32 v[82:83], v[100:101], v[92:93]
	s_set_gpr_idx_on s22, gpr_idx(SRC0)
	v_mov_b32_e32 v101, v26
	s_set_gpr_idx_off
	s_add_i32 s28, s11, -1
	v_fmac_f64_e32 v[82:83], v[96:97], v[94:95]
	s_set_gpr_idx_on s23, gpr_idx(SRC0)
	v_mov_b32_e32 v100, v26
	s_set_gpr_idx_off
	s_add_i32 s29, s11, -2
	s_set_gpr_idx_on s28, gpr_idx(SRC0)
	v_mov_b32_e32 v97, v26
	s_set_gpr_idx_off
	s_set_gpr_idx_on s29, gpr_idx(SRC0)
	v_mov_b32_e32 v96, v26
	s_set_gpr_idx_off
	ds_read2_b64 v[92:95], v102 offset0:6 offset1:7
	s_add_u32 s4, s4, 8
	s_waitcnt lgkmcnt(1)
	v_fmac_f64_e32 v[82:83], v[98:99], v[88:89]
	s_set_gpr_idx_on s11, gpr_idx(SRC0)
	v_mov_b32_e32 v89, v27
	s_set_gpr_idx_off
	v_add_u32_e32 v84, s4, v86
	v_fmac_f64_e32 v[82:83], v[100:101], v[90:91]
	s_set_gpr_idx_on s11, gpr_idx(SRC0)
	v_mov_b32_e32 v88, v26
	s_set_gpr_idx_off
	s_addc_u32 s5, s5, 0
	s_add_i32 s10, s10, 64
	s_add_i32 s12, s4, -7
	v_cmp_eq_u32_e32 vcc, 14, v84
	s_waitcnt lgkmcnt(0)
	v_fmac_f64_e32 v[82:83], v[96:97], v[92:93]
	v_mov_b32_e32 v84, s12
	s_or_b64 s[8:9], vcc, s[8:9]
	v_fmac_f64_e32 v[82:83], v[88:89], v[94:95]
	s_andn2_b64 exec, exec, s[8:9]
	s_cbranch_execnz .LBB11_57
; %bb.58:
	s_or_b64 exec, exec, s[8:9]
.LBB11_59:
	s_or_b64 exec, exec, s[2:3]
	v_and_b32_e32 v50, 7, v87
	v_cmp_ne_u32_e32 vcc, 0, v50
	s_and_saveexec_b64 s[8:9], vcc
	s_cbranch_execz .LBB11_63
; %bb.60:
	v_mov_b32_e32 v51, 0x60
	v_lshl_add_u32 v52, v84, 3, v51
	v_mov_b32_e32 v51, 0
	s_mov_b64 s[10:11], 0
.LBB11_61:                              ; =>This Inner Loop Header: Depth=1
	v_cmp_eq_u32_e32 vcc, 1, v84
	v_cndmask_b32_e32 v53, v27, v29, vcc
	v_add_u32_e32 v50, -1, v50
	v_cmp_eq_u32_e64 s[2:3], 2, v84
	v_cndmask_b32_e64 v53, v53, v31, s[2:3]
	v_cndmask_b32_e32 v56, v26, v28, vcc
	v_cmp_eq_u32_e32 vcc, 0, v50
	v_cmp_eq_u32_e64 s[4:5], 3, v84
	v_cndmask_b32_e64 v53, v53, v33, s[4:5]
	v_cndmask_b32_e64 v56, v56, v30, s[2:3]
	s_or_b64 s[10:11], vcc, s[10:11]
	v_cmp_eq_u32_e32 vcc, 4, v84
	v_cndmask_b32_e32 v53, v53, v35, vcc
	v_cndmask_b32_e64 v56, v56, v32, s[4:5]
	v_cmp_eq_u32_e64 s[2:3], 5, v84
	v_cndmask_b32_e64 v53, v53, v37, s[2:3]
	v_cndmask_b32_e32 v56, v56, v34, vcc
	v_cmp_eq_u32_e32 vcc, 6, v84
	v_cndmask_b32_e32 v53, v53, v39, vcc
	v_cndmask_b32_e64 v56, v56, v36, s[2:3]
	v_cmp_eq_u32_e64 s[2:3], 7, v84
	v_cndmask_b32_e64 v53, v53, v41, s[2:3]
	v_cndmask_b32_e32 v56, v56, v38, vcc
	v_cmp_eq_u32_e32 vcc, 8, v84
	ds_read_b64 v[54:55], v52
	v_cndmask_b32_e32 v53, v53, v43, vcc
	v_cndmask_b32_e64 v56, v56, v40, s[2:3]
	v_cmp_eq_u32_e64 s[2:3], 9, v84
	v_cndmask_b32_e64 v53, v53, v45, s[2:3]
	v_cndmask_b32_e32 v56, v56, v42, vcc
	v_cmp_eq_u32_e32 vcc, 10, v84
	v_cndmask_b32_e32 v53, v53, v47, vcc
	v_cmp_eq_u32_e64 s[4:5], 11, v84
	v_cndmask_b32_e64 v56, v56, v44, s[2:3]
	v_cndmask_b32_e64 v57, v53, v49, s[4:5]
	v_cndmask_b32_e32 v53, v56, v46, vcc
	v_add_co_u32_e64 v84, s[2:3], 1, v84
	v_cndmask_b32_e64 v56, v53, v48, s[4:5]
	v_add_u32_e32 v52, 8, v52
	v_addc_co_u32_e64 v51, s[2:3], 0, v51, s[2:3]
	s_waitcnt lgkmcnt(0)
	v_fmac_f64_e32 v[82:83], v[56:57], v[54:55]
	s_andn2_b64 exec, exec, s[10:11]
	s_cbranch_execnz .LBB11_61
; %bb.62:
	s_or_b64 exec, exec, s[10:11]
.LBB11_63:
	s_or_b64 exec, exec, s[8:9]
.LBB11_64:
	s_or_b64 exec, exec, s[6:7]
	v_mov_b32_e32 v38, 0
	ds_read_b64 v[38:39], v38 offset:48
	s_waitcnt lgkmcnt(0)
	v_mul_f64 v[38:39], v[82:83], v[38:39]
.LBB11_65:
	s_or_b64 exec, exec, s[24:25]
	v_cmp_lt_u32_e64 s[2:3], 5, v0
	ds_write_b64 v85, v[36:37]
	s_waitcnt lgkmcnt(0)
	; wave barrier
	s_waitcnt lgkmcnt(0)
	s_and_saveexec_b64 s[24:25], s[2:3]
	s_cbranch_execz .LBB11_81
; %bb.66:
	s_andn2_b64 vcc, exec, s[26:27]
	s_cbranch_vccnz .LBB11_68
; %bb.67:
	v_cmp_eq_u32_e32 vcc, 1, v0
	v_cndmask_b32_e32 v82, v27, v29, vcc
	v_cmp_eq_u32_e64 s[4:5], 2, v0
	v_cndmask_b32_e64 v82, v82, v31, s[4:5]
	v_cmp_eq_u32_e64 s[6:7], 3, v0
	v_cndmask_b32_e64 v82, v82, v33, s[6:7]
	;; [unrolled: 2-line block ×10, first 2 shown]
	v_cndmask_b32_e32 v82, v26, v28, vcc
	v_cndmask_b32_e64 v82, v82, v30, s[4:5]
	v_cndmask_b32_e64 v82, v82, v32, s[6:7]
	;; [unrolled: 1-line block ×6, first 2 shown]
	ds_read_b64 v[86:87], v85
	v_cndmask_b32_e64 v82, v82, v42, s[16:17]
	v_cndmask_b32_e64 v82, v82, v44, s[18:19]
	;; [unrolled: 1-line block ×4, first 2 shown]
	s_waitcnt lgkmcnt(0)
	v_mul_f64 v[82:83], v[82:83], v[86:87]
	s_cbranch_execz .LBB11_69
	s_branch .LBB11_70
.LBB11_68:
                                        ; implicit-def: $vgpr82_vgpr83
.LBB11_69:
	ds_read_b64 v[82:83], v85
.LBB11_70:
	s_and_saveexec_b64 s[6:7], s[0:1]
	s_cbranch_execz .LBB11_80
; %bb.71:
	v_add_u32_e32 v84, -7, v0
	v_add_u32_e32 v87, -6, v0
	v_cmp_lt_u32_e32 vcc, 6, v84
	v_mov_b32_e32 v84, 6
	s_and_saveexec_b64 s[0:1], vcc
	s_cbranch_execz .LBB11_75
; %bb.72:
	v_and_b32_e32 v84, -8, v87
	v_sub_u32_e32 v86, 0, v84
	s_mov_b64 s[4:5], 13
	s_movk_i32 s10, 0x90
	s_mov_b64 s[8:9], 0
.LBB11_73:                              ; =>This Inner Loop Header: Depth=1
	s_lshl_b32 s11, s4, 1
	s_add_i32 s12, s11, -13
	s_add_i32 s13, s11, -14
	s_set_gpr_idx_on s12, gpr_idx(SRC0)
	v_mov_b32_e32 v105, v26
	s_set_gpr_idx_off
	v_mov_b32_e32 v84, s10
	s_add_i32 s14, s11, -11
	s_set_gpr_idx_on s13, gpr_idx(SRC0)
	v_mov_b32_e32 v104, v26
	s_set_gpr_idx_off
	s_add_i32 s15, s11, -12
	ds_read_b128 v[88:91], v84
	ds_read_b128 v[92:95], v84 offset:16
	ds_read_b128 v[96:99], v84 offset:32
	;; [unrolled: 1-line block ×3, first 2 shown]
	s_set_gpr_idx_on s14, gpr_idx(SRC0)
	v_mov_b32_e32 v107, v26
	s_set_gpr_idx_off
	s_add_i32 s16, s11, -9
	s_set_gpr_idx_on s15, gpr_idx(SRC0)
	v_mov_b32_e32 v106, v26
	s_set_gpr_idx_off
	s_add_i32 s17, s11, -10
	;; [unrolled: 4-line block ×4, first 2 shown]
	s_waitcnt lgkmcnt(3)
	v_fmac_f64_e32 v[82:83], v[104:105], v[88:89]
	s_set_gpr_idx_on s18, gpr_idx(SRC0)
	v_mov_b32_e32 v89, v26
	s_set_gpr_idx_off
	s_add_i32 s20, s11, -5
	v_fmac_f64_e32 v[82:83], v[106:107], v[90:91]
	s_set_gpr_idx_on s19, gpr_idx(SRC0)
	v_mov_b32_e32 v88, v26
	s_set_gpr_idx_off
	s_add_i32 s21, s11, -6
	s_waitcnt lgkmcnt(2)
	v_fmac_f64_e32 v[82:83], v[108:109], v[92:93]
	s_set_gpr_idx_on s20, gpr_idx(SRC0)
	v_mov_b32_e32 v91, v26
	s_set_gpr_idx_off
	s_add_i32 s22, s11, -3
	v_fmac_f64_e32 v[82:83], v[88:89], v[94:95]
	s_set_gpr_idx_on s21, gpr_idx(SRC0)
	v_mov_b32_e32 v90, v26
	s_set_gpr_idx_off
	s_add_i32 s23, s11, -4
	s_waitcnt lgkmcnt(1)
	v_fmac_f64_e32 v[82:83], v[90:91], v[96:97]
	s_set_gpr_idx_on s22, gpr_idx(SRC0)
	v_mov_b32_e32 v89, v26
	s_set_gpr_idx_off
	s_add_i32 s28, s11, -1
	s_set_gpr_idx_on s23, gpr_idx(SRC0)
	v_mov_b32_e32 v88, v26
	s_set_gpr_idx_off
	s_add_i32 s29, s11, -2
	v_fmac_f64_e32 v[82:83], v[88:89], v[98:99]
	s_set_gpr_idx_on s28, gpr_idx(SRC0)
	v_mov_b32_e32 v89, v26
	s_set_gpr_idx_off
	s_add_u32 s4, s4, 8
	s_set_gpr_idx_on s29, gpr_idx(SRC0)
	v_mov_b32_e32 v88, v26
	s_set_gpr_idx_off
	v_add_u32_e32 v84, s4, v86
	s_waitcnt lgkmcnt(0)
	v_fmac_f64_e32 v[82:83], v[88:89], v[100:101]
	s_set_gpr_idx_on s11, gpr_idx(SRC0)
	v_mov_b32_e32 v89, v27
	s_set_gpr_idx_off
	s_addc_u32 s5, s5, 0
	s_add_i32 s10, s10, 64
	s_add_i32 s12, s4, -7
	v_cmp_eq_u32_e32 vcc, 13, v84
	s_set_gpr_idx_on s11, gpr_idx(SRC0)
	v_mov_b32_e32 v88, v26
	s_set_gpr_idx_off
	v_mov_b32_e32 v84, s12
	s_or_b64 s[8:9], vcc, s[8:9]
	v_fmac_f64_e32 v[82:83], v[88:89], v[102:103]
	s_andn2_b64 exec, exec, s[8:9]
	s_cbranch_execnz .LBB11_73
; %bb.74:
	s_or_b64 exec, exec, s[8:9]
.LBB11_75:
	s_or_b64 exec, exec, s[0:1]
	v_and_b32_e32 v50, 7, v87
	v_cmp_ne_u32_e32 vcc, 0, v50
	s_and_saveexec_b64 s[8:9], vcc
	s_cbranch_execz .LBB11_79
; %bb.76:
	v_mov_b32_e32 v51, 0x60
	v_lshl_add_u32 v52, v84, 3, v51
	v_mov_b32_e32 v51, 0
	s_mov_b64 s[10:11], 0
.LBB11_77:                              ; =>This Inner Loop Header: Depth=1
	v_cmp_eq_u32_e32 vcc, 1, v84
	v_cndmask_b32_e32 v53, v27, v29, vcc
	v_add_u32_e32 v50, -1, v50
	v_cmp_eq_u32_e64 s[0:1], 2, v84
	v_cndmask_b32_e64 v53, v53, v31, s[0:1]
	v_cndmask_b32_e32 v56, v26, v28, vcc
	v_cmp_eq_u32_e32 vcc, 0, v50
	v_cmp_eq_u32_e64 s[4:5], 3, v84
	v_cndmask_b32_e64 v53, v53, v33, s[4:5]
	v_cndmask_b32_e64 v56, v56, v30, s[0:1]
	s_or_b64 s[10:11], vcc, s[10:11]
	v_cmp_eq_u32_e32 vcc, 4, v84
	v_cndmask_b32_e32 v53, v53, v35, vcc
	v_cndmask_b32_e64 v56, v56, v32, s[4:5]
	v_cmp_eq_u32_e64 s[0:1], 5, v84
	v_cndmask_b32_e64 v53, v53, v37, s[0:1]
	v_cndmask_b32_e32 v56, v56, v34, vcc
	v_cmp_eq_u32_e32 vcc, 6, v84
	v_cndmask_b32_e32 v53, v53, v39, vcc
	v_cndmask_b32_e64 v56, v56, v36, s[0:1]
	v_cmp_eq_u32_e64 s[0:1], 7, v84
	v_cndmask_b32_e64 v53, v53, v41, s[0:1]
	v_cndmask_b32_e32 v56, v56, v38, vcc
	v_cmp_eq_u32_e32 vcc, 8, v84
	ds_read_b64 v[54:55], v52
	v_cndmask_b32_e32 v53, v53, v43, vcc
	v_cndmask_b32_e64 v56, v56, v40, s[0:1]
	v_cmp_eq_u32_e64 s[0:1], 9, v84
	v_cndmask_b32_e64 v53, v53, v45, s[0:1]
	v_cndmask_b32_e32 v56, v56, v42, vcc
	v_cmp_eq_u32_e32 vcc, 10, v84
	v_cndmask_b32_e32 v53, v53, v47, vcc
	v_cmp_eq_u32_e64 s[4:5], 11, v84
	v_cndmask_b32_e64 v56, v56, v44, s[0:1]
	v_cndmask_b32_e64 v57, v53, v49, s[4:5]
	v_cndmask_b32_e32 v53, v56, v46, vcc
	v_add_co_u32_e64 v84, s[0:1], 1, v84
	v_cndmask_b32_e64 v56, v53, v48, s[4:5]
	v_add_u32_e32 v52, 8, v52
	v_addc_co_u32_e64 v51, s[0:1], 0, v51, s[0:1]
	s_waitcnt lgkmcnt(0)
	v_fmac_f64_e32 v[82:83], v[56:57], v[54:55]
	s_andn2_b64 exec, exec, s[10:11]
	s_cbranch_execnz .LBB11_77
; %bb.78:
	s_or_b64 exec, exec, s[10:11]
.LBB11_79:
	s_or_b64 exec, exec, s[8:9]
.LBB11_80:
	s_or_b64 exec, exec, s[6:7]
	v_mov_b32_e32 v36, 0
	ds_read_b64 v[36:37], v36 offset:40
	s_waitcnt lgkmcnt(0)
	v_mul_f64 v[36:37], v[82:83], v[36:37]
.LBB11_81:
	s_or_b64 exec, exec, s[24:25]
	v_cmp_lt_u32_e64 s[0:1], 4, v0
	ds_write_b64 v85, v[34:35]
	s_waitcnt lgkmcnt(0)
	; wave barrier
	s_waitcnt lgkmcnt(0)
	s_and_saveexec_b64 s[24:25], s[0:1]
	s_cbranch_execz .LBB11_97
; %bb.82:
	s_andn2_b64 vcc, exec, s[26:27]
	s_cbranch_vccnz .LBB11_84
; %bb.83:
	v_cmp_eq_u32_e32 vcc, 1, v0
	v_cndmask_b32_e32 v82, v27, v29, vcc
	v_cmp_eq_u32_e64 s[4:5], 2, v0
	v_cndmask_b32_e64 v82, v82, v31, s[4:5]
	v_cmp_eq_u32_e64 s[6:7], 3, v0
	v_cndmask_b32_e64 v82, v82, v33, s[6:7]
	;; [unrolled: 2-line block ×10, first 2 shown]
	v_cndmask_b32_e32 v82, v26, v28, vcc
	v_cndmask_b32_e64 v82, v82, v30, s[4:5]
	v_cndmask_b32_e64 v82, v82, v32, s[6:7]
	;; [unrolled: 1-line block ×6, first 2 shown]
	ds_read_b64 v[86:87], v85
	v_cndmask_b32_e64 v82, v82, v42, s[16:17]
	v_cndmask_b32_e64 v82, v82, v44, s[18:19]
	v_cndmask_b32_e64 v82, v82, v46, s[20:21]
	v_cndmask_b32_e64 v82, v82, v48, s[22:23]
	s_waitcnt lgkmcnt(0)
	v_mul_f64 v[82:83], v[82:83], v[86:87]
	s_cbranch_execz .LBB11_85
	s_branch .LBB11_86
.LBB11_84:
                                        ; implicit-def: $vgpr82_vgpr83
.LBB11_85:
	ds_read_b64 v[82:83], v85
.LBB11_86:
	s_and_saveexec_b64 s[6:7], s[2:3]
	s_cbranch_execz .LBB11_96
; %bb.87:
	v_add_u32_e32 v84, -6, v0
	v_add_u32_e32 v87, -5, v0
	v_cmp_lt_u32_e32 vcc, 6, v84
	v_mov_b32_e32 v84, 5
	s_and_saveexec_b64 s[2:3], vcc
	s_cbranch_execz .LBB11_91
; %bb.88:
	v_and_b32_e32 v84, -8, v87
	v_sub_u32_e32 v86, 0, v84
	s_mov_b64 s[4:5], 12
	s_movk_i32 s10, 0x88
	s_mov_b64 s[8:9], 0
.LBB11_89:                              ; =>This Inner Loop Header: Depth=1
	s_lshl_b32 s11, s4, 1
	s_add_i32 s12, s11, -13
	v_mov_b32_e32 v102, s10
	s_add_i32 s13, s11, -14
	s_set_gpr_idx_on s12, gpr_idx(SRC0)
	v_mov_b32_e32 v97, v26
	s_set_gpr_idx_off
	s_add_i32 s14, s11, -11
	s_set_gpr_idx_on s13, gpr_idx(SRC0)
	v_mov_b32_e32 v96, v26
	s_set_gpr_idx_off
	ds_read2_b64 v[88:91], v102 offset1:1
	s_add_i32 s15, s11, -12
	s_set_gpr_idx_on s14, gpr_idx(SRC0)
	v_mov_b32_e32 v99, v26
	s_set_gpr_idx_off
	s_add_i32 s16, s11, -9
	s_set_gpr_idx_on s15, gpr_idx(SRC0)
	v_mov_b32_e32 v98, v26
	s_set_gpr_idx_off
	;; [unrolled: 4-line block ×4, first 2 shown]
	ds_read2_b64 v[92:95], v102 offset0:2 offset1:3
	s_add_i32 s19, s11, -8
	s_waitcnt lgkmcnt(1)
	v_fmac_f64_e32 v[82:83], v[96:97], v[88:89]
	s_set_gpr_idx_on s18, gpr_idx(SRC0)
	v_mov_b32_e32 v97, v26
	s_set_gpr_idx_off
	s_add_i32 s20, s11, -5
	v_fmac_f64_e32 v[82:83], v[98:99], v[90:91]
	s_set_gpr_idx_on s19, gpr_idx(SRC0)
	v_mov_b32_e32 v96, v26
	s_set_gpr_idx_off
	s_add_i32 s21, s11, -6
	s_set_gpr_idx_on s20, gpr_idx(SRC0)
	v_mov_b32_e32 v99, v26
	s_set_gpr_idx_off
	s_add_i32 s22, s11, -3
	;; [unrolled: 4-line block ×3, first 2 shown]
	ds_read2_b64 v[88:91], v102 offset0:4 offset1:5
	s_waitcnt lgkmcnt(1)
	v_fmac_f64_e32 v[82:83], v[100:101], v[92:93]
	s_set_gpr_idx_on s22, gpr_idx(SRC0)
	v_mov_b32_e32 v101, v26
	s_set_gpr_idx_off
	s_add_i32 s28, s11, -1
	v_fmac_f64_e32 v[82:83], v[96:97], v[94:95]
	s_set_gpr_idx_on s23, gpr_idx(SRC0)
	v_mov_b32_e32 v100, v26
	s_set_gpr_idx_off
	s_add_i32 s29, s11, -2
	s_set_gpr_idx_on s28, gpr_idx(SRC0)
	v_mov_b32_e32 v97, v26
	s_set_gpr_idx_off
	s_set_gpr_idx_on s29, gpr_idx(SRC0)
	v_mov_b32_e32 v96, v26
	s_set_gpr_idx_off
	ds_read2_b64 v[92:95], v102 offset0:6 offset1:7
	s_add_u32 s4, s4, 8
	s_waitcnt lgkmcnt(1)
	v_fmac_f64_e32 v[82:83], v[98:99], v[88:89]
	s_set_gpr_idx_on s11, gpr_idx(SRC0)
	v_mov_b32_e32 v89, v27
	s_set_gpr_idx_off
	v_add_u32_e32 v84, s4, v86
	v_fmac_f64_e32 v[82:83], v[100:101], v[90:91]
	s_set_gpr_idx_on s11, gpr_idx(SRC0)
	v_mov_b32_e32 v88, v26
	s_set_gpr_idx_off
	s_addc_u32 s5, s5, 0
	s_add_i32 s10, s10, 64
	s_add_i32 s12, s4, -7
	v_cmp_eq_u32_e32 vcc, 12, v84
	s_waitcnt lgkmcnt(0)
	v_fmac_f64_e32 v[82:83], v[96:97], v[92:93]
	v_mov_b32_e32 v84, s12
	s_or_b64 s[8:9], vcc, s[8:9]
	v_fmac_f64_e32 v[82:83], v[88:89], v[94:95]
	s_andn2_b64 exec, exec, s[8:9]
	s_cbranch_execnz .LBB11_89
; %bb.90:
	s_or_b64 exec, exec, s[8:9]
.LBB11_91:
	s_or_b64 exec, exec, s[2:3]
	v_and_b32_e32 v50, 7, v87
	v_cmp_ne_u32_e32 vcc, 0, v50
	s_and_saveexec_b64 s[8:9], vcc
	s_cbranch_execz .LBB11_95
; %bb.92:
	v_mov_b32_e32 v51, 0x60
	v_lshl_add_u32 v52, v84, 3, v51
	v_mov_b32_e32 v51, 0
	s_mov_b64 s[10:11], 0
.LBB11_93:                              ; =>This Inner Loop Header: Depth=1
	v_cmp_eq_u32_e32 vcc, 1, v84
	v_cndmask_b32_e32 v53, v27, v29, vcc
	v_add_u32_e32 v50, -1, v50
	v_cmp_eq_u32_e64 s[2:3], 2, v84
	v_cndmask_b32_e64 v53, v53, v31, s[2:3]
	v_cndmask_b32_e32 v56, v26, v28, vcc
	v_cmp_eq_u32_e32 vcc, 0, v50
	v_cmp_eq_u32_e64 s[4:5], 3, v84
	v_cndmask_b32_e64 v53, v53, v33, s[4:5]
	v_cndmask_b32_e64 v56, v56, v30, s[2:3]
	s_or_b64 s[10:11], vcc, s[10:11]
	v_cmp_eq_u32_e32 vcc, 4, v84
	v_cndmask_b32_e32 v53, v53, v35, vcc
	v_cndmask_b32_e64 v56, v56, v32, s[4:5]
	v_cmp_eq_u32_e64 s[2:3], 5, v84
	v_cndmask_b32_e64 v53, v53, v37, s[2:3]
	v_cndmask_b32_e32 v56, v56, v34, vcc
	v_cmp_eq_u32_e32 vcc, 6, v84
	v_cndmask_b32_e32 v53, v53, v39, vcc
	v_cndmask_b32_e64 v56, v56, v36, s[2:3]
	v_cmp_eq_u32_e64 s[2:3], 7, v84
	v_cndmask_b32_e64 v53, v53, v41, s[2:3]
	v_cndmask_b32_e32 v56, v56, v38, vcc
	v_cmp_eq_u32_e32 vcc, 8, v84
	ds_read_b64 v[54:55], v52
	v_cndmask_b32_e32 v53, v53, v43, vcc
	v_cndmask_b32_e64 v56, v56, v40, s[2:3]
	v_cmp_eq_u32_e64 s[2:3], 9, v84
	v_cndmask_b32_e64 v53, v53, v45, s[2:3]
	v_cndmask_b32_e32 v56, v56, v42, vcc
	v_cmp_eq_u32_e32 vcc, 10, v84
	v_cndmask_b32_e32 v53, v53, v47, vcc
	v_cmp_eq_u32_e64 s[4:5], 11, v84
	v_cndmask_b32_e64 v56, v56, v44, s[2:3]
	v_cndmask_b32_e64 v57, v53, v49, s[4:5]
	v_cndmask_b32_e32 v53, v56, v46, vcc
	v_add_co_u32_e64 v84, s[2:3], 1, v84
	v_cndmask_b32_e64 v56, v53, v48, s[4:5]
	v_add_u32_e32 v52, 8, v52
	v_addc_co_u32_e64 v51, s[2:3], 0, v51, s[2:3]
	s_waitcnt lgkmcnt(0)
	v_fmac_f64_e32 v[82:83], v[56:57], v[54:55]
	s_andn2_b64 exec, exec, s[10:11]
	s_cbranch_execnz .LBB11_93
; %bb.94:
	s_or_b64 exec, exec, s[10:11]
.LBB11_95:
	s_or_b64 exec, exec, s[8:9]
.LBB11_96:
	s_or_b64 exec, exec, s[6:7]
	v_mov_b32_e32 v34, 0
	ds_read_b64 v[34:35], v34 offset:32
	s_waitcnt lgkmcnt(0)
	v_mul_f64 v[34:35], v[82:83], v[34:35]
.LBB11_97:
	s_or_b64 exec, exec, s[24:25]
	v_cmp_lt_u32_e64 s[2:3], 3, v0
	ds_write_b64 v85, v[32:33]
	s_waitcnt lgkmcnt(0)
	; wave barrier
	s_waitcnt lgkmcnt(0)
	s_and_saveexec_b64 s[24:25], s[2:3]
	s_cbranch_execz .LBB11_113
; %bb.98:
	s_andn2_b64 vcc, exec, s[26:27]
	s_cbranch_vccnz .LBB11_100
; %bb.99:
	v_cmp_eq_u32_e32 vcc, 1, v0
	v_cndmask_b32_e32 v82, v27, v29, vcc
	v_cmp_eq_u32_e64 s[4:5], 2, v0
	v_cndmask_b32_e64 v82, v82, v31, s[4:5]
	v_cmp_eq_u32_e64 s[6:7], 3, v0
	v_cndmask_b32_e64 v82, v82, v33, s[6:7]
	;; [unrolled: 2-line block ×10, first 2 shown]
	v_cndmask_b32_e32 v82, v26, v28, vcc
	v_cndmask_b32_e64 v82, v82, v30, s[4:5]
	v_cndmask_b32_e64 v82, v82, v32, s[6:7]
	;; [unrolled: 1-line block ×6, first 2 shown]
	ds_read_b64 v[86:87], v85
	v_cndmask_b32_e64 v82, v82, v42, s[16:17]
	v_cndmask_b32_e64 v82, v82, v44, s[18:19]
	;; [unrolled: 1-line block ×4, first 2 shown]
	s_waitcnt lgkmcnt(0)
	v_mul_f64 v[82:83], v[82:83], v[86:87]
	s_cbranch_execz .LBB11_101
	s_branch .LBB11_102
.LBB11_100:
                                        ; implicit-def: $vgpr82_vgpr83
.LBB11_101:
	ds_read_b64 v[82:83], v85
.LBB11_102:
	s_and_saveexec_b64 s[6:7], s[0:1]
	s_cbranch_execz .LBB11_112
; %bb.103:
	v_add_u32_e32 v84, -5, v0
	v_add_u32_e32 v87, -4, v0
	v_cmp_lt_u32_e32 vcc, 6, v84
	v_mov_b32_e32 v84, 4
	s_and_saveexec_b64 s[0:1], vcc
	s_cbranch_execz .LBB11_107
; %bb.104:
	v_and_b32_e32 v84, -8, v87
	v_sub_u32_e32 v86, 0, v84
	s_mov_b64 s[4:5], 5
	s_movk_i32 s10, 0x80
	s_mov_b64 s[8:9], 0
.LBB11_105:                             ; =>This Inner Loop Header: Depth=1
	s_lshl_b32 s11, s4, 1
	s_add_i32 s12, s11, -1
	s_add_i32 s13, s11, -2
	s_set_gpr_idx_on s12, gpr_idx(SRC0)
	v_mov_b32_e32 v105, v26
	s_set_gpr_idx_off
	v_mov_b32_e32 v84, s10
	s_set_gpr_idx_on s13, gpr_idx(SRC0)
	v_mov_b32_e32 v104, v26
	s_set_gpr_idx_off
	ds_read_b128 v[88:91], v84
	ds_read_b128 v[92:95], v84 offset:16
	ds_read_b128 v[96:99], v84 offset:32
	;; [unrolled: 1-line block ×3, first 2 shown]
	s_set_gpr_idx_on s11, gpr_idx(SRC0)
	v_mov_b32_e32 v107, v27
	s_add_i32 s14, s11, 3
	v_mov_b32_e32 v106, v26
	s_set_gpr_idx_off
	s_add_i32 s15, s11, 2
	s_set_gpr_idx_on s14, gpr_idx(SRC0)
	v_mov_b32_e32 v109, v26
	s_set_gpr_idx_off
	s_add_i32 s16, s11, 5
	s_set_gpr_idx_on s15, gpr_idx(SRC0)
	v_mov_b32_e32 v108, v26
	s_set_gpr_idx_off
	s_add_i32 s17, s11, 4
	s_waitcnt lgkmcnt(3)
	v_fmac_f64_e32 v[82:83], v[104:105], v[88:89]
	s_set_gpr_idx_on s16, gpr_idx(SRC0)
	v_mov_b32_e32 v89, v26
	s_set_gpr_idx_off
	s_add_i32 s18, s11, 7
	v_fmac_f64_e32 v[82:83], v[106:107], v[90:91]
	s_set_gpr_idx_on s17, gpr_idx(SRC0)
	v_mov_b32_e32 v88, v26
	s_set_gpr_idx_off
	s_add_i32 s19, s11, 6
	s_waitcnt lgkmcnt(2)
	v_fmac_f64_e32 v[82:83], v[108:109], v[92:93]
	s_set_gpr_idx_on s18, gpr_idx(SRC0)
	v_mov_b32_e32 v91, v26
	s_set_gpr_idx_off
	s_add_i32 s20, s11, 9
	v_fmac_f64_e32 v[82:83], v[88:89], v[94:95]
	s_set_gpr_idx_on s19, gpr_idx(SRC0)
	v_mov_b32_e32 v90, v26
	s_set_gpr_idx_off
	s_add_i32 s21, s11, 8
	s_waitcnt lgkmcnt(1)
	v_fmac_f64_e32 v[82:83], v[90:91], v[96:97]
	s_set_gpr_idx_on s20, gpr_idx(SRC0)
	v_mov_b32_e32 v89, v26
	s_set_gpr_idx_off
	s_add_i32 s22, s11, 11
	s_set_gpr_idx_on s21, gpr_idx(SRC0)
	v_mov_b32_e32 v88, v26
	s_set_gpr_idx_off
	s_add_i32 s23, s11, 10
	s_add_i32 s28, s11, 13
	;; [unrolled: 1-line block ×3, first 2 shown]
	v_fmac_f64_e32 v[82:83], v[88:89], v[98:99]
	s_set_gpr_idx_on s22, gpr_idx(SRC0)
	v_mov_b32_e32 v89, v26
	s_set_gpr_idx_off
	s_add_u32 s4, s4, 8
	s_set_gpr_idx_on s23, gpr_idx(SRC0)
	v_mov_b32_e32 v88, v26
	s_set_gpr_idx_off
	v_add_u32_e32 v84, s4, v86
	s_waitcnt lgkmcnt(0)
	v_fmac_f64_e32 v[82:83], v[88:89], v[100:101]
	s_set_gpr_idx_on s28, gpr_idx(SRC0)
	v_mov_b32_e32 v89, v26
	s_set_gpr_idx_off
	s_addc_u32 s5, s5, 0
	s_add_i32 s10, s10, 64
	s_add_i32 s12, s4, -1
	v_cmp_eq_u32_e32 vcc, 5, v84
	s_set_gpr_idx_on s29, gpr_idx(SRC0)
	v_mov_b32_e32 v88, v26
	s_set_gpr_idx_off
	v_mov_b32_e32 v84, s12
	s_or_b64 s[8:9], vcc, s[8:9]
	v_fmac_f64_e32 v[82:83], v[88:89], v[102:103]
	s_andn2_b64 exec, exec, s[8:9]
	s_cbranch_execnz .LBB11_105
; %bb.106:
	s_or_b64 exec, exec, s[8:9]
.LBB11_107:
	s_or_b64 exec, exec, s[0:1]
	v_and_b32_e32 v50, 7, v87
	v_cmp_ne_u32_e32 vcc, 0, v50
	s_and_saveexec_b64 s[8:9], vcc
	s_cbranch_execz .LBB11_111
; %bb.108:
	v_mov_b32_e32 v51, 0x60
	v_lshl_add_u32 v52, v84, 3, v51
	v_mov_b32_e32 v51, 0
	s_mov_b64 s[10:11], 0
.LBB11_109:                             ; =>This Inner Loop Header: Depth=1
	v_cmp_eq_u32_e32 vcc, 1, v84
	v_cndmask_b32_e32 v53, v27, v29, vcc
	v_add_u32_e32 v50, -1, v50
	v_cmp_eq_u32_e64 s[0:1], 2, v84
	v_cndmask_b32_e64 v53, v53, v31, s[0:1]
	v_cndmask_b32_e32 v56, v26, v28, vcc
	v_cmp_eq_u32_e32 vcc, 0, v50
	v_cmp_eq_u32_e64 s[4:5], 3, v84
	v_cndmask_b32_e64 v53, v53, v33, s[4:5]
	v_cndmask_b32_e64 v56, v56, v30, s[0:1]
	s_or_b64 s[10:11], vcc, s[10:11]
	v_cmp_eq_u32_e32 vcc, 4, v84
	v_cndmask_b32_e32 v53, v53, v35, vcc
	v_cndmask_b32_e64 v56, v56, v32, s[4:5]
	v_cmp_eq_u32_e64 s[0:1], 5, v84
	v_cndmask_b32_e64 v53, v53, v37, s[0:1]
	v_cndmask_b32_e32 v56, v56, v34, vcc
	v_cmp_eq_u32_e32 vcc, 6, v84
	v_cndmask_b32_e32 v53, v53, v39, vcc
	v_cndmask_b32_e64 v56, v56, v36, s[0:1]
	v_cmp_eq_u32_e64 s[0:1], 7, v84
	v_cndmask_b32_e64 v53, v53, v41, s[0:1]
	v_cndmask_b32_e32 v56, v56, v38, vcc
	v_cmp_eq_u32_e32 vcc, 8, v84
	ds_read_b64 v[54:55], v52
	v_cndmask_b32_e32 v53, v53, v43, vcc
	v_cndmask_b32_e64 v56, v56, v40, s[0:1]
	v_cmp_eq_u32_e64 s[0:1], 9, v84
	v_cndmask_b32_e64 v53, v53, v45, s[0:1]
	v_cndmask_b32_e32 v56, v56, v42, vcc
	v_cmp_eq_u32_e32 vcc, 10, v84
	v_cndmask_b32_e32 v53, v53, v47, vcc
	v_cmp_eq_u32_e64 s[4:5], 11, v84
	v_cndmask_b32_e64 v56, v56, v44, s[0:1]
	v_cndmask_b32_e64 v57, v53, v49, s[4:5]
	v_cndmask_b32_e32 v53, v56, v46, vcc
	v_add_co_u32_e64 v84, s[0:1], 1, v84
	v_cndmask_b32_e64 v56, v53, v48, s[4:5]
	v_add_u32_e32 v52, 8, v52
	v_addc_co_u32_e64 v51, s[0:1], 0, v51, s[0:1]
	s_waitcnt lgkmcnt(0)
	v_fmac_f64_e32 v[82:83], v[56:57], v[54:55]
	s_andn2_b64 exec, exec, s[10:11]
	s_cbranch_execnz .LBB11_109
; %bb.110:
	s_or_b64 exec, exec, s[10:11]
.LBB11_111:
	s_or_b64 exec, exec, s[8:9]
.LBB11_112:
	s_or_b64 exec, exec, s[6:7]
	v_mov_b32_e32 v32, 0
	ds_read_b64 v[32:33], v32 offset:24
	s_waitcnt lgkmcnt(0)
	v_mul_f64 v[32:33], v[82:83], v[32:33]
.LBB11_113:
	s_or_b64 exec, exec, s[24:25]
	v_cmp_lt_u32_e64 s[0:1], 2, v0
	ds_write_b64 v85, v[30:31]
	s_waitcnt lgkmcnt(0)
	; wave barrier
	s_waitcnt lgkmcnt(0)
	s_and_saveexec_b64 s[24:25], s[0:1]
	s_cbranch_execz .LBB11_129
; %bb.114:
	s_andn2_b64 vcc, exec, s[26:27]
	s_cbranch_vccnz .LBB11_116
; %bb.115:
	v_cmp_eq_u32_e32 vcc, 1, v0
	v_cndmask_b32_e32 v82, v27, v29, vcc
	v_cmp_eq_u32_e64 s[4:5], 2, v0
	v_cndmask_b32_e64 v82, v82, v31, s[4:5]
	v_cmp_eq_u32_e64 s[6:7], 3, v0
	v_cndmask_b32_e64 v82, v82, v33, s[6:7]
	;; [unrolled: 2-line block ×10, first 2 shown]
	v_cndmask_b32_e32 v82, v26, v28, vcc
	v_cndmask_b32_e64 v82, v82, v30, s[4:5]
	v_cndmask_b32_e64 v82, v82, v32, s[6:7]
	;; [unrolled: 1-line block ×6, first 2 shown]
	ds_read_b64 v[86:87], v85
	v_cndmask_b32_e64 v82, v82, v42, s[16:17]
	v_cndmask_b32_e64 v82, v82, v44, s[18:19]
	;; [unrolled: 1-line block ×4, first 2 shown]
	s_waitcnt lgkmcnt(0)
	v_mul_f64 v[82:83], v[82:83], v[86:87]
	s_cbranch_execz .LBB11_117
	s_branch .LBB11_118
.LBB11_116:
                                        ; implicit-def: $vgpr82_vgpr83
.LBB11_117:
	ds_read_b64 v[82:83], v85
.LBB11_118:
	s_and_saveexec_b64 s[6:7], s[2:3]
	s_cbranch_execz .LBB11_128
; %bb.119:
	v_add_u32_e32 v84, -4, v0
	v_add_u32_e32 v87, -3, v0
	v_cmp_lt_u32_e32 vcc, 6, v84
	v_mov_b32_e32 v84, 3
	s_and_saveexec_b64 s[2:3], vcc
	s_cbranch_execz .LBB11_123
; %bb.120:
	v_and_b32_e32 v84, -8, v87
	v_sub_u32_e32 v86, 0, v84
	s_mov_b64 s[4:5], 10
	s_movk_i32 s10, 0x78
	s_mov_b64 s[8:9], 0
.LBB11_121:                             ; =>This Inner Loop Header: Depth=1
	s_lshl_b32 s11, s4, 1
	s_add_i32 s12, s11, -13
	v_mov_b32_e32 v102, s10
	s_add_i32 s13, s11, -14
	s_set_gpr_idx_on s12, gpr_idx(SRC0)
	v_mov_b32_e32 v97, v26
	s_set_gpr_idx_off
	s_add_i32 s14, s11, -11
	s_set_gpr_idx_on s13, gpr_idx(SRC0)
	v_mov_b32_e32 v96, v26
	s_set_gpr_idx_off
	ds_read2_b64 v[88:91], v102 offset1:1
	s_add_i32 s15, s11, -12
	s_set_gpr_idx_on s14, gpr_idx(SRC0)
	v_mov_b32_e32 v99, v26
	s_set_gpr_idx_off
	s_add_i32 s16, s11, -9
	s_set_gpr_idx_on s15, gpr_idx(SRC0)
	v_mov_b32_e32 v98, v26
	s_set_gpr_idx_off
	;; [unrolled: 4-line block ×4, first 2 shown]
	ds_read2_b64 v[92:95], v102 offset0:2 offset1:3
	s_add_i32 s19, s11, -8
	s_waitcnt lgkmcnt(1)
	v_fmac_f64_e32 v[82:83], v[96:97], v[88:89]
	s_set_gpr_idx_on s18, gpr_idx(SRC0)
	v_mov_b32_e32 v97, v26
	s_set_gpr_idx_off
	s_add_i32 s20, s11, -5
	v_fmac_f64_e32 v[82:83], v[98:99], v[90:91]
	s_set_gpr_idx_on s19, gpr_idx(SRC0)
	v_mov_b32_e32 v96, v26
	s_set_gpr_idx_off
	s_add_i32 s21, s11, -6
	s_set_gpr_idx_on s20, gpr_idx(SRC0)
	v_mov_b32_e32 v99, v26
	s_set_gpr_idx_off
	s_add_i32 s22, s11, -3
	s_set_gpr_idx_on s21, gpr_idx(SRC0)
	v_mov_b32_e32 v98, v26
	s_set_gpr_idx_off
	s_add_i32 s23, s11, -4
	ds_read2_b64 v[88:91], v102 offset0:4 offset1:5
	s_waitcnt lgkmcnt(1)
	v_fmac_f64_e32 v[82:83], v[100:101], v[92:93]
	s_set_gpr_idx_on s22, gpr_idx(SRC0)
	v_mov_b32_e32 v101, v26
	s_set_gpr_idx_off
	s_add_i32 s28, s11, -1
	v_fmac_f64_e32 v[82:83], v[96:97], v[94:95]
	s_set_gpr_idx_on s23, gpr_idx(SRC0)
	v_mov_b32_e32 v100, v26
	s_set_gpr_idx_off
	s_add_i32 s29, s11, -2
	s_set_gpr_idx_on s28, gpr_idx(SRC0)
	v_mov_b32_e32 v97, v26
	s_set_gpr_idx_off
	s_set_gpr_idx_on s29, gpr_idx(SRC0)
	v_mov_b32_e32 v96, v26
	s_set_gpr_idx_off
	ds_read2_b64 v[92:95], v102 offset0:6 offset1:7
	s_add_u32 s4, s4, 8
	s_waitcnt lgkmcnt(1)
	v_fmac_f64_e32 v[82:83], v[98:99], v[88:89]
	s_set_gpr_idx_on s11, gpr_idx(SRC0)
	v_mov_b32_e32 v89, v27
	s_set_gpr_idx_off
	v_add_u32_e32 v84, s4, v86
	v_fmac_f64_e32 v[82:83], v[100:101], v[90:91]
	s_set_gpr_idx_on s11, gpr_idx(SRC0)
	v_mov_b32_e32 v88, v26
	s_set_gpr_idx_off
	s_addc_u32 s5, s5, 0
	s_add_i32 s10, s10, 64
	s_add_i32 s12, s4, -7
	v_cmp_eq_u32_e32 vcc, 10, v84
	s_waitcnt lgkmcnt(0)
	v_fmac_f64_e32 v[82:83], v[96:97], v[92:93]
	v_mov_b32_e32 v84, s12
	s_or_b64 s[8:9], vcc, s[8:9]
	v_fmac_f64_e32 v[82:83], v[88:89], v[94:95]
	s_andn2_b64 exec, exec, s[8:9]
	s_cbranch_execnz .LBB11_121
; %bb.122:
	s_or_b64 exec, exec, s[8:9]
.LBB11_123:
	s_or_b64 exec, exec, s[2:3]
	v_and_b32_e32 v50, 7, v87
	v_cmp_ne_u32_e32 vcc, 0, v50
	s_and_saveexec_b64 s[8:9], vcc
	s_cbranch_execz .LBB11_127
; %bb.124:
	v_mov_b32_e32 v51, 0x60
	v_lshl_add_u32 v52, v84, 3, v51
	v_mov_b32_e32 v51, 0
	s_mov_b64 s[10:11], 0
.LBB11_125:                             ; =>This Inner Loop Header: Depth=1
	v_cmp_eq_u32_e32 vcc, 1, v84
	v_cndmask_b32_e32 v53, v27, v29, vcc
	v_add_u32_e32 v50, -1, v50
	v_cmp_eq_u32_e64 s[2:3], 2, v84
	v_cndmask_b32_e64 v53, v53, v31, s[2:3]
	v_cndmask_b32_e32 v56, v26, v28, vcc
	v_cmp_eq_u32_e32 vcc, 0, v50
	v_cmp_eq_u32_e64 s[4:5], 3, v84
	v_cndmask_b32_e64 v53, v53, v33, s[4:5]
	v_cndmask_b32_e64 v56, v56, v30, s[2:3]
	s_or_b64 s[10:11], vcc, s[10:11]
	v_cmp_eq_u32_e32 vcc, 4, v84
	v_cndmask_b32_e32 v53, v53, v35, vcc
	v_cndmask_b32_e64 v56, v56, v32, s[4:5]
	v_cmp_eq_u32_e64 s[2:3], 5, v84
	v_cndmask_b32_e64 v53, v53, v37, s[2:3]
	v_cndmask_b32_e32 v56, v56, v34, vcc
	v_cmp_eq_u32_e32 vcc, 6, v84
	v_cndmask_b32_e32 v53, v53, v39, vcc
	v_cndmask_b32_e64 v56, v56, v36, s[2:3]
	v_cmp_eq_u32_e64 s[2:3], 7, v84
	v_cndmask_b32_e64 v53, v53, v41, s[2:3]
	v_cndmask_b32_e32 v56, v56, v38, vcc
	v_cmp_eq_u32_e32 vcc, 8, v84
	ds_read_b64 v[54:55], v52
	v_cndmask_b32_e32 v53, v53, v43, vcc
	v_cndmask_b32_e64 v56, v56, v40, s[2:3]
	v_cmp_eq_u32_e64 s[2:3], 9, v84
	v_cndmask_b32_e64 v53, v53, v45, s[2:3]
	v_cndmask_b32_e32 v56, v56, v42, vcc
	v_cmp_eq_u32_e32 vcc, 10, v84
	v_cndmask_b32_e32 v53, v53, v47, vcc
	v_cmp_eq_u32_e64 s[4:5], 11, v84
	v_cndmask_b32_e64 v56, v56, v44, s[2:3]
	v_cndmask_b32_e64 v57, v53, v49, s[4:5]
	v_cndmask_b32_e32 v53, v56, v46, vcc
	v_add_co_u32_e64 v84, s[2:3], 1, v84
	v_cndmask_b32_e64 v56, v53, v48, s[4:5]
	v_add_u32_e32 v52, 8, v52
	v_addc_co_u32_e64 v51, s[2:3], 0, v51, s[2:3]
	s_waitcnt lgkmcnt(0)
	v_fmac_f64_e32 v[82:83], v[56:57], v[54:55]
	s_andn2_b64 exec, exec, s[10:11]
	s_cbranch_execnz .LBB11_125
; %bb.126:
	s_or_b64 exec, exec, s[10:11]
.LBB11_127:
	s_or_b64 exec, exec, s[8:9]
.LBB11_128:
	s_or_b64 exec, exec, s[6:7]
	v_mov_b32_e32 v30, 0
	ds_read_b64 v[30:31], v30 offset:16
	s_waitcnt lgkmcnt(0)
	v_mul_f64 v[30:31], v[82:83], v[30:31]
.LBB11_129:
	s_or_b64 exec, exec, s[24:25]
	v_cmp_lt_u32_e64 s[2:3], 1, v0
	ds_write_b64 v85, v[28:29]
	s_waitcnt lgkmcnt(0)
	; wave barrier
	s_waitcnt lgkmcnt(0)
	s_and_saveexec_b64 s[24:25], s[2:3]
	s_cbranch_execz .LBB11_145
; %bb.130:
	s_andn2_b64 vcc, exec, s[26:27]
	s_cbranch_vccnz .LBB11_132
; %bb.131:
	v_cmp_eq_u32_e32 vcc, 1, v0
	v_cndmask_b32_e32 v82, v27, v29, vcc
	v_cmp_eq_u32_e64 s[4:5], 2, v0
	v_cndmask_b32_e64 v82, v82, v31, s[4:5]
	v_cmp_eq_u32_e64 s[6:7], 3, v0
	v_cndmask_b32_e64 v82, v82, v33, s[6:7]
	;; [unrolled: 2-line block ×10, first 2 shown]
	v_cndmask_b32_e32 v82, v26, v28, vcc
	v_cndmask_b32_e64 v82, v82, v30, s[4:5]
	v_cndmask_b32_e64 v82, v82, v32, s[6:7]
	;; [unrolled: 1-line block ×6, first 2 shown]
	ds_read_b64 v[86:87], v85
	v_cndmask_b32_e64 v82, v82, v42, s[16:17]
	v_cndmask_b32_e64 v82, v82, v44, s[18:19]
	;; [unrolled: 1-line block ×4, first 2 shown]
	s_waitcnt lgkmcnt(0)
	v_mul_f64 v[82:83], v[82:83], v[86:87]
	s_cbranch_execz .LBB11_133
	s_branch .LBB11_134
.LBB11_132:
                                        ; implicit-def: $vgpr82_vgpr83
.LBB11_133:
	ds_read_b64 v[82:83], v85
.LBB11_134:
	s_and_saveexec_b64 s[6:7], s[0:1]
	s_cbranch_execz .LBB11_144
; %bb.135:
	v_add_u32_e32 v84, -3, v0
	v_add_u32_e32 v87, -2, v0
	v_cmp_lt_u32_e32 vcc, 6, v84
	v_mov_b32_e32 v84, 2
	s_and_saveexec_b64 s[0:1], vcc
	s_cbranch_execz .LBB11_139
; %bb.136:
	v_and_b32_e32 v84, -8, v87
	v_sub_u32_e32 v86, 0, v84
	s_mov_b64 s[4:5], 9
	s_movk_i32 s10, 0x70
	s_mov_b64 s[8:9], 0
.LBB11_137:                             ; =>This Inner Loop Header: Depth=1
	s_lshl_b32 s11, s4, 1
	s_add_i32 s12, s11, -13
	s_add_i32 s13, s11, -14
	s_set_gpr_idx_on s12, gpr_idx(SRC0)
	v_mov_b32_e32 v105, v26
	s_set_gpr_idx_off
	v_mov_b32_e32 v84, s10
	s_add_i32 s14, s11, -11
	s_set_gpr_idx_on s13, gpr_idx(SRC0)
	v_mov_b32_e32 v104, v26
	s_set_gpr_idx_off
	s_add_i32 s15, s11, -12
	ds_read_b128 v[88:91], v84
	ds_read_b128 v[92:95], v84 offset:16
	ds_read_b128 v[96:99], v84 offset:32
	;; [unrolled: 1-line block ×3, first 2 shown]
	s_set_gpr_idx_on s14, gpr_idx(SRC0)
	v_mov_b32_e32 v107, v26
	s_set_gpr_idx_off
	s_add_i32 s16, s11, -9
	s_set_gpr_idx_on s15, gpr_idx(SRC0)
	v_mov_b32_e32 v106, v26
	s_set_gpr_idx_off
	s_add_i32 s17, s11, -10
	;; [unrolled: 4-line block ×4, first 2 shown]
	s_waitcnt lgkmcnt(3)
	v_fmac_f64_e32 v[82:83], v[104:105], v[88:89]
	s_set_gpr_idx_on s18, gpr_idx(SRC0)
	v_mov_b32_e32 v89, v26
	s_set_gpr_idx_off
	s_add_i32 s20, s11, -5
	v_fmac_f64_e32 v[82:83], v[106:107], v[90:91]
	s_set_gpr_idx_on s19, gpr_idx(SRC0)
	v_mov_b32_e32 v88, v26
	s_set_gpr_idx_off
	s_add_i32 s21, s11, -6
	s_waitcnt lgkmcnt(2)
	v_fmac_f64_e32 v[82:83], v[108:109], v[92:93]
	s_set_gpr_idx_on s20, gpr_idx(SRC0)
	v_mov_b32_e32 v91, v26
	s_set_gpr_idx_off
	s_add_i32 s22, s11, -3
	v_fmac_f64_e32 v[82:83], v[88:89], v[94:95]
	s_set_gpr_idx_on s21, gpr_idx(SRC0)
	v_mov_b32_e32 v90, v26
	s_set_gpr_idx_off
	s_add_i32 s23, s11, -4
	s_waitcnt lgkmcnt(1)
	v_fmac_f64_e32 v[82:83], v[90:91], v[96:97]
	s_set_gpr_idx_on s22, gpr_idx(SRC0)
	v_mov_b32_e32 v89, v26
	s_set_gpr_idx_off
	s_add_i32 s28, s11, -1
	s_set_gpr_idx_on s23, gpr_idx(SRC0)
	v_mov_b32_e32 v88, v26
	s_set_gpr_idx_off
	s_add_i32 s29, s11, -2
	v_fmac_f64_e32 v[82:83], v[88:89], v[98:99]
	s_set_gpr_idx_on s28, gpr_idx(SRC0)
	v_mov_b32_e32 v89, v26
	s_set_gpr_idx_off
	s_add_u32 s4, s4, 8
	s_set_gpr_idx_on s29, gpr_idx(SRC0)
	v_mov_b32_e32 v88, v26
	s_set_gpr_idx_off
	v_add_u32_e32 v84, s4, v86
	s_waitcnt lgkmcnt(0)
	v_fmac_f64_e32 v[82:83], v[88:89], v[100:101]
	s_set_gpr_idx_on s11, gpr_idx(SRC0)
	v_mov_b32_e32 v89, v27
	s_set_gpr_idx_off
	s_addc_u32 s5, s5, 0
	s_add_i32 s10, s10, 64
	s_add_i32 s12, s4, -7
	v_cmp_eq_u32_e32 vcc, 9, v84
	s_set_gpr_idx_on s11, gpr_idx(SRC0)
	v_mov_b32_e32 v88, v26
	s_set_gpr_idx_off
	v_mov_b32_e32 v84, s12
	s_or_b64 s[8:9], vcc, s[8:9]
	v_fmac_f64_e32 v[82:83], v[88:89], v[102:103]
	s_andn2_b64 exec, exec, s[8:9]
	s_cbranch_execnz .LBB11_137
; %bb.138:
	s_or_b64 exec, exec, s[8:9]
.LBB11_139:
	s_or_b64 exec, exec, s[0:1]
	v_and_b32_e32 v50, 7, v87
	v_cmp_ne_u32_e32 vcc, 0, v50
	s_and_saveexec_b64 s[8:9], vcc
	s_cbranch_execz .LBB11_143
; %bb.140:
	v_mov_b32_e32 v51, 0x60
	v_lshl_add_u32 v52, v84, 3, v51
	v_mov_b32_e32 v51, 0
	s_mov_b64 s[10:11], 0
.LBB11_141:                             ; =>This Inner Loop Header: Depth=1
	v_cmp_eq_u32_e32 vcc, 1, v84
	v_cndmask_b32_e32 v53, v27, v29, vcc
	v_add_u32_e32 v50, -1, v50
	v_cmp_eq_u32_e64 s[0:1], 2, v84
	v_cndmask_b32_e64 v53, v53, v31, s[0:1]
	v_cndmask_b32_e32 v56, v26, v28, vcc
	v_cmp_eq_u32_e32 vcc, 0, v50
	v_cmp_eq_u32_e64 s[4:5], 3, v84
	v_cndmask_b32_e64 v53, v53, v33, s[4:5]
	v_cndmask_b32_e64 v56, v56, v30, s[0:1]
	s_or_b64 s[10:11], vcc, s[10:11]
	v_cmp_eq_u32_e32 vcc, 4, v84
	v_cndmask_b32_e32 v53, v53, v35, vcc
	v_cndmask_b32_e64 v56, v56, v32, s[4:5]
	v_cmp_eq_u32_e64 s[0:1], 5, v84
	v_cndmask_b32_e64 v53, v53, v37, s[0:1]
	v_cndmask_b32_e32 v56, v56, v34, vcc
	v_cmp_eq_u32_e32 vcc, 6, v84
	v_cndmask_b32_e32 v53, v53, v39, vcc
	v_cndmask_b32_e64 v56, v56, v36, s[0:1]
	v_cmp_eq_u32_e64 s[0:1], 7, v84
	v_cndmask_b32_e64 v53, v53, v41, s[0:1]
	v_cndmask_b32_e32 v56, v56, v38, vcc
	v_cmp_eq_u32_e32 vcc, 8, v84
	ds_read_b64 v[54:55], v52
	v_cndmask_b32_e32 v53, v53, v43, vcc
	v_cndmask_b32_e64 v56, v56, v40, s[0:1]
	v_cmp_eq_u32_e64 s[0:1], 9, v84
	v_cndmask_b32_e64 v53, v53, v45, s[0:1]
	v_cndmask_b32_e32 v56, v56, v42, vcc
	v_cmp_eq_u32_e32 vcc, 10, v84
	v_cndmask_b32_e32 v53, v53, v47, vcc
	v_cmp_eq_u32_e64 s[4:5], 11, v84
	v_cndmask_b32_e64 v56, v56, v44, s[0:1]
	v_cndmask_b32_e64 v57, v53, v49, s[4:5]
	v_cndmask_b32_e32 v53, v56, v46, vcc
	v_add_co_u32_e64 v84, s[0:1], 1, v84
	v_cndmask_b32_e64 v56, v53, v48, s[4:5]
	v_add_u32_e32 v52, 8, v52
	v_addc_co_u32_e64 v51, s[0:1], 0, v51, s[0:1]
	s_waitcnt lgkmcnt(0)
	v_fmac_f64_e32 v[82:83], v[56:57], v[54:55]
	s_andn2_b64 exec, exec, s[10:11]
	s_cbranch_execnz .LBB11_141
; %bb.142:
	s_or_b64 exec, exec, s[10:11]
.LBB11_143:
	s_or_b64 exec, exec, s[8:9]
.LBB11_144:
	s_or_b64 exec, exec, s[6:7]
	v_mov_b32_e32 v28, 0
	ds_read_b64 v[28:29], v28 offset:8
	s_waitcnt lgkmcnt(0)
	v_mul_f64 v[28:29], v[82:83], v[28:29]
.LBB11_145:
	s_or_b64 exec, exec, s[24:25]
	v_cmp_ne_u32_e32 vcc, 0, v0
	ds_write_b64 v85, v[26:27]
	s_waitcnt lgkmcnt(0)
	; wave barrier
	s_waitcnt lgkmcnt(0)
	s_and_saveexec_b64 s[22:23], vcc
	s_cbranch_execz .LBB11_161
; %bb.146:
	s_andn2_b64 vcc, exec, s[26:27]
	s_cbranch_vccnz .LBB11_148
; %bb.147:
	v_cmp_eq_u32_e32 vcc, 1, v0
	v_cndmask_b32_e32 v82, v27, v29, vcc
	v_cmp_eq_u32_e64 s[0:1], 2, v0
	v_cndmask_b32_e64 v82, v82, v31, s[0:1]
	v_cmp_eq_u32_e64 s[4:5], 3, v0
	v_cndmask_b32_e64 v82, v82, v33, s[4:5]
	;; [unrolled: 2-line block ×10, first 2 shown]
	v_cndmask_b32_e32 v82, v26, v28, vcc
	v_cndmask_b32_e64 v82, v82, v30, s[0:1]
	v_cndmask_b32_e64 v82, v82, v32, s[4:5]
	;; [unrolled: 1-line block ×6, first 2 shown]
	ds_read_b64 v[86:87], v85
	v_cndmask_b32_e64 v82, v82, v42, s[14:15]
	v_cndmask_b32_e64 v82, v82, v44, s[16:17]
	;; [unrolled: 1-line block ×4, first 2 shown]
	s_waitcnt lgkmcnt(0)
	v_mul_f64 v[82:83], v[82:83], v[86:87]
	s_cbranch_execz .LBB11_149
	s_branch .LBB11_150
.LBB11_148:
                                        ; implicit-def: $vgpr82_vgpr83
.LBB11_149:
	ds_read_b64 v[82:83], v85
.LBB11_150:
	s_and_saveexec_b64 s[4:5], s[2:3]
	s_cbranch_execz .LBB11_160
; %bb.151:
	v_add_u32_e32 v84, -2, v0
	v_add_u32_e32 v87, -1, v0
	v_cmp_lt_u32_e32 vcc, 6, v84
	v_mov_b32_e32 v84, 1
	s_and_saveexec_b64 s[0:1], vcc
	s_cbranch_execz .LBB11_155
; %bb.152:
	v_and_b32_e32 v84, -8, v87
	v_sub_u32_e32 v86, 0, v84
	s_mov_b64 s[2:3], 8
	s_movk_i32 s8, 0x68
	s_mov_b64 s[6:7], 0
.LBB11_153:                             ; =>This Inner Loop Header: Depth=1
	s_lshl_b32 s9, s2, 1
	s_add_i32 s10, s9, -13
	v_mov_b32_e32 v102, s8
	s_add_i32 s11, s9, -14
	s_set_gpr_idx_on s10, gpr_idx(SRC0)
	v_mov_b32_e32 v97, v26
	s_set_gpr_idx_off
	s_add_i32 s12, s9, -11
	s_set_gpr_idx_on s11, gpr_idx(SRC0)
	v_mov_b32_e32 v96, v26
	s_set_gpr_idx_off
	ds_read2_b64 v[88:91], v102 offset1:1
	s_add_i32 s13, s9, -12
	s_set_gpr_idx_on s12, gpr_idx(SRC0)
	v_mov_b32_e32 v99, v26
	s_set_gpr_idx_off
	s_add_i32 s14, s9, -9
	s_set_gpr_idx_on s13, gpr_idx(SRC0)
	v_mov_b32_e32 v98, v26
	s_set_gpr_idx_off
	;; [unrolled: 4-line block ×4, first 2 shown]
	ds_read2_b64 v[92:95], v102 offset0:2 offset1:3
	s_add_i32 s17, s9, -8
	s_waitcnt lgkmcnt(1)
	v_fmac_f64_e32 v[82:83], v[96:97], v[88:89]
	s_set_gpr_idx_on s16, gpr_idx(SRC0)
	v_mov_b32_e32 v97, v26
	s_set_gpr_idx_off
	s_add_i32 s18, s9, -5
	v_fmac_f64_e32 v[82:83], v[98:99], v[90:91]
	s_set_gpr_idx_on s17, gpr_idx(SRC0)
	v_mov_b32_e32 v96, v26
	s_set_gpr_idx_off
	s_add_i32 s19, s9, -6
	s_set_gpr_idx_on s18, gpr_idx(SRC0)
	v_mov_b32_e32 v99, v26
	s_set_gpr_idx_off
	s_add_i32 s20, s9, -3
	;; [unrolled: 4-line block ×3, first 2 shown]
	ds_read2_b64 v[88:91], v102 offset0:4 offset1:5
	s_waitcnt lgkmcnt(1)
	v_fmac_f64_e32 v[82:83], v[100:101], v[92:93]
	s_set_gpr_idx_on s20, gpr_idx(SRC0)
	v_mov_b32_e32 v101, v26
	s_set_gpr_idx_off
	s_add_i32 s24, s9, -1
	v_fmac_f64_e32 v[82:83], v[96:97], v[94:95]
	s_set_gpr_idx_on s21, gpr_idx(SRC0)
	v_mov_b32_e32 v100, v26
	s_set_gpr_idx_off
	s_add_i32 s25, s9, -2
	s_set_gpr_idx_on s24, gpr_idx(SRC0)
	v_mov_b32_e32 v97, v26
	s_set_gpr_idx_off
	s_set_gpr_idx_on s25, gpr_idx(SRC0)
	v_mov_b32_e32 v96, v26
	s_set_gpr_idx_off
	ds_read2_b64 v[92:95], v102 offset0:6 offset1:7
	s_add_u32 s2, s2, 8
	s_waitcnt lgkmcnt(1)
	v_fmac_f64_e32 v[82:83], v[98:99], v[88:89]
	s_set_gpr_idx_on s9, gpr_idx(SRC0)
	v_mov_b32_e32 v89, v27
	s_set_gpr_idx_off
	v_add_u32_e32 v84, s2, v86
	v_fmac_f64_e32 v[82:83], v[100:101], v[90:91]
	s_set_gpr_idx_on s9, gpr_idx(SRC0)
	v_mov_b32_e32 v88, v26
	s_set_gpr_idx_off
	s_addc_u32 s3, s3, 0
	s_add_i32 s8, s8, 64
	s_add_i32 s10, s2, -7
	v_cmp_eq_u32_e32 vcc, 8, v84
	s_waitcnt lgkmcnt(0)
	v_fmac_f64_e32 v[82:83], v[96:97], v[92:93]
	v_mov_b32_e32 v84, s10
	s_or_b64 s[6:7], vcc, s[6:7]
	v_fmac_f64_e32 v[82:83], v[88:89], v[94:95]
	s_andn2_b64 exec, exec, s[6:7]
	s_cbranch_execnz .LBB11_153
; %bb.154:
	s_or_b64 exec, exec, s[6:7]
.LBB11_155:
	s_or_b64 exec, exec, s[0:1]
	v_and_b32_e32 v50, 7, v87
	v_cmp_ne_u32_e32 vcc, 0, v50
	s_and_saveexec_b64 s[6:7], vcc
	s_cbranch_execz .LBB11_159
; %bb.156:
	v_mov_b32_e32 v51, 0x60
	v_lshl_add_u32 v52, v84, 3, v51
	v_mov_b32_e32 v51, 0
	s_mov_b64 s[8:9], 0
.LBB11_157:                             ; =>This Inner Loop Header: Depth=1
	v_cmp_eq_u32_e32 vcc, 1, v84
	v_cndmask_b32_e32 v53, v27, v29, vcc
	v_add_u32_e32 v50, -1, v50
	v_cmp_eq_u32_e64 s[0:1], 2, v84
	v_cndmask_b32_e64 v53, v53, v31, s[0:1]
	v_cndmask_b32_e32 v56, v26, v28, vcc
	v_cmp_eq_u32_e32 vcc, 0, v50
	v_cmp_eq_u32_e64 s[2:3], 3, v84
	v_cndmask_b32_e64 v53, v53, v33, s[2:3]
	v_cndmask_b32_e64 v56, v56, v30, s[0:1]
	s_or_b64 s[8:9], vcc, s[8:9]
	v_cmp_eq_u32_e32 vcc, 4, v84
	v_cndmask_b32_e32 v53, v53, v35, vcc
	v_cndmask_b32_e64 v56, v56, v32, s[2:3]
	v_cmp_eq_u32_e64 s[0:1], 5, v84
	v_cndmask_b32_e64 v53, v53, v37, s[0:1]
	v_cndmask_b32_e32 v56, v56, v34, vcc
	v_cmp_eq_u32_e32 vcc, 6, v84
	v_cndmask_b32_e32 v53, v53, v39, vcc
	v_cndmask_b32_e64 v56, v56, v36, s[0:1]
	v_cmp_eq_u32_e64 s[0:1], 7, v84
	v_cndmask_b32_e64 v53, v53, v41, s[0:1]
	v_cndmask_b32_e32 v56, v56, v38, vcc
	v_cmp_eq_u32_e32 vcc, 8, v84
	ds_read_b64 v[54:55], v52
	v_cndmask_b32_e32 v53, v53, v43, vcc
	v_cndmask_b32_e64 v56, v56, v40, s[0:1]
	v_cmp_eq_u32_e64 s[0:1], 9, v84
	v_cndmask_b32_e64 v53, v53, v45, s[0:1]
	v_cndmask_b32_e32 v56, v56, v42, vcc
	v_cmp_eq_u32_e32 vcc, 10, v84
	v_cndmask_b32_e32 v53, v53, v47, vcc
	v_cmp_eq_u32_e64 s[2:3], 11, v84
	v_cndmask_b32_e64 v56, v56, v44, s[0:1]
	v_cndmask_b32_e64 v57, v53, v49, s[2:3]
	v_cndmask_b32_e32 v53, v56, v46, vcc
	v_add_co_u32_e64 v84, s[0:1], 1, v84
	v_cndmask_b32_e64 v56, v53, v48, s[2:3]
	v_add_u32_e32 v52, 8, v52
	v_addc_co_u32_e64 v51, s[0:1], 0, v51, s[0:1]
	s_waitcnt lgkmcnt(0)
	v_fmac_f64_e32 v[82:83], v[56:57], v[54:55]
	s_andn2_b64 exec, exec, s[8:9]
	s_cbranch_execnz .LBB11_157
; %bb.158:
	s_or_b64 exec, exec, s[8:9]
.LBB11_159:
	s_or_b64 exec, exec, s[6:7]
.LBB11_160:
	s_or_b64 exec, exec, s[4:5]
	v_mov_b32_e32 v26, 0
	ds_read_b64 v[26:27], v26
	s_waitcnt lgkmcnt(0)
	v_mul_f64 v[26:27], v[82:83], v[26:27]
.LBB11_161:
	s_or_b64 exec, exec, s[22:23]
	s_branch .LBB11_277
.LBB11_162:
	v_cmp_eq_u32_e64 s[2:3], 0, v0
	s_waitcnt vmcnt(11)
	ds_write_b64 v85, v[4:5]
	s_waitcnt lgkmcnt(0)
	; wave barrier
	s_waitcnt lgkmcnt(0)
	s_and_saveexec_b64 s[22:23], s[2:3]
	s_cbranch_execz .LBB11_168
; %bb.163:
	s_and_b64 vcc, exec, s[26:27]
	s_cbranch_vccz .LBB11_165
; %bb.164:
	v_cmp_eq_u32_e32 vcc, 1, v0
	s_waitcnt vmcnt(1)
	v_cndmask_b32_e32 v5, v3, v5, vcc
	v_cmp_eq_u32_e64 s[0:1], 2, v0
	v_cndmask_b32_e32 v4, v2, v4, vcc
	v_cndmask_b32_e64 v5, v5, v7, s[0:1]
	v_cmp_eq_u32_e64 s[4:5], 3, v0
	v_cndmask_b32_e64 v4, v4, v6, s[0:1]
	v_cndmask_b32_e64 v5, v5, v9, s[4:5]
	v_cmp_eq_u32_e64 s[6:7], 4, v0
	v_cndmask_b32_e64 v4, v4, v8, s[4:5]
	v_cndmask_b32_e64 v5, v5, v11, s[6:7]
	v_cmp_eq_u32_e64 s[8:9], 5, v0
	v_cndmask_b32_e64 v4, v4, v10, s[6:7]
	v_cndmask_b32_e64 v5, v5, v13, s[8:9]
	v_cmp_eq_u32_e64 s[10:11], 6, v0
	v_cndmask_b32_e64 v4, v4, v12, s[8:9]
	v_cndmask_b32_e64 v5, v5, v15, s[10:11]
	v_cmp_eq_u32_e64 s[12:13], 7, v0
	v_cndmask_b32_e64 v4, v4, v14, s[10:11]
	v_cndmask_b32_e64 v5, v5, v17, s[12:13]
	v_cmp_eq_u32_e64 s[14:15], 8, v0
	v_cndmask_b32_e64 v4, v4, v16, s[12:13]
	ds_read_b64 v[26:27], v85
	v_cndmask_b32_e64 v5, v5, v19, s[14:15]
	v_cmp_eq_u32_e64 s[16:17], 9, v0
	v_cndmask_b32_e64 v4, v4, v18, s[14:15]
	v_cndmask_b32_e64 v5, v5, v21, s[16:17]
	v_cmp_eq_u32_e64 s[18:19], 10, v0
	v_cndmask_b32_e64 v4, v4, v20, s[16:17]
	;; [unrolled: 3-line block ×3, first 2 shown]
	s_waitcnt vmcnt(0)
	v_cndmask_b32_e64 v5, v5, v25, s[20:21]
	v_cndmask_b32_e64 v4, v4, v24, s[20:21]
	s_waitcnt lgkmcnt(0)
	v_mul_f64 v[4:5], v[4:5], v[26:27]
	s_cbranch_execz .LBB11_166
	s_branch .LBB11_167
.LBB11_165:
                                        ; implicit-def: $vgpr4_vgpr5
.LBB11_166:
	ds_read_b64 v[4:5], v85
.LBB11_167:
	v_mov_b32_e32 v26, 0
	ds_read_b64 v[26:27], v26 offset:8
	s_waitcnt lgkmcnt(0)
	v_mul_f64 v[4:5], v[4:5], v[26:27]
.LBB11_168:
	s_or_b64 exec, exec, s[22:23]
	v_cndmask_b32_e64 v26, 0, 1, s[26:27]
	v_add_u32_e32 v30, 1, v0
	v_cmp_gt_u32_e32 vcc, 2, v0
	v_cmp_ne_u32_e64 s[0:1], 1, v26
	s_waitcnt vmcnt(10)
	ds_write_b64 v85, v[6:7]
	s_waitcnt lgkmcnt(0)
	; wave barrier
	s_waitcnt lgkmcnt(0)
	s_and_saveexec_b64 s[24:25], vcc
	s_cbranch_execz .LBB11_176
; %bb.169:
	s_and_b64 vcc, exec, s[0:1]
	s_cbranch_vccnz .LBB11_171
; %bb.170:
	v_cmp_eq_u32_e32 vcc, 1, v0
	s_waitcnt vmcnt(1)
	v_cndmask_b32_e32 v26, v3, v5, vcc
	v_cmp_eq_u32_e64 s[4:5], 2, v0
	v_cndmask_b32_e64 v26, v26, v7, s[4:5]
	v_cmp_eq_u32_e64 s[6:7], 3, v0
	v_cndmask_b32_e64 v26, v26, v9, s[6:7]
	v_cmp_eq_u32_e64 s[8:9], 4, v0
	v_cndmask_b32_e64 v26, v26, v11, s[8:9]
	v_cmp_eq_u32_e64 s[10:11], 5, v0
	v_cndmask_b32_e64 v26, v26, v13, s[10:11]
	v_cmp_eq_u32_e64 s[12:13], 6, v0
	v_cndmask_b32_e64 v26, v26, v15, s[12:13]
	v_cmp_eq_u32_e64 s[14:15], 7, v0
	v_cndmask_b32_e64 v26, v26, v17, s[14:15]
	v_cmp_eq_u32_e64 s[16:17], 8, v0
	v_cndmask_b32_e64 v26, v26, v19, s[16:17]
	v_cmp_eq_u32_e64 s[18:19], 9, v0
	v_cndmask_b32_e64 v26, v26, v21, s[18:19]
	v_cmp_eq_u32_e64 s[20:21], 10, v0
	v_cndmask_b32_e64 v26, v26, v23, s[20:21]
	v_cmp_eq_u32_e64 s[22:23], 11, v0
	s_waitcnt vmcnt(0)
	v_cndmask_b32_e64 v27, v26, v25, s[22:23]
	v_cndmask_b32_e32 v26, v2, v4, vcc
	v_cndmask_b32_e64 v26, v26, v6, s[4:5]
	v_cndmask_b32_e64 v26, v26, v8, s[6:7]
	;; [unrolled: 1-line block ×6, first 2 shown]
	ds_read_b64 v[28:29], v85
	v_cndmask_b32_e64 v26, v26, v18, s[16:17]
	v_cndmask_b32_e64 v26, v26, v20, s[18:19]
	;; [unrolled: 1-line block ×4, first 2 shown]
	s_waitcnt lgkmcnt(0)
	v_mul_f64 v[26:27], v[26:27], v[28:29]
	s_cbranch_execz .LBB11_172
	s_branch .LBB11_173
.LBB11_171:
                                        ; implicit-def: $vgpr26_vgpr27
.LBB11_172:
	ds_read_b64 v[26:27], v85
.LBB11_173:
	s_and_saveexec_b64 s[26:27], s[2:3]
	s_cbranch_execz .LBB11_175
; %bb.174:
	v_cmp_eq_u32_e32 vcc, 1, v30
	s_waitcnt vmcnt(1)
	v_cndmask_b32_e32 v28, v3, v5, vcc
	v_cmp_eq_u32_e64 s[4:5], 2, v30
	v_cndmask_b32_e64 v7, v28, v7, s[4:5]
	v_cndmask_b32_e32 v28, v2, v4, vcc
	v_cmp_eq_u32_e64 s[6:7], 3, v30
	v_cndmask_b32_e64 v6, v28, v6, s[4:5]
	v_cndmask_b32_e64 v7, v7, v9, s[6:7]
	v_cmp_eq_u32_e64 s[8:9], 4, v30
	v_cndmask_b32_e64 v6, v6, v8, s[6:7]
	v_cndmask_b32_e64 v7, v7, v11, s[8:9]
	v_cmp_eq_u32_e64 s[10:11], 5, v30
	v_cndmask_b32_e64 v6, v6, v10, s[8:9]
	v_cndmask_b32_e64 v7, v7, v13, s[10:11]
	v_cmp_eq_u32_e64 s[12:13], 6, v30
	v_cndmask_b32_e64 v6, v6, v12, s[10:11]
	v_cndmask_b32_e64 v7, v7, v15, s[12:13]
	v_cmp_eq_u32_e64 s[14:15], 7, v30
	v_cndmask_b32_e64 v6, v6, v14, s[12:13]
	v_cndmask_b32_e64 v7, v7, v17, s[14:15]
	v_cmp_eq_u32_e64 s[16:17], 8, v30
	v_cndmask_b32_e64 v6, v6, v16, s[14:15]
	ds_read_b64 v[28:29], v85 offset:8
	v_cndmask_b32_e64 v7, v7, v19, s[16:17]
	v_cmp_eq_u32_e64 s[18:19], 9, v30
	v_cndmask_b32_e64 v6, v6, v18, s[16:17]
	v_cndmask_b32_e64 v7, v7, v21, s[18:19]
	v_cmp_eq_u32_e64 s[20:21], 10, v30
	v_cndmask_b32_e64 v6, v6, v20, s[18:19]
	;; [unrolled: 3-line block ×3, first 2 shown]
	s_waitcnt vmcnt(0)
	v_cndmask_b32_e64 v7, v7, v25, s[22:23]
	v_cndmask_b32_e64 v6, v6, v24, s[22:23]
	s_waitcnt lgkmcnt(0)
	v_fmac_f64_e32 v[26:27], v[6:7], v[28:29]
.LBB11_175:
	s_or_b64 exec, exec, s[26:27]
	v_mov_b32_e32 v6, 0
	ds_read_b64 v[6:7], v6 offset:16
	s_waitcnt lgkmcnt(0)
	v_mul_f64 v[6:7], v[26:27], v[6:7]
.LBB11_176:
	s_or_b64 exec, exec, s[24:25]
	v_cmp_gt_u32_e64 s[4:5], 3, v0
	s_waitcnt vmcnt(9)
	ds_write_b64 v85, v[8:9]
	s_waitcnt lgkmcnt(0)
	; wave barrier
	s_waitcnt lgkmcnt(0)
	s_and_saveexec_b64 s[26:27], s[4:5]
	s_cbranch_execz .LBB11_184
; %bb.177:
	s_and_b64 vcc, exec, s[0:1]
	s_cbranch_vccnz .LBB11_179
; %bb.178:
	v_cmp_eq_u32_e32 vcc, 1, v0
	s_waitcnt vmcnt(1)
	v_cndmask_b32_e32 v26, v3, v5, vcc
	v_cmp_eq_u32_e64 s[6:7], 2, v0
	v_cndmask_b32_e64 v26, v26, v7, s[6:7]
	v_cmp_eq_u32_e64 s[8:9], 3, v0
	v_cndmask_b32_e64 v26, v26, v9, s[8:9]
	;; [unrolled: 2-line block ×9, first 2 shown]
	v_cmp_eq_u32_e64 s[24:25], 11, v0
	s_waitcnt vmcnt(0)
	v_cndmask_b32_e64 v27, v26, v25, s[24:25]
	v_cndmask_b32_e32 v26, v2, v4, vcc
	v_cndmask_b32_e64 v26, v26, v6, s[6:7]
	v_cndmask_b32_e64 v26, v26, v8, s[8:9]
	;; [unrolled: 1-line block ×6, first 2 shown]
	ds_read_b64 v[28:29], v85
	v_cndmask_b32_e64 v26, v26, v18, s[18:19]
	v_cndmask_b32_e64 v26, v26, v20, s[20:21]
	;; [unrolled: 1-line block ×4, first 2 shown]
	s_waitcnt lgkmcnt(0)
	v_mul_f64 v[26:27], v[26:27], v[28:29]
	s_cbranch_execz .LBB11_180
	s_branch .LBB11_181
.LBB11_179:
                                        ; implicit-def: $vgpr26_vgpr27
.LBB11_180:
	ds_read_b64 v[26:27], v85
.LBB11_181:
	v_cmp_ne_u32_e32 vcc, 2, v0
	s_and_saveexec_b64 s[28:29], vcc
	s_cbranch_execz .LBB11_183
; %bb.182:
	v_cmp_eq_u32_e32 vcc, 1, v30
	s_waitcnt vmcnt(1)
	v_cndmask_b32_e32 v28, v3, v5, vcc
	v_cmp_eq_u32_e64 s[6:7], 2, v30
	v_cndmask_b32_e64 v28, v28, v7, s[6:7]
	v_cmp_eq_u32_e64 s[8:9], 3, v30
	v_cndmask_b32_e64 v9, v28, v9, s[8:9]
	v_cndmask_b32_e32 v28, v2, v4, vcc
	v_cndmask_b32_e64 v28, v28, v6, s[6:7]
	v_cmp_eq_u32_e64 s[10:11], 4, v30
	v_cndmask_b32_e64 v8, v28, v8, s[8:9]
	v_cndmask_b32_e64 v9, v9, v11, s[10:11]
	v_cmp_eq_u32_e64 s[12:13], 5, v30
	v_cndmask_b32_e64 v8, v8, v10, s[10:11]
	;; [unrolled: 3-line block ×6, first 2 shown]
	v_mov_b32_e32 v31, 0
	ds_read_b64 v[28:29], v85 offset:8
	ds_read_b64 v[32:33], v31 offset:112
	v_cndmask_b32_e64 v9, v9, v21, s[20:21]
	v_cmp_eq_u32_e64 s[22:23], 10, v30
	v_cndmask_b32_e64 v8, v8, v20, s[20:21]
	v_cndmask_b32_e64 v9, v9, v23, s[22:23]
	v_cmp_eq_u32_e64 s[24:25], 11, v30
	v_cndmask_b32_e64 v8, v8, v22, s[22:23]
	s_waitcnt vmcnt(0)
	v_cndmask_b32_e64 v9, v9, v25, s[24:25]
	v_cndmask_b32_e64 v8, v8, v24, s[24:25]
	s_waitcnt lgkmcnt(1)
	v_fmac_f64_e32 v[26:27], v[8:9], v[28:29]
	s_waitcnt lgkmcnt(0)
	v_fma_f64 v[8:9], v[6:7], v[32:33], v[26:27]
	v_cndmask_b32_e64 v27, v27, v9, s[2:3]
	v_cndmask_b32_e64 v26, v26, v8, s[2:3]
.LBB11_183:
	s_or_b64 exec, exec, s[28:29]
	v_mov_b32_e32 v8, 0
	ds_read_b64 v[8:9], v8 offset:24
	s_waitcnt lgkmcnt(0)
	v_mul_f64 v[8:9], v[26:27], v[8:9]
.LBB11_184:
	s_or_b64 exec, exec, s[26:27]
	v_cmp_gt_u32_e32 vcc, 4, v0
	s_waitcnt vmcnt(8)
	ds_write_b64 v85, v[10:11]
	s_waitcnt lgkmcnt(0)
	; wave barrier
	s_waitcnt lgkmcnt(0)
	s_and_saveexec_b64 s[26:27], vcc
	s_cbranch_execz .LBB11_194
; %bb.185:
	s_and_b64 vcc, exec, s[0:1]
	s_cbranch_vccnz .LBB11_187
; %bb.186:
	v_cmp_eq_u32_e32 vcc, 1, v0
	s_waitcnt vmcnt(1)
	v_cndmask_b32_e32 v26, v3, v5, vcc
	v_cmp_eq_u32_e64 s[6:7], 2, v0
	v_cndmask_b32_e64 v26, v26, v7, s[6:7]
	v_cmp_eq_u32_e64 s[8:9], 3, v0
	v_cndmask_b32_e64 v26, v26, v9, s[8:9]
	;; [unrolled: 2-line block ×9, first 2 shown]
	v_cmp_eq_u32_e64 s[24:25], 11, v0
	s_waitcnt vmcnt(0)
	v_cndmask_b32_e64 v27, v26, v25, s[24:25]
	v_cndmask_b32_e32 v26, v2, v4, vcc
	v_cndmask_b32_e64 v26, v26, v6, s[6:7]
	v_cndmask_b32_e64 v26, v26, v8, s[8:9]
	;; [unrolled: 1-line block ×6, first 2 shown]
	ds_read_b64 v[28:29], v85
	v_cndmask_b32_e64 v26, v26, v18, s[18:19]
	v_cndmask_b32_e64 v26, v26, v20, s[20:21]
	;; [unrolled: 1-line block ×4, first 2 shown]
	s_waitcnt lgkmcnt(0)
	v_mul_f64 v[26:27], v[26:27], v[28:29]
	s_cbranch_execz .LBB11_188
	s_branch .LBB11_189
.LBB11_187:
                                        ; implicit-def: $vgpr26_vgpr27
.LBB11_188:
	ds_read_b64 v[26:27], v85
.LBB11_189:
	v_cmp_ne_u32_e32 vcc, 3, v0
	s_and_saveexec_b64 s[10:11], vcc
	s_cbranch_execz .LBB11_193
; %bb.190:
	v_mov_b32_e32 v28, 0x68
	v_lshl_add_u32 v31, v0, 3, v28
	s_mov_b64 s[12:13], 0
	v_pk_mov_b32 v[28:29], v[0:1], v[0:1] op_sel:[0,1]
.LBB11_191:                             ; =>This Inner Loop Header: Depth=1
	v_add_co_u32_e32 v28, vcc, 1, v28
	v_addc_co_u32_e32 v29, vcc, 0, v29, vcc
	v_cmp_eq_u32_e32 vcc, 1, v28
	s_waitcnt vmcnt(1)
	v_cndmask_b32_e32 v34, v3, v5, vcc
	v_cmp_eq_u32_e64 s[8:9], 2, v28
	v_cmp_lt_u32_e64 s[6:7], 2, v28
	v_cndmask_b32_e64 v34, v34, v7, s[8:9]
	v_cndmask_b32_e32 v35, v2, v4, vcc
	v_cmp_eq_u32_e32 vcc, 3, v28
	s_or_b64 s[12:13], s[6:7], s[12:13]
	v_cndmask_b32_e32 v34, v34, v9, vcc
	v_cndmask_b32_e64 v35, v35, v6, s[8:9]
	v_cmp_eq_u32_e64 s[6:7], 4, v28
	v_cndmask_b32_e64 v34, v34, v11, s[6:7]
	v_cndmask_b32_e32 v35, v35, v8, vcc
	v_cmp_eq_u32_e32 vcc, 5, v28
	v_cndmask_b32_e32 v34, v34, v13, vcc
	v_cndmask_b32_e64 v35, v35, v10, s[6:7]
	v_cmp_eq_u32_e64 s[6:7], 6, v28
	v_cndmask_b32_e64 v34, v34, v15, s[6:7]
	v_cndmask_b32_e32 v35, v35, v12, vcc
	v_cmp_eq_u32_e32 vcc, 7, v28
	v_cndmask_b32_e32 v34, v34, v17, vcc
	v_cndmask_b32_e64 v35, v35, v14, s[6:7]
	v_cmp_eq_u32_e64 s[6:7], 8, v28
	ds_read_b64 v[32:33], v31
	v_cndmask_b32_e64 v34, v34, v19, s[6:7]
	v_cndmask_b32_e32 v35, v35, v16, vcc
	v_cmp_eq_u32_e32 vcc, 9, v28
	v_cndmask_b32_e32 v34, v34, v21, vcc
	v_cndmask_b32_e64 v35, v35, v18, s[6:7]
	v_cmp_eq_u32_e64 s[6:7], 10, v28
	v_cndmask_b32_e64 v34, v34, v23, s[6:7]
	v_cndmask_b32_e32 v36, v35, v20, vcc
	v_cmp_eq_u32_e32 vcc, 11, v28
	s_waitcnt vmcnt(0)
	v_cndmask_b32_e32 v35, v34, v25, vcc
	v_cndmask_b32_e64 v34, v36, v22, s[6:7]
	v_cndmask_b32_e32 v34, v34, v24, vcc
	v_add_u32_e32 v31, 8, v31
	s_waitcnt lgkmcnt(0)
	v_fmac_f64_e32 v[26:27], v[34:35], v[32:33]
	s_andn2_b64 exec, exec, s[12:13]
	s_cbranch_execnz .LBB11_191
; %bb.192:
	s_or_b64 exec, exec, s[12:13]
.LBB11_193:
	s_or_b64 exec, exec, s[10:11]
	v_mov_b32_e32 v10, 0
	ds_read_b64 v[10:11], v10 offset:32
	s_waitcnt lgkmcnt(0)
	v_mul_f64 v[10:11], v[26:27], v[10:11]
.LBB11_194:
	s_or_b64 exec, exec, s[26:27]
	v_cmp_gt_u32_e64 s[6:7], 5, v0
	s_waitcnt vmcnt(7)
	ds_write_b64 v85, v[12:13]
	s_waitcnt lgkmcnt(0)
	; wave barrier
	s_waitcnt lgkmcnt(0)
	s_and_saveexec_b64 s[28:29], s[6:7]
	s_cbranch_execz .LBB11_204
; %bb.195:
	s_and_b64 vcc, exec, s[0:1]
	s_cbranch_vccnz .LBB11_197
; %bb.196:
	v_cmp_eq_u32_e32 vcc, 1, v0
	s_waitcnt vmcnt(1)
	v_cndmask_b32_e32 v26, v3, v5, vcc
	v_cmp_eq_u32_e64 s[8:9], 2, v0
	v_cndmask_b32_e64 v26, v26, v7, s[8:9]
	v_cmp_eq_u32_e64 s[10:11], 3, v0
	v_cndmask_b32_e64 v26, v26, v9, s[10:11]
	;; [unrolled: 2-line block ×9, first 2 shown]
	v_cmp_eq_u32_e64 s[26:27], 11, v0
	s_waitcnt vmcnt(0)
	v_cndmask_b32_e64 v27, v26, v25, s[26:27]
	v_cndmask_b32_e32 v26, v2, v4, vcc
	v_cndmask_b32_e64 v26, v26, v6, s[8:9]
	v_cndmask_b32_e64 v26, v26, v8, s[10:11]
	v_cndmask_b32_e64 v26, v26, v10, s[12:13]
	v_cndmask_b32_e64 v26, v26, v12, s[14:15]
	v_cndmask_b32_e64 v26, v26, v14, s[16:17]
	v_cndmask_b32_e64 v26, v26, v16, s[18:19]
	ds_read_b64 v[28:29], v85
	v_cndmask_b32_e64 v26, v26, v18, s[20:21]
	v_cndmask_b32_e64 v26, v26, v20, s[22:23]
	;; [unrolled: 1-line block ×4, first 2 shown]
	s_waitcnt lgkmcnt(0)
	v_mul_f64 v[26:27], v[26:27], v[28:29]
	s_cbranch_execz .LBB11_198
	s_branch .LBB11_199
.LBB11_197:
                                        ; implicit-def: $vgpr26_vgpr27
.LBB11_198:
	ds_read_b64 v[26:27], v85
.LBB11_199:
	v_cmp_ne_u32_e32 vcc, 4, v0
	s_and_saveexec_b64 s[12:13], vcc
	s_cbranch_execz .LBB11_203
; %bb.200:
	v_mov_b32_e32 v28, 0x68
	v_lshl_add_u32 v31, v0, 3, v28
	s_mov_b64 s[14:15], 0
	v_pk_mov_b32 v[28:29], v[0:1], v[0:1] op_sel:[0,1]
.LBB11_201:                             ; =>This Inner Loop Header: Depth=1
	v_add_co_u32_e32 v28, vcc, 1, v28
	v_addc_co_u32_e32 v29, vcc, 0, v29, vcc
	v_cmp_eq_u32_e32 vcc, 1, v28
	s_waitcnt vmcnt(1)
	v_cndmask_b32_e32 v34, v3, v5, vcc
	v_cmp_eq_u32_e64 s[10:11], 2, v28
	v_cmp_lt_u32_e64 s[8:9], 3, v28
	v_cndmask_b32_e64 v34, v34, v7, s[10:11]
	v_cndmask_b32_e32 v35, v2, v4, vcc
	v_cmp_eq_u32_e32 vcc, 3, v28
	s_or_b64 s[14:15], s[8:9], s[14:15]
	v_cndmask_b32_e32 v34, v34, v9, vcc
	v_cndmask_b32_e64 v35, v35, v6, s[10:11]
	v_cmp_eq_u32_e64 s[8:9], 4, v28
	v_cndmask_b32_e64 v34, v34, v11, s[8:9]
	v_cndmask_b32_e32 v35, v35, v8, vcc
	v_cmp_eq_u32_e32 vcc, 5, v28
	v_cndmask_b32_e32 v34, v34, v13, vcc
	v_cndmask_b32_e64 v35, v35, v10, s[8:9]
	v_cmp_eq_u32_e64 s[8:9], 6, v28
	v_cndmask_b32_e64 v34, v34, v15, s[8:9]
	v_cndmask_b32_e32 v35, v35, v12, vcc
	v_cmp_eq_u32_e32 vcc, 7, v28
	v_cndmask_b32_e32 v34, v34, v17, vcc
	v_cndmask_b32_e64 v35, v35, v14, s[8:9]
	v_cmp_eq_u32_e64 s[8:9], 8, v28
	ds_read_b64 v[32:33], v31
	v_cndmask_b32_e64 v34, v34, v19, s[8:9]
	v_cndmask_b32_e32 v35, v35, v16, vcc
	v_cmp_eq_u32_e32 vcc, 9, v28
	v_cndmask_b32_e32 v34, v34, v21, vcc
	v_cndmask_b32_e64 v35, v35, v18, s[8:9]
	v_cmp_eq_u32_e64 s[8:9], 10, v28
	v_cndmask_b32_e64 v34, v34, v23, s[8:9]
	v_cndmask_b32_e32 v36, v35, v20, vcc
	v_cmp_eq_u32_e32 vcc, 11, v28
	s_waitcnt vmcnt(0)
	v_cndmask_b32_e32 v35, v34, v25, vcc
	v_cndmask_b32_e64 v34, v36, v22, s[8:9]
	v_cndmask_b32_e32 v34, v34, v24, vcc
	v_add_u32_e32 v31, 8, v31
	s_waitcnt lgkmcnt(0)
	v_fmac_f64_e32 v[26:27], v[34:35], v[32:33]
	s_andn2_b64 exec, exec, s[14:15]
	s_cbranch_execnz .LBB11_201
; %bb.202:
	s_or_b64 exec, exec, s[14:15]
.LBB11_203:
	s_or_b64 exec, exec, s[12:13]
	v_mov_b32_e32 v12, 0
	ds_read_b64 v[12:13], v12 offset:40
	s_waitcnt lgkmcnt(0)
	v_mul_f64 v[12:13], v[26:27], v[12:13]
.LBB11_204:
	s_or_b64 exec, exec, s[28:29]
	v_cmp_gt_u32_e32 vcc, 6, v0
	s_waitcnt vmcnt(6)
	ds_write_b64 v85, v[14:15]
	s_waitcnt lgkmcnt(0)
	; wave barrier
	s_waitcnt lgkmcnt(0)
	s_and_saveexec_b64 s[28:29], vcc
	s_cbranch_execz .LBB11_214
; %bb.205:
	s_and_b64 vcc, exec, s[0:1]
	s_cbranch_vccnz .LBB11_207
; %bb.206:
	v_cmp_eq_u32_e32 vcc, 1, v0
	s_waitcnt vmcnt(1)
	v_cndmask_b32_e32 v26, v3, v5, vcc
	v_cmp_eq_u32_e64 s[8:9], 2, v0
	v_cndmask_b32_e64 v26, v26, v7, s[8:9]
	v_cmp_eq_u32_e64 s[10:11], 3, v0
	v_cndmask_b32_e64 v26, v26, v9, s[10:11]
	;; [unrolled: 2-line block ×9, first 2 shown]
	v_cmp_eq_u32_e64 s[26:27], 11, v0
	s_waitcnt vmcnt(0)
	v_cndmask_b32_e64 v27, v26, v25, s[26:27]
	v_cndmask_b32_e32 v26, v2, v4, vcc
	v_cndmask_b32_e64 v26, v26, v6, s[8:9]
	v_cndmask_b32_e64 v26, v26, v8, s[10:11]
	;; [unrolled: 1-line block ×6, first 2 shown]
	ds_read_b64 v[28:29], v85
	v_cndmask_b32_e64 v26, v26, v18, s[20:21]
	v_cndmask_b32_e64 v26, v26, v20, s[22:23]
	v_cndmask_b32_e64 v26, v26, v22, s[24:25]
	v_cndmask_b32_e64 v26, v26, v24, s[26:27]
	s_waitcnt lgkmcnt(0)
	v_mul_f64 v[26:27], v[26:27], v[28:29]
	s_cbranch_execz .LBB11_208
	s_branch .LBB11_209
.LBB11_207:
                                        ; implicit-def: $vgpr26_vgpr27
.LBB11_208:
	ds_read_b64 v[26:27], v85
.LBB11_209:
	v_cmp_ne_u32_e32 vcc, 5, v0
	s_and_saveexec_b64 s[12:13], vcc
	s_cbranch_execz .LBB11_213
; %bb.210:
	v_mov_b32_e32 v28, 0x68
	v_lshl_add_u32 v31, v0, 3, v28
	s_mov_b64 s[14:15], 0
	v_pk_mov_b32 v[28:29], v[0:1], v[0:1] op_sel:[0,1]
.LBB11_211:                             ; =>This Inner Loop Header: Depth=1
	v_add_co_u32_e32 v28, vcc, 1, v28
	v_addc_co_u32_e32 v29, vcc, 0, v29, vcc
	v_cmp_eq_u32_e32 vcc, 1, v28
	s_waitcnt vmcnt(1)
	v_cndmask_b32_e32 v34, v3, v5, vcc
	v_cmp_eq_u32_e64 s[10:11], 2, v28
	v_cmp_lt_u32_e64 s[8:9], 4, v28
	v_cndmask_b32_e64 v34, v34, v7, s[10:11]
	v_cndmask_b32_e32 v35, v2, v4, vcc
	v_cmp_eq_u32_e32 vcc, 3, v28
	s_or_b64 s[14:15], s[8:9], s[14:15]
	v_cndmask_b32_e32 v34, v34, v9, vcc
	v_cndmask_b32_e64 v35, v35, v6, s[10:11]
	v_cmp_eq_u32_e64 s[8:9], 4, v28
	v_cndmask_b32_e64 v34, v34, v11, s[8:9]
	v_cndmask_b32_e32 v35, v35, v8, vcc
	v_cmp_eq_u32_e32 vcc, 5, v28
	v_cndmask_b32_e32 v34, v34, v13, vcc
	v_cndmask_b32_e64 v35, v35, v10, s[8:9]
	v_cmp_eq_u32_e64 s[8:9], 6, v28
	v_cndmask_b32_e64 v34, v34, v15, s[8:9]
	v_cndmask_b32_e32 v35, v35, v12, vcc
	v_cmp_eq_u32_e32 vcc, 7, v28
	v_cndmask_b32_e32 v34, v34, v17, vcc
	v_cndmask_b32_e64 v35, v35, v14, s[8:9]
	v_cmp_eq_u32_e64 s[8:9], 8, v28
	ds_read_b64 v[32:33], v31
	v_cndmask_b32_e64 v34, v34, v19, s[8:9]
	v_cndmask_b32_e32 v35, v35, v16, vcc
	v_cmp_eq_u32_e32 vcc, 9, v28
	v_cndmask_b32_e32 v34, v34, v21, vcc
	v_cndmask_b32_e64 v35, v35, v18, s[8:9]
	v_cmp_eq_u32_e64 s[8:9], 10, v28
	v_cndmask_b32_e64 v34, v34, v23, s[8:9]
	v_cndmask_b32_e32 v36, v35, v20, vcc
	v_cmp_eq_u32_e32 vcc, 11, v28
	s_waitcnt vmcnt(0)
	v_cndmask_b32_e32 v35, v34, v25, vcc
	v_cndmask_b32_e64 v34, v36, v22, s[8:9]
	v_cndmask_b32_e32 v34, v34, v24, vcc
	v_add_u32_e32 v31, 8, v31
	s_waitcnt lgkmcnt(0)
	v_fmac_f64_e32 v[26:27], v[34:35], v[32:33]
	s_andn2_b64 exec, exec, s[14:15]
	s_cbranch_execnz .LBB11_211
; %bb.212:
	s_or_b64 exec, exec, s[14:15]
.LBB11_213:
	s_or_b64 exec, exec, s[12:13]
	v_mov_b32_e32 v14, 0
	ds_read_b64 v[14:15], v14 offset:48
	s_waitcnt lgkmcnt(0)
	v_mul_f64 v[14:15], v[26:27], v[14:15]
.LBB11_214:
	s_or_b64 exec, exec, s[28:29]
	v_cmp_gt_u32_e64 s[8:9], 7, v0
	s_waitcnt vmcnt(5)
	ds_write_b64 v85, v[16:17]
	s_waitcnt lgkmcnt(0)
	; wave barrier
	s_waitcnt lgkmcnt(0)
	s_and_saveexec_b64 s[30:31], s[8:9]
	s_cbranch_execz .LBB11_224
; %bb.215:
	s_and_b64 vcc, exec, s[0:1]
	s_cbranch_vccnz .LBB11_217
; %bb.216:
	v_cmp_eq_u32_e32 vcc, 1, v0
	s_waitcnt vmcnt(1)
	v_cndmask_b32_e32 v26, v3, v5, vcc
	v_cmp_eq_u32_e64 s[10:11], 2, v0
	v_cndmask_b32_e64 v26, v26, v7, s[10:11]
	v_cmp_eq_u32_e64 s[12:13], 3, v0
	v_cndmask_b32_e64 v26, v26, v9, s[12:13]
	;; [unrolled: 2-line block ×9, first 2 shown]
	v_cmp_eq_u32_e64 s[28:29], 11, v0
	s_waitcnt vmcnt(0)
	v_cndmask_b32_e64 v27, v26, v25, s[28:29]
	v_cndmask_b32_e32 v26, v2, v4, vcc
	v_cndmask_b32_e64 v26, v26, v6, s[10:11]
	v_cndmask_b32_e64 v26, v26, v8, s[12:13]
	;; [unrolled: 1-line block ×6, first 2 shown]
	ds_read_b64 v[28:29], v85
	v_cndmask_b32_e64 v26, v26, v18, s[22:23]
	v_cndmask_b32_e64 v26, v26, v20, s[24:25]
	;; [unrolled: 1-line block ×4, first 2 shown]
	s_waitcnt lgkmcnt(0)
	v_mul_f64 v[26:27], v[26:27], v[28:29]
	s_cbranch_execz .LBB11_218
	s_branch .LBB11_219
.LBB11_217:
                                        ; implicit-def: $vgpr26_vgpr27
.LBB11_218:
	ds_read_b64 v[26:27], v85
.LBB11_219:
	v_cmp_ne_u32_e32 vcc, 6, v0
	s_and_saveexec_b64 s[14:15], vcc
	s_cbranch_execz .LBB11_223
; %bb.220:
	v_mov_b32_e32 v28, 0x68
	v_lshl_add_u32 v31, v0, 3, v28
	s_mov_b64 s[16:17], 0
	v_pk_mov_b32 v[28:29], v[0:1], v[0:1] op_sel:[0,1]
.LBB11_221:                             ; =>This Inner Loop Header: Depth=1
	v_add_co_u32_e32 v28, vcc, 1, v28
	v_addc_co_u32_e32 v29, vcc, 0, v29, vcc
	v_cmp_eq_u32_e32 vcc, 1, v28
	s_waitcnt vmcnt(1)
	v_cndmask_b32_e32 v34, v3, v5, vcc
	v_cmp_eq_u32_e64 s[12:13], 2, v28
	v_cmp_lt_u32_e64 s[10:11], 5, v28
	v_cndmask_b32_e64 v34, v34, v7, s[12:13]
	v_cndmask_b32_e32 v35, v2, v4, vcc
	v_cmp_eq_u32_e32 vcc, 3, v28
	s_or_b64 s[16:17], s[10:11], s[16:17]
	v_cndmask_b32_e32 v34, v34, v9, vcc
	v_cndmask_b32_e64 v35, v35, v6, s[12:13]
	v_cmp_eq_u32_e64 s[10:11], 4, v28
	v_cndmask_b32_e64 v34, v34, v11, s[10:11]
	v_cndmask_b32_e32 v35, v35, v8, vcc
	v_cmp_eq_u32_e32 vcc, 5, v28
	v_cndmask_b32_e32 v34, v34, v13, vcc
	v_cndmask_b32_e64 v35, v35, v10, s[10:11]
	v_cmp_eq_u32_e64 s[10:11], 6, v28
	v_cndmask_b32_e64 v34, v34, v15, s[10:11]
	v_cndmask_b32_e32 v35, v35, v12, vcc
	v_cmp_eq_u32_e32 vcc, 7, v28
	v_cndmask_b32_e32 v34, v34, v17, vcc
	v_cndmask_b32_e64 v35, v35, v14, s[10:11]
	v_cmp_eq_u32_e64 s[10:11], 8, v28
	ds_read_b64 v[32:33], v31
	v_cndmask_b32_e64 v34, v34, v19, s[10:11]
	v_cndmask_b32_e32 v35, v35, v16, vcc
	v_cmp_eq_u32_e32 vcc, 9, v28
	v_cndmask_b32_e32 v34, v34, v21, vcc
	v_cndmask_b32_e64 v35, v35, v18, s[10:11]
	v_cmp_eq_u32_e64 s[10:11], 10, v28
	v_cndmask_b32_e64 v34, v34, v23, s[10:11]
	v_cndmask_b32_e32 v36, v35, v20, vcc
	v_cmp_eq_u32_e32 vcc, 11, v28
	s_waitcnt vmcnt(0)
	v_cndmask_b32_e32 v35, v34, v25, vcc
	v_cndmask_b32_e64 v34, v36, v22, s[10:11]
	v_cndmask_b32_e32 v34, v34, v24, vcc
	v_add_u32_e32 v31, 8, v31
	s_waitcnt lgkmcnt(0)
	v_fmac_f64_e32 v[26:27], v[34:35], v[32:33]
	s_andn2_b64 exec, exec, s[16:17]
	s_cbranch_execnz .LBB11_221
; %bb.222:
	s_or_b64 exec, exec, s[16:17]
.LBB11_223:
	s_or_b64 exec, exec, s[14:15]
	v_mov_b32_e32 v16, 0
	ds_read_b64 v[16:17], v16 offset:56
	s_waitcnt lgkmcnt(0)
	v_mul_f64 v[16:17], v[26:27], v[16:17]
.LBB11_224:
	s_or_b64 exec, exec, s[30:31]
	v_cmp_gt_u32_e32 vcc, 8, v0
	s_waitcnt vmcnt(4)
	ds_write_b64 v85, v[18:19]
	s_waitcnt lgkmcnt(0)
	; wave barrier
	s_waitcnt lgkmcnt(0)
	s_and_saveexec_b64 s[30:31], vcc
	s_cbranch_execz .LBB11_234
; %bb.225:
	s_and_b64 vcc, exec, s[0:1]
	s_cbranch_vccnz .LBB11_227
; %bb.226:
	v_cmp_eq_u32_e32 vcc, 1, v0
	s_waitcnt vmcnt(1)
	v_cndmask_b32_e32 v26, v3, v5, vcc
	v_cmp_eq_u32_e64 s[10:11], 2, v0
	v_cndmask_b32_e64 v26, v26, v7, s[10:11]
	v_cmp_eq_u32_e64 s[12:13], 3, v0
	v_cndmask_b32_e64 v26, v26, v9, s[12:13]
	;; [unrolled: 2-line block ×9, first 2 shown]
	v_cmp_eq_u32_e64 s[28:29], 11, v0
	s_waitcnt vmcnt(0)
	v_cndmask_b32_e64 v27, v26, v25, s[28:29]
	v_cndmask_b32_e32 v26, v2, v4, vcc
	v_cndmask_b32_e64 v26, v26, v6, s[10:11]
	v_cndmask_b32_e64 v26, v26, v8, s[12:13]
	;; [unrolled: 1-line block ×6, first 2 shown]
	ds_read_b64 v[28:29], v85
	v_cndmask_b32_e64 v26, v26, v18, s[22:23]
	v_cndmask_b32_e64 v26, v26, v20, s[24:25]
	;; [unrolled: 1-line block ×4, first 2 shown]
	s_waitcnt lgkmcnt(0)
	v_mul_f64 v[26:27], v[26:27], v[28:29]
	s_cbranch_execz .LBB11_228
	s_branch .LBB11_229
.LBB11_227:
                                        ; implicit-def: $vgpr26_vgpr27
.LBB11_228:
	ds_read_b64 v[26:27], v85
.LBB11_229:
	v_cmp_ne_u32_e32 vcc, 7, v0
	s_and_saveexec_b64 s[14:15], vcc
	s_cbranch_execz .LBB11_233
; %bb.230:
	v_mov_b32_e32 v28, 0x68
	v_lshl_add_u32 v31, v0, 3, v28
	s_mov_b64 s[16:17], 0
	v_pk_mov_b32 v[28:29], v[0:1], v[0:1] op_sel:[0,1]
.LBB11_231:                             ; =>This Inner Loop Header: Depth=1
	v_add_co_u32_e32 v28, vcc, 1, v28
	v_addc_co_u32_e32 v29, vcc, 0, v29, vcc
	v_cmp_eq_u32_e32 vcc, 1, v28
	s_waitcnt vmcnt(1)
	v_cndmask_b32_e32 v34, v3, v5, vcc
	v_cmp_eq_u32_e64 s[12:13], 2, v28
	v_cmp_lt_u32_e64 s[10:11], 6, v28
	v_cndmask_b32_e64 v34, v34, v7, s[12:13]
	v_cndmask_b32_e32 v35, v2, v4, vcc
	v_cmp_eq_u32_e32 vcc, 3, v28
	s_or_b64 s[16:17], s[10:11], s[16:17]
	v_cndmask_b32_e32 v34, v34, v9, vcc
	v_cndmask_b32_e64 v35, v35, v6, s[12:13]
	v_cmp_eq_u32_e64 s[10:11], 4, v28
	v_cndmask_b32_e64 v34, v34, v11, s[10:11]
	v_cndmask_b32_e32 v35, v35, v8, vcc
	v_cmp_eq_u32_e32 vcc, 5, v28
	v_cndmask_b32_e32 v34, v34, v13, vcc
	v_cndmask_b32_e64 v35, v35, v10, s[10:11]
	v_cmp_eq_u32_e64 s[10:11], 6, v28
	v_cndmask_b32_e64 v34, v34, v15, s[10:11]
	v_cndmask_b32_e32 v35, v35, v12, vcc
	v_cmp_eq_u32_e32 vcc, 7, v28
	v_cndmask_b32_e32 v34, v34, v17, vcc
	v_cndmask_b32_e64 v35, v35, v14, s[10:11]
	v_cmp_eq_u32_e64 s[10:11], 8, v28
	ds_read_b64 v[32:33], v31
	v_cndmask_b32_e64 v34, v34, v19, s[10:11]
	v_cndmask_b32_e32 v35, v35, v16, vcc
	v_cmp_eq_u32_e32 vcc, 9, v28
	v_cndmask_b32_e32 v34, v34, v21, vcc
	v_cndmask_b32_e64 v35, v35, v18, s[10:11]
	v_cmp_eq_u32_e64 s[10:11], 10, v28
	v_cndmask_b32_e64 v34, v34, v23, s[10:11]
	v_cndmask_b32_e32 v36, v35, v20, vcc
	v_cmp_eq_u32_e32 vcc, 11, v28
	s_waitcnt vmcnt(0)
	v_cndmask_b32_e32 v35, v34, v25, vcc
	v_cndmask_b32_e64 v34, v36, v22, s[10:11]
	v_cndmask_b32_e32 v34, v34, v24, vcc
	v_add_u32_e32 v31, 8, v31
	s_waitcnt lgkmcnt(0)
	v_fmac_f64_e32 v[26:27], v[34:35], v[32:33]
	s_andn2_b64 exec, exec, s[16:17]
	s_cbranch_execnz .LBB11_231
; %bb.232:
	s_or_b64 exec, exec, s[16:17]
.LBB11_233:
	s_or_b64 exec, exec, s[14:15]
	v_mov_b32_e32 v18, 0
	ds_read_b64 v[18:19], v18 offset:64
	s_waitcnt lgkmcnt(0)
	v_mul_f64 v[18:19], v[26:27], v[18:19]
.LBB11_234:
	s_or_b64 exec, exec, s[30:31]
	v_cmp_gt_u32_e32 vcc, 9, v0
	s_waitcnt vmcnt(3)
	ds_write_b64 v85, v[20:21]
	s_waitcnt lgkmcnt(0)
	; wave barrier
	s_waitcnt lgkmcnt(0)
	s_and_saveexec_b64 s[30:31], vcc
	s_cbranch_execz .LBB11_256
; %bb.235:
	s_and_b64 vcc, exec, s[0:1]
	s_cbranch_vccnz .LBB11_237
; %bb.236:
	v_cmp_eq_u32_e32 vcc, 1, v0
	s_waitcnt vmcnt(1)
	v_cndmask_b32_e32 v26, v3, v5, vcc
	v_cmp_eq_u32_e64 s[10:11], 2, v0
	v_cndmask_b32_e64 v26, v26, v7, s[10:11]
	v_cmp_eq_u32_e64 s[12:13], 3, v0
	v_cndmask_b32_e64 v26, v26, v9, s[12:13]
	;; [unrolled: 2-line block ×9, first 2 shown]
	v_cmp_eq_u32_e64 s[28:29], 11, v0
	s_waitcnt vmcnt(0)
	v_cndmask_b32_e64 v27, v26, v25, s[28:29]
	v_cndmask_b32_e32 v26, v2, v4, vcc
	v_cndmask_b32_e64 v26, v26, v6, s[10:11]
	v_cndmask_b32_e64 v26, v26, v8, s[12:13]
	;; [unrolled: 1-line block ×6, first 2 shown]
	ds_read_b64 v[28:29], v85
	v_cndmask_b32_e64 v26, v26, v18, s[22:23]
	v_cndmask_b32_e64 v26, v26, v20, s[24:25]
	;; [unrolled: 1-line block ×4, first 2 shown]
	s_waitcnt lgkmcnt(0)
	v_mul_f64 v[26:27], v[26:27], v[28:29]
	s_cbranch_execz .LBB11_238
	s_branch .LBB11_239
.LBB11_237:
                                        ; implicit-def: $vgpr26_vgpr27
.LBB11_238:
	ds_read_b64 v[26:27], v85
.LBB11_239:
	v_cmp_ne_u32_e32 vcc, 8, v0
	s_and_saveexec_b64 s[34:35], vcc
	s_cbranch_execz .LBB11_255
; %bb.240:
	v_cmp_eq_u32_e32 vcc, 1, v30
	s_waitcnt vmcnt(1)
	v_cndmask_b32_e32 v28, v3, v5, vcc
	v_cmp_eq_u32_e64 s[10:11], 2, v30
	v_cndmask_b32_e64 v28, v28, v7, s[10:11]
	v_cmp_eq_u32_e64 s[12:13], 3, v30
	v_cndmask_b32_e64 v28, v28, v9, s[12:13]
	;; [unrolled: 2-line block ×9, first 2 shown]
	v_cmp_eq_u32_e64 s[28:29], 11, v30
	s_waitcnt vmcnt(0)
	v_cndmask_b32_e64 v29, v28, v25, s[28:29]
	v_cndmask_b32_e32 v28, v2, v4, vcc
	v_cndmask_b32_e64 v28, v28, v6, s[10:11]
	v_cndmask_b32_e64 v28, v28, v8, s[12:13]
	;; [unrolled: 1-line block ×6, first 2 shown]
	ds_read_b64 v[30:31], v85 offset:8
	v_cndmask_b32_e64 v28, v28, v18, s[22:23]
	v_cndmask_b32_e64 v28, v28, v20, s[24:25]
	;; [unrolled: 1-line block ×4, first 2 shown]
	s_waitcnt lgkmcnt(0)
	v_fmac_f64_e32 v[26:27], v[28:29], v[30:31]
	s_and_saveexec_b64 s[28:29], s[8:9]
	s_cbranch_execz .LBB11_254
; %bb.241:
	v_add_u32_e32 v28, 2, v0
	v_cmp_eq_u32_e32 vcc, 1, v28
	v_cndmask_b32_e32 v29, v3, v5, vcc
	v_cmp_eq_u32_e64 s[8:9], 2, v28
	v_cmp_eq_u32_e64 s[10:11], 3, v28
	;; [unrolled: 1-line block ×10, first 2 shown]
	v_cndmask_b32_e32 v28, v2, v4, vcc
	v_cndmask_b32_e64 v29, v29, v7, s[8:9]
	v_cndmask_b32_e64 v28, v28, v6, s[8:9]
	;; [unrolled: 1-line block ×12, first 2 shown]
	ds_read_b64 v[30:31], v85 offset:16
	v_cndmask_b32_e64 v29, v29, v19, s[20:21]
	v_cndmask_b32_e64 v28, v28, v18, s[20:21]
	;; [unrolled: 1-line block ×8, first 2 shown]
	s_waitcnt lgkmcnt(0)
	v_fmac_f64_e32 v[26:27], v[28:29], v[30:31]
	v_cmp_ne_u32_e32 vcc, 6, v0
	s_and_saveexec_b64 s[36:37], vcc
	s_cbranch_execz .LBB11_253
; %bb.242:
	v_add_u32_e32 v28, 3, v0
	v_cmp_eq_u32_e32 vcc, 1, v28
	v_cndmask_b32_e32 v29, v3, v5, vcc
	v_cmp_eq_u32_e64 s[8:9], 2, v28
	v_cmp_eq_u32_e64 s[10:11], 3, v28
	;; [unrolled: 1-line block ×10, first 2 shown]
	v_cndmask_b32_e32 v28, v2, v4, vcc
	v_cndmask_b32_e64 v29, v29, v7, s[8:9]
	v_cndmask_b32_e64 v28, v28, v6, s[8:9]
	;; [unrolled: 1-line block ×12, first 2 shown]
	ds_read_b64 v[30:31], v85 offset:24
	v_cndmask_b32_e64 v29, v29, v19, s[20:21]
	v_cndmask_b32_e64 v28, v28, v18, s[20:21]
	;; [unrolled: 1-line block ×8, first 2 shown]
	s_waitcnt lgkmcnt(0)
	v_fmac_f64_e32 v[26:27], v[28:29], v[30:31]
	s_and_saveexec_b64 s[26:27], s[6:7]
	s_cbranch_execz .LBB11_252
; %bb.243:
	v_add_u32_e32 v28, 4, v0
	v_cmp_eq_u32_e32 vcc, 1, v28
	v_cndmask_b32_e32 v29, v3, v5, vcc
	v_cmp_eq_u32_e64 s[6:7], 2, v28
	v_cmp_eq_u32_e64 s[8:9], 3, v28
	;; [unrolled: 1-line block ×10, first 2 shown]
	v_cndmask_b32_e32 v28, v2, v4, vcc
	v_cndmask_b32_e64 v29, v29, v7, s[6:7]
	v_cndmask_b32_e64 v28, v28, v6, s[6:7]
	;; [unrolled: 1-line block ×12, first 2 shown]
	ds_read_b64 v[30:31], v85 offset:32
	v_cndmask_b32_e64 v29, v29, v19, s[18:19]
	v_cndmask_b32_e64 v28, v28, v18, s[18:19]
	;; [unrolled: 1-line block ×8, first 2 shown]
	s_waitcnt lgkmcnt(0)
	v_fmac_f64_e32 v[26:27], v[28:29], v[30:31]
	v_cmp_ne_u32_e32 vcc, 4, v0
	s_and_saveexec_b64 s[38:39], vcc
	s_cbranch_execz .LBB11_251
; %bb.244:
	v_add_u32_e32 v28, 5, v0
	v_cmp_eq_u32_e32 vcc, 1, v28
	v_cndmask_b32_e32 v29, v3, v5, vcc
	v_cmp_eq_u32_e64 s[6:7], 2, v28
	v_cmp_eq_u32_e64 s[8:9], 3, v28
	;; [unrolled: 1-line block ×10, first 2 shown]
	v_cndmask_b32_e32 v28, v2, v4, vcc
	v_cndmask_b32_e64 v29, v29, v7, s[6:7]
	v_cndmask_b32_e64 v28, v28, v6, s[6:7]
	;; [unrolled: 1-line block ×12, first 2 shown]
	ds_read_b64 v[30:31], v85 offset:40
	v_cndmask_b32_e64 v29, v29, v19, s[18:19]
	v_cndmask_b32_e64 v28, v28, v18, s[18:19]
	;; [unrolled: 1-line block ×8, first 2 shown]
	s_waitcnt lgkmcnt(0)
	v_fmac_f64_e32 v[26:27], v[28:29], v[30:31]
	s_and_saveexec_b64 s[24:25], s[4:5]
	s_cbranch_execz .LBB11_250
; %bb.245:
	v_add_u32_e32 v28, 6, v0
	v_cmp_eq_u32_e32 vcc, 1, v28
	v_cndmask_b32_e32 v29, v3, v5, vcc
	v_cmp_eq_u32_e64 s[4:5], 2, v28
	v_cmp_eq_u32_e64 s[6:7], 3, v28
	;; [unrolled: 1-line block ×10, first 2 shown]
	v_cndmask_b32_e32 v28, v2, v4, vcc
	v_cndmask_b32_e64 v29, v29, v7, s[4:5]
	v_cndmask_b32_e64 v28, v28, v6, s[4:5]
	v_cndmask_b32_e64 v29, v29, v9, s[6:7]
	v_cndmask_b32_e64 v28, v28, v8, s[6:7]
	v_cndmask_b32_e64 v29, v29, v11, s[8:9]
	v_cndmask_b32_e64 v28, v28, v10, s[8:9]
	v_cndmask_b32_e64 v29, v29, v13, s[10:11]
	v_cndmask_b32_e64 v28, v28, v12, s[10:11]
	v_cndmask_b32_e64 v29, v29, v15, s[12:13]
	v_cndmask_b32_e64 v28, v28, v14, s[12:13]
	v_cndmask_b32_e64 v29, v29, v17, s[14:15]
	v_cndmask_b32_e64 v28, v28, v16, s[14:15]
	ds_read_b64 v[30:31], v85 offset:48
	v_cndmask_b32_e64 v29, v29, v19, s[16:17]
	v_cndmask_b32_e64 v28, v28, v18, s[16:17]
	;; [unrolled: 1-line block ×8, first 2 shown]
	s_waitcnt lgkmcnt(0)
	v_fmac_f64_e32 v[26:27], v[28:29], v[30:31]
	v_cmp_ne_u32_e32 vcc, 2, v0
	s_and_saveexec_b64 s[40:41], vcc
	s_cbranch_execz .LBB11_249
; %bb.246:
	v_add_u32_e32 v28, 7, v0
	v_cmp_eq_u32_e32 vcc, 1, v28
	v_cndmask_b32_e32 v29, v3, v5, vcc
	v_cmp_eq_u32_e64 s[4:5], 2, v28
	v_cndmask_b32_e64 v29, v29, v7, s[4:5]
	v_cmp_eq_u32_e64 s[6:7], 3, v28
	v_cndmask_b32_e64 v29, v29, v9, s[6:7]
	v_cmp_eq_u32_e64 s[8:9], 4, v28
	v_cmp_eq_u32_e64 s[10:11], 5, v28
	;; [unrolled: 1-line block ×8, first 2 shown]
	v_cndmask_b32_e32 v28, v2, v4, vcc
	v_cndmask_b32_e64 v29, v29, v11, s[8:9]
	v_cndmask_b32_e64 v28, v28, v6, s[4:5]
	;; [unrolled: 1-line block ×12, first 2 shown]
	ds_read_b64 v[28:29], v85 offset:56
	v_cndmask_b32_e64 v30, v30, v18, s[16:17]
	v_cndmask_b32_e64 v20, v30, v20, s[18:19]
	;; [unrolled: 1-line block ×6, first 2 shown]
	s_waitcnt lgkmcnt(0)
	v_fmac_f64_e32 v[26:27], v[20:21], v[28:29]
	s_and_saveexec_b64 s[4:5], s[2:3]
	s_cbranch_execz .LBB11_248
; %bb.247:
	ds_read_b64 v[20:21], v85 offset:64
	s_waitcnt lgkmcnt(0)
	v_fmac_f64_e32 v[26:27], v[18:19], v[20:21]
.LBB11_248:
	s_or_b64 exec, exec, s[4:5]
.LBB11_249:
	s_or_b64 exec, exec, s[40:41]
.LBB11_250:
	s_or_b64 exec, exec, s[24:25]
.LBB11_251:
	s_or_b64 exec, exec, s[38:39]
.LBB11_252:
	s_or_b64 exec, exec, s[26:27]
.LBB11_253:
	s_or_b64 exec, exec, s[36:37]
.LBB11_254:
	s_or_b64 exec, exec, s[28:29]
.LBB11_255:
	s_or_b64 exec, exec, s[34:35]
	v_mov_b32_e32 v20, 0
	ds_read_b64 v[20:21], v20 offset:72
	s_waitcnt lgkmcnt(0)
	v_mul_f64 v[20:21], v[26:27], v[20:21]
.LBB11_256:
	s_or_b64 exec, exec, s[30:31]
	v_cmp_gt_u32_e64 s[2:3], 10, v0
	s_waitcnt vmcnt(2)
	ds_write_b64 v85, v[22:23]
	s_waitcnt lgkmcnt(0)
	; wave barrier
	s_waitcnt lgkmcnt(0)
	s_and_saveexec_b64 s[24:25], s[2:3]
	s_cbranch_execz .LBB11_266
; %bb.257:
	s_and_b64 vcc, exec, s[0:1]
	s_cbranch_vccnz .LBB11_259
; %bb.258:
	v_cmp_eq_u32_e32 vcc, 1, v0
	s_waitcnt vmcnt(1)
	v_cndmask_b32_e32 v26, v3, v5, vcc
	v_cmp_eq_u32_e64 s[4:5], 2, v0
	v_cndmask_b32_e64 v26, v26, v7, s[4:5]
	v_cmp_eq_u32_e64 s[6:7], 3, v0
	v_cndmask_b32_e64 v26, v26, v9, s[6:7]
	;; [unrolled: 2-line block ×9, first 2 shown]
	v_cmp_eq_u32_e64 s[22:23], 11, v0
	s_waitcnt vmcnt(0)
	v_cndmask_b32_e64 v27, v26, v25, s[22:23]
	v_cndmask_b32_e32 v26, v2, v4, vcc
	v_cndmask_b32_e64 v26, v26, v6, s[4:5]
	v_cndmask_b32_e64 v26, v26, v8, s[6:7]
	;; [unrolled: 1-line block ×6, first 2 shown]
	ds_read_b64 v[28:29], v85
	v_cndmask_b32_e64 v26, v26, v18, s[16:17]
	v_cndmask_b32_e64 v26, v26, v20, s[18:19]
	;; [unrolled: 1-line block ×4, first 2 shown]
	s_waitcnt lgkmcnt(0)
	v_mul_f64 v[26:27], v[26:27], v[28:29]
	s_cbranch_execz .LBB11_260
	s_branch .LBB11_261
.LBB11_259:
                                        ; implicit-def: $vgpr26_vgpr27
.LBB11_260:
	ds_read_b64 v[26:27], v85
.LBB11_261:
	v_cmp_ne_u32_e32 vcc, 9, v0
	s_and_saveexec_b64 s[8:9], vcc
	s_cbranch_execz .LBB11_265
; %bb.262:
	v_mov_b32_e32 v28, 0x68
	v_lshl_add_u32 v30, v0, 3, v28
	s_mov_b64 s[10:11], 0
	v_pk_mov_b32 v[28:29], v[0:1], v[0:1] op_sel:[0,1]
.LBB11_263:                             ; =>This Inner Loop Header: Depth=1
	v_add_co_u32_e32 v28, vcc, 1, v28
	v_addc_co_u32_e32 v29, vcc, 0, v29, vcc
	v_cmp_eq_u32_e32 vcc, 1, v28
	s_waitcnt vmcnt(1)
	v_cndmask_b32_e32 v31, v3, v5, vcc
	v_cmp_eq_u32_e64 s[6:7], 2, v28
	v_cmp_lt_u32_e64 s[4:5], 8, v28
	v_cndmask_b32_e64 v31, v31, v7, s[6:7]
	v_cndmask_b32_e32 v34, v2, v4, vcc
	v_cmp_eq_u32_e32 vcc, 3, v28
	s_or_b64 s[10:11], s[4:5], s[10:11]
	v_cndmask_b32_e32 v31, v31, v9, vcc
	v_cndmask_b32_e64 v34, v34, v6, s[6:7]
	v_cmp_eq_u32_e64 s[4:5], 4, v28
	v_cndmask_b32_e64 v31, v31, v11, s[4:5]
	v_cndmask_b32_e32 v34, v34, v8, vcc
	v_cmp_eq_u32_e32 vcc, 5, v28
	v_cndmask_b32_e32 v31, v31, v13, vcc
	v_cndmask_b32_e64 v34, v34, v10, s[4:5]
	v_cmp_eq_u32_e64 s[4:5], 6, v28
	v_cndmask_b32_e64 v31, v31, v15, s[4:5]
	v_cndmask_b32_e32 v34, v34, v12, vcc
	v_cmp_eq_u32_e32 vcc, 7, v28
	v_cndmask_b32_e32 v31, v31, v17, vcc
	v_cndmask_b32_e64 v34, v34, v14, s[4:5]
	v_cmp_eq_u32_e64 s[4:5], 8, v28
	ds_read_b64 v[32:33], v30
	v_cndmask_b32_e64 v31, v31, v19, s[4:5]
	v_cndmask_b32_e32 v34, v34, v16, vcc
	v_cmp_eq_u32_e32 vcc, 9, v28
	v_cndmask_b32_e32 v31, v31, v21, vcc
	v_cndmask_b32_e64 v34, v34, v18, s[4:5]
	v_cmp_eq_u32_e64 s[4:5], 10, v28
	v_cndmask_b32_e64 v31, v31, v23, s[4:5]
	v_cndmask_b32_e32 v34, v34, v20, vcc
	v_cmp_eq_u32_e32 vcc, 11, v28
	s_waitcnt vmcnt(0)
	v_cndmask_b32_e32 v35, v31, v25, vcc
	v_cndmask_b32_e64 v31, v34, v22, s[4:5]
	v_cndmask_b32_e32 v34, v31, v24, vcc
	v_add_u32_e32 v30, 8, v30
	s_waitcnt lgkmcnt(0)
	v_fmac_f64_e32 v[26:27], v[34:35], v[32:33]
	s_andn2_b64 exec, exec, s[10:11]
	s_cbranch_execnz .LBB11_263
; %bb.264:
	s_or_b64 exec, exec, s[10:11]
.LBB11_265:
	s_or_b64 exec, exec, s[8:9]
	v_mov_b32_e32 v22, 0
	ds_read_b64 v[22:23], v22 offset:80
	s_waitcnt lgkmcnt(0)
	v_mul_f64 v[22:23], v[26:27], v[22:23]
.LBB11_266:
	s_or_b64 exec, exec, s[24:25]
	v_cmp_ne_u32_e32 vcc, 11, v0
	s_waitcnt vmcnt(0)
	ds_write_b64 v85, v[24:25]
	s_waitcnt lgkmcnt(0)
	; wave barrier
	s_waitcnt lgkmcnt(0)
	s_and_saveexec_b64 s[22:23], vcc
	s_cbranch_execz .LBB11_276
; %bb.267:
	s_and_b64 vcc, exec, s[0:1]
	s_cbranch_vccnz .LBB11_269
; %bb.268:
	v_cmp_eq_u32_e32 vcc, 1, v0
	v_cndmask_b32_e32 v26, v3, v5, vcc
	v_cmp_eq_u32_e64 s[0:1], 2, v0
	v_cndmask_b32_e64 v26, v26, v7, s[0:1]
	v_cmp_eq_u32_e64 s[4:5], 3, v0
	v_cndmask_b32_e64 v26, v26, v9, s[4:5]
	;; [unrolled: 2-line block ×10, first 2 shown]
	v_cndmask_b32_e32 v26, v2, v4, vcc
	v_cndmask_b32_e64 v26, v26, v6, s[0:1]
	v_cndmask_b32_e64 v26, v26, v8, s[4:5]
	;; [unrolled: 1-line block ×6, first 2 shown]
	ds_read_b64 v[28:29], v85
	v_cndmask_b32_e64 v26, v26, v18, s[14:15]
	v_cndmask_b32_e64 v26, v26, v20, s[16:17]
	v_cndmask_b32_e64 v26, v26, v22, s[18:19]
	v_cndmask_b32_e64 v26, v26, v24, s[20:21]
	s_waitcnt lgkmcnt(0)
	v_mul_f64 v[26:27], v[26:27], v[28:29]
	s_cbranch_execz .LBB11_270
	s_branch .LBB11_271
.LBB11_269:
                                        ; implicit-def: $vgpr26_vgpr27
.LBB11_270:
	ds_read_b64 v[26:27], v85
.LBB11_271:
	s_and_saveexec_b64 s[4:5], s[2:3]
	s_cbranch_execz .LBB11_275
; %bb.272:
	v_mov_b32_e32 v28, 0x68
	v_lshl_add_u32 v28, v0, 3, v28
	s_mov_b64 s[6:7], 0
.LBB11_273:                             ; =>This Inner Loop Header: Depth=1
	v_add_co_u32_e32 v0, vcc, 1, v0
	v_addc_co_u32_e32 v1, vcc, 0, v1, vcc
	v_cmp_eq_u32_e32 vcc, 1, v0
	v_cndmask_b32_e32 v29, v3, v5, vcc
	v_cmp_eq_u32_e64 s[2:3], 2, v0
	v_cmp_lt_u32_e64 s[0:1], 9, v0
	v_cndmask_b32_e64 v29, v29, v7, s[2:3]
	v_cndmask_b32_e32 v32, v2, v4, vcc
	v_cmp_eq_u32_e32 vcc, 3, v0
	s_or_b64 s[6:7], s[0:1], s[6:7]
	v_cndmask_b32_e32 v29, v29, v9, vcc
	v_cndmask_b32_e64 v32, v32, v6, s[2:3]
	v_cmp_eq_u32_e64 s[0:1], 4, v0
	v_cndmask_b32_e64 v29, v29, v11, s[0:1]
	v_cndmask_b32_e32 v32, v32, v8, vcc
	v_cmp_eq_u32_e32 vcc, 5, v0
	v_cndmask_b32_e32 v29, v29, v13, vcc
	v_cndmask_b32_e64 v32, v32, v10, s[0:1]
	v_cmp_eq_u32_e64 s[0:1], 6, v0
	v_cndmask_b32_e64 v29, v29, v15, s[0:1]
	v_cndmask_b32_e32 v32, v32, v12, vcc
	v_cmp_eq_u32_e32 vcc, 7, v0
	v_cndmask_b32_e32 v29, v29, v17, vcc
	v_cndmask_b32_e64 v32, v32, v14, s[0:1]
	v_cmp_eq_u32_e64 s[0:1], 8, v0
	ds_read_b64 v[30:31], v28
	v_cndmask_b32_e64 v29, v29, v19, s[0:1]
	v_cndmask_b32_e32 v32, v32, v16, vcc
	v_cmp_eq_u32_e32 vcc, 9, v0
	v_cndmask_b32_e32 v29, v29, v21, vcc
	v_cndmask_b32_e64 v32, v32, v18, s[0:1]
	v_cmp_eq_u32_e64 s[0:1], 10, v0
	v_cndmask_b32_e64 v29, v29, v23, s[0:1]
	v_cndmask_b32_e32 v32, v32, v20, vcc
	v_cmp_eq_u32_e32 vcc, 11, v0
	v_cndmask_b32_e32 v33, v29, v25, vcc
	v_cndmask_b32_e64 v29, v32, v22, s[0:1]
	v_cndmask_b32_e32 v32, v29, v24, vcc
	v_add_u32_e32 v28, 8, v28
	s_waitcnt lgkmcnt(0)
	v_fmac_f64_e32 v[26:27], v[32:33], v[30:31]
	s_andn2_b64 exec, exec, s[6:7]
	s_cbranch_execnz .LBB11_273
; %bb.274:
	s_or_b64 exec, exec, s[6:7]
.LBB11_275:
	s_or_b64 exec, exec, s[4:5]
	v_mov_b32_e32 v0, 0
	ds_read_b64 v[0:1], v0 offset:88
	s_waitcnt lgkmcnt(0)
	v_mul_f64 v[24:25], v[26:27], v[0:1]
.LBB11_276:
	s_or_b64 exec, exec, s[22:23]
	v_pk_mov_b32 v[56:57], v[32:33], v[32:33] op_sel:[0,1]
	v_pk_mov_b32 v[54:55], v[30:31], v[30:31] op_sel:[0,1]
	;; [unrolled: 1-line block ×16, first 2 shown]
.LBB11_277:
	global_store_dwordx2 v[58:59], v[26:27], off
	global_store_dwordx2 v[60:61], v[28:29], off
	;; [unrolled: 1-line block ×12, first 2 shown]
.LBB11_278:
	s_endpgm
	.section	.rodata,"a",@progbits
	.p2align	6, 0x0
	.amdhsa_kernel _ZN9rocsolver6v33100L18trti2_kernel_smallILi12EdPdEEv13rocblas_fill_17rocblas_diagonal_T1_iil
		.amdhsa_group_segment_fixed_size 192
		.amdhsa_private_segment_fixed_size 0
		.amdhsa_kernarg_size 32
		.amdhsa_user_sgpr_count 6
		.amdhsa_user_sgpr_private_segment_buffer 1
		.amdhsa_user_sgpr_dispatch_ptr 0
		.amdhsa_user_sgpr_queue_ptr 0
		.amdhsa_user_sgpr_kernarg_segment_ptr 1
		.amdhsa_user_sgpr_dispatch_id 0
		.amdhsa_user_sgpr_flat_scratch_init 0
		.amdhsa_user_sgpr_kernarg_preload_length 0
		.amdhsa_user_sgpr_kernarg_preload_offset 0
		.amdhsa_user_sgpr_private_segment_size 0
		.amdhsa_uses_dynamic_stack 0
		.amdhsa_system_sgpr_private_segment_wavefront_offset 0
		.amdhsa_system_sgpr_workgroup_id_x 1
		.amdhsa_system_sgpr_workgroup_id_y 0
		.amdhsa_system_sgpr_workgroup_id_z 0
		.amdhsa_system_sgpr_workgroup_info 0
		.amdhsa_system_vgpr_workitem_id 0
		.amdhsa_next_free_vgpr 110
		.amdhsa_next_free_sgpr 42
		.amdhsa_accum_offset 112
		.amdhsa_reserve_vcc 1
		.amdhsa_reserve_flat_scratch 0
		.amdhsa_float_round_mode_32 0
		.amdhsa_float_round_mode_16_64 0
		.amdhsa_float_denorm_mode_32 3
		.amdhsa_float_denorm_mode_16_64 3
		.amdhsa_dx10_clamp 1
		.amdhsa_ieee_mode 1
		.amdhsa_fp16_overflow 0
		.amdhsa_tg_split 0
		.amdhsa_exception_fp_ieee_invalid_op 0
		.amdhsa_exception_fp_denorm_src 0
		.amdhsa_exception_fp_ieee_div_zero 0
		.amdhsa_exception_fp_ieee_overflow 0
		.amdhsa_exception_fp_ieee_underflow 0
		.amdhsa_exception_fp_ieee_inexact 0
		.amdhsa_exception_int_div_zero 0
	.end_amdhsa_kernel
	.section	.text._ZN9rocsolver6v33100L18trti2_kernel_smallILi12EdPdEEv13rocblas_fill_17rocblas_diagonal_T1_iil,"axG",@progbits,_ZN9rocsolver6v33100L18trti2_kernel_smallILi12EdPdEEv13rocblas_fill_17rocblas_diagonal_T1_iil,comdat
.Lfunc_end11:
	.size	_ZN9rocsolver6v33100L18trti2_kernel_smallILi12EdPdEEv13rocblas_fill_17rocblas_diagonal_T1_iil, .Lfunc_end11-_ZN9rocsolver6v33100L18trti2_kernel_smallILi12EdPdEEv13rocblas_fill_17rocblas_diagonal_T1_iil
                                        ; -- End function
	.section	.AMDGPU.csdata,"",@progbits
; Kernel info:
; codeLenInByte = 20944
; NumSgprs: 46
; NumVgprs: 110
; NumAgprs: 0
; TotalNumVgprs: 110
; ScratchSize: 0
; MemoryBound: 0
; FloatMode: 240
; IeeeMode: 1
; LDSByteSize: 192 bytes/workgroup (compile time only)
; SGPRBlocks: 5
; VGPRBlocks: 13
; NumSGPRsForWavesPerEU: 46
; NumVGPRsForWavesPerEU: 110
; AccumOffset: 112
; Occupancy: 4
; WaveLimiterHint : 0
; COMPUTE_PGM_RSRC2:SCRATCH_EN: 0
; COMPUTE_PGM_RSRC2:USER_SGPR: 6
; COMPUTE_PGM_RSRC2:TRAP_HANDLER: 0
; COMPUTE_PGM_RSRC2:TGID_X_EN: 1
; COMPUTE_PGM_RSRC2:TGID_Y_EN: 0
; COMPUTE_PGM_RSRC2:TGID_Z_EN: 0
; COMPUTE_PGM_RSRC2:TIDIG_COMP_CNT: 0
; COMPUTE_PGM_RSRC3_GFX90A:ACCUM_OFFSET: 27
; COMPUTE_PGM_RSRC3_GFX90A:TG_SPLIT: 0
	.section	.text._ZN9rocsolver6v33100L18trti2_kernel_smallILi13EdPdEEv13rocblas_fill_17rocblas_diagonal_T1_iil,"axG",@progbits,_ZN9rocsolver6v33100L18trti2_kernel_smallILi13EdPdEEv13rocblas_fill_17rocblas_diagonal_T1_iil,comdat
	.globl	_ZN9rocsolver6v33100L18trti2_kernel_smallILi13EdPdEEv13rocblas_fill_17rocblas_diagonal_T1_iil ; -- Begin function _ZN9rocsolver6v33100L18trti2_kernel_smallILi13EdPdEEv13rocblas_fill_17rocblas_diagonal_T1_iil
	.p2align	8
	.type	_ZN9rocsolver6v33100L18trti2_kernel_smallILi13EdPdEEv13rocblas_fill_17rocblas_diagonal_T1_iil,@function
_ZN9rocsolver6v33100L18trti2_kernel_smallILi13EdPdEEv13rocblas_fill_17rocblas_diagonal_T1_iil: ; @_ZN9rocsolver6v33100L18trti2_kernel_smallILi13EdPdEEv13rocblas_fill_17rocblas_diagonal_T1_iil
; %bb.0:
	v_cmp_gt_u32_e32 vcc, 13, v0
	s_and_saveexec_b64 s[0:1], vcc
	s_cbranch_execz .LBB12_304
; %bb.1:
	s_load_dwordx8 s[36:43], s[4:5], 0x0
	s_ashr_i32 s2, s6, 31
	v_lshlrev_b32_e32 v30, 3, v0
	v_mov_b32_e32 v28, 0
	v_mov_b32_e32 v29, 0xbff00000
	s_waitcnt lgkmcnt(0)
	s_mul_i32 s3, s6, s43
	s_mul_hi_u32 s4, s6, s42
	s_add_i32 s3, s4, s3
	s_mul_i32 s2, s2, s42
	s_add_i32 s3, s3, s2
	s_mul_i32 s2, s6, s42
	s_ashr_i32 s1, s40, 31
	s_lshl_b64 s[2:3], s[2:3], 3
	s_mov_b32 s0, s40
	s_add_u32 s2, s38, s2
	s_addc_u32 s3, s39, s3
	s_lshl_b64 s[0:1], s[0:1], 3
	s_add_u32 s0, s2, s0
	s_addc_u32 s1, s3, s1
	v_mov_b32_e32 v1, s1
	v_add_co_u32_e32 v60, vcc, s0, v30
	s_ashr_i32 s3, s41, 31
	s_mov_b32 s2, s41
	v_addc_co_u32_e32 v61, vcc, 0, v1, vcc
	s_lshl_b64 s[2:3], s[2:3], 3
	v_add_co_u32_e32 v62, vcc, s2, v60
	s_add_i32 s2, s41, s41
	v_add_u32_e32 v2, s2, v0
	v_mov_b32_e32 v1, s3
	v_ashrrev_i32_e32 v3, 31, v2
	v_addc_co_u32_e32 v63, vcc, v61, v1, vcc
	v_lshlrev_b64 v[4:5], 3, v[2:3]
	v_add_u32_e32 v2, s41, v2
	v_mov_b32_e32 v1, s1
	v_add_co_u32_e32 v64, vcc, s0, v4
	v_ashrrev_i32_e32 v3, 31, v2
	v_addc_co_u32_e32 v65, vcc, v1, v5, vcc
	v_lshlrev_b64 v[4:5], 3, v[2:3]
	v_add_u32_e32 v2, s41, v2
	v_add_co_u32_e32 v66, vcc, s0, v4
	v_ashrrev_i32_e32 v3, 31, v2
	v_addc_co_u32_e32 v67, vcc, v1, v5, vcc
	v_lshlrev_b64 v[4:5], 3, v[2:3]
	v_add_u32_e32 v2, s41, v2
	;; [unrolled: 5-line block ×9, first 2 shown]
	v_add_co_u32_e32 v82, vcc, s0, v4
	v_ashrrev_i32_e32 v3, 31, v2
	v_addc_co_u32_e32 v83, vcc, v1, v5, vcc
	v_lshlrev_b64 v[2:3], 3, v[2:3]
	v_add_co_u32_e32 v84, vcc, s0, v2
	v_addc_co_u32_e32 v85, vcc, v1, v3, vcc
	global_load_dwordx2 v[2:3], v30, s[0:1]
	global_load_dwordx2 v[4:5], v[62:63], off
	global_load_dwordx2 v[6:7], v[64:65], off
	;; [unrolled: 1-line block ×12, first 2 shown]
	s_cmpk_lg_i32 s37, 0x84
	v_mov_b32_e32 v1, 0
	s_cselect_b64 s[26:27], -1, 0
	s_cmpk_eq_i32 s37, 0x84
	v_cmp_eq_u32_e64 s[0:1], 0, v0
	s_cbranch_scc1 .LBB12_3
; %bb.2:
	v_cmp_eq_u32_e64 s[2:3], 1, v0
	s_waitcnt vmcnt(11)
	v_cndmask_b32_e64 v28, v3, v5, s[2:3]
	v_cmp_eq_u32_e64 s[4:5], 2, v0
	s_waitcnt vmcnt(10)
	v_cndmask_b32_e64 v28, v28, v7, s[4:5]
	;; [unrolled: 3-line block ×12, first 2 shown]
	v_cndmask_b32_e64 v28, v2, v4, s[2:3]
	v_cndmask_b32_e64 v28, v28, v6, s[4:5]
	;; [unrolled: 1-line block ×12, first 2 shown]
	v_div_scale_f64 v[32:33], s[28:29], v[28:29], v[28:29], 1.0
	v_rcp_f64_e32 v[34:35], v[32:33]
	v_fma_f64 v[36:37], -v[32:33], v[34:35], 1.0
	v_fmac_f64_e32 v[34:35], v[34:35], v[36:37]
	v_fma_f64 v[36:37], -v[32:33], v[34:35], 1.0
	v_fmac_f64_e32 v[34:35], v[34:35], v[36:37]
	v_div_scale_f64 v[36:37], vcc, 1.0, v[28:29], 1.0
	v_mul_f64 v[38:39], v[36:37], v[34:35]
	v_fma_f64 v[32:33], -v[32:33], v[38:39], v[36:37]
	s_nop 1
	v_div_fmas_f64 v[32:33], v[32:33], v[34:35], v[38:39]
	v_div_fixup_f64 v[28:29], v[32:33], v[28:29], 1.0
	v_cndmask_b32_e64 v27, v27, v29, s[24:25]
	v_cndmask_b32_e64 v26, v26, v28, s[24:25]
	;; [unrolled: 1-line block ×26, first 2 shown]
	v_xor_b32_e32 v29, 0x80000000, v29
.LBB12_3:
	s_cmpk_eq_i32 s36, 0x79
	v_add_u32_e32 v89, 0x70, v30
	ds_write_b64 v30, v[28:29]
	s_cbranch_scc1 .LBB12_7
; %bb.4:
	s_waitcnt vmcnt(0)
	v_pk_mov_b32 v[58:59], v[32:33], v[32:33] op_sel:[0,1]
	v_cmp_eq_u32_e64 s[0:1], 12, v0
	v_pk_mov_b32 v[56:57], v[30:31], v[30:31] op_sel:[0,1]
	v_pk_mov_b32 v[54:55], v[28:29], v[28:29] op_sel:[0,1]
	;; [unrolled: 1-line block ×15, first 2 shown]
	ds_write_b64 v89, v[24:25]
	s_waitcnt lgkmcnt(0)
	; wave barrier
	s_waitcnt lgkmcnt(0)
	s_and_saveexec_b64 s[24:25], s[0:1]
	s_cbranch_execz .LBB12_11
; %bb.5:
	s_and_b64 vcc, exec, s[26:27]
	s_cbranch_vccz .LBB12_8
; %bb.6:
	v_cmp_eq_u32_e32 vcc, 1, v0
	v_cndmask_b32_e32 v28, v3, v5, vcc
	v_cmp_eq_u32_e64 s[2:3], 2, v0
	v_cndmask_b32_e64 v28, v28, v7, s[2:3]
	v_cmp_eq_u32_e64 s[4:5], 3, v0
	v_cndmask_b32_e64 v28, v28, v9, s[4:5]
	;; [unrolled: 2-line block ×11, first 2 shown]
	v_cndmask_b32_e32 v28, v2, v4, vcc
	v_cndmask_b32_e64 v28, v28, v6, s[2:3]
	v_cndmask_b32_e64 v28, v28, v8, s[4:5]
	;; [unrolled: 1-line block ×7, first 2 shown]
	ds_read_b64 v[30:31], v89
	v_cndmask_b32_e64 v28, v28, v20, s[16:17]
	v_cndmask_b32_e64 v28, v28, v22, s[18:19]
	;; [unrolled: 1-line block ×4, first 2 shown]
	s_waitcnt lgkmcnt(0)
	v_mul_f64 v[32:33], v[28:29], v[30:31]
	s_cbranch_execz .LBB12_9
	s_branch .LBB12_10
.LBB12_7:
                                        ; implicit-def: $vgpr28_vgpr29_vgpr30_vgpr31_vgpr32_vgpr33_vgpr34_vgpr35_vgpr36_vgpr37_vgpr38_vgpr39_vgpr40_vgpr41_vgpr42_vgpr43_vgpr44_vgpr45_vgpr46_vgpr47_vgpr48_vgpr49_vgpr50_vgpr51_vgpr52_vgpr53_vgpr54_vgpr55_vgpr56_vgpr57_vgpr58_vgpr59
	s_cbranch_execnz .LBB12_178
	s_branch .LBB12_303
.LBB12_8:
                                        ; implicit-def: $vgpr32_vgpr33
.LBB12_9:
	ds_read_b64 v[32:33], v89
.LBB12_10:
	v_mov_b32_e32 v28, 0
	ds_read_b64 v[34:35], v28 offset:88
	v_mov_b32_e32 v28, v2
	v_mov_b32_e32 v29, v3
	;; [unrolled: 1-line block ×4, first 2 shown]
	s_waitcnt lgkmcnt(0)
	v_mul_f64 v[50:51], v[32:33], v[34:35]
	v_mov_b32_e32 v32, v6
	v_mov_b32_e32 v33, v7
	;; [unrolled: 1-line block ×20, first 2 shown]
.LBB12_11:
	s_or_b64 exec, exec, s[24:25]
	v_cmp_lt_u32_e64 s[2:3], 10, v0
	ds_write_b64 v89, v[48:49]
	s_waitcnt lgkmcnt(0)
	; wave barrier
	s_waitcnt lgkmcnt(0)
	s_and_saveexec_b64 s[28:29], s[2:3]
	s_cbranch_execz .LBB12_17
; %bb.12:
	s_andn2_b64 vcc, exec, s[26:27]
	s_cbranch_vccnz .LBB12_14
; %bb.13:
	v_cmp_eq_u32_e32 vcc, 1, v0
	v_cndmask_b32_e32 v54, v29, v31, vcc
	v_cmp_eq_u32_e64 s[4:5], 2, v0
	v_cndmask_b32_e64 v54, v54, v33, s[4:5]
	v_cmp_eq_u32_e64 s[6:7], 3, v0
	v_cndmask_b32_e64 v54, v54, v35, s[6:7]
	;; [unrolled: 2-line block ×9, first 2 shown]
	v_cndmask_b32_e32 v54, v28, v30, vcc
	v_cndmask_b32_e64 v54, v54, v32, s[4:5]
	v_cndmask_b32_e64 v54, v54, v34, s[6:7]
	v_cndmask_b32_e64 v54, v54, v36, s[8:9]
	v_cndmask_b32_e64 v54, v54, v38, s[10:11]
	v_cndmask_b32_e64 v54, v54, v40, s[12:13]
	v_cndmask_b32_e64 v54, v54, v42, s[14:15]
	v_cndmask_b32_e64 v56, v54, v44, s[16:17]
	ds_read_b64 v[54:55], v89
	v_cndmask_b32_e64 v56, v56, v46, s[18:19]
	v_cmp_eq_u32_e64 s[22:23], 11, v0
	v_cndmask_b32_e64 v48, v56, v48, s[20:21]
	v_cndmask_b32_e64 v49, v49, v51, s[22:23]
	v_cmp_eq_u32_e64 s[24:25], 12, v0
	v_cndmask_b32_e64 v48, v48, v50, s[22:23]
	v_cndmask_b32_e64 v49, v49, v53, s[24:25]
	;; [unrolled: 1-line block ×3, first 2 shown]
	s_waitcnt lgkmcnt(0)
	v_mul_f64 v[48:49], v[48:49], v[54:55]
	s_cbranch_execz .LBB12_15
	s_branch .LBB12_16
.LBB12_14:
                                        ; implicit-def: $vgpr48_vgpr49
.LBB12_15:
	ds_read_b64 v[48:49], v89
.LBB12_16:
	v_mov_b32_e32 v54, 0
	ds_read2_b64 v[54:57], v54 offset0:10 offset1:25
	s_waitcnt lgkmcnt(0)
	v_fma_f64 v[56:57], v[50:51], v[56:57], v[48:49]
	v_cndmask_b32_e64 v49, v49, v57, s[0:1]
	v_cndmask_b32_e64 v48, v48, v56, s[0:1]
	v_mul_f64 v[48:49], v[48:49], v[54:55]
.LBB12_17:
	s_or_b64 exec, exec, s[28:29]
	v_cmp_lt_u32_e64 s[0:1], 9, v0
	ds_write_b64 v89, v[46:47]
	s_waitcnt lgkmcnt(0)
	; wave barrier
	s_waitcnt lgkmcnt(0)
	s_and_saveexec_b64 s[28:29], s[0:1]
	s_cbranch_execz .LBB12_33
; %bb.18:
	s_andn2_b64 vcc, exec, s[26:27]
	s_cbranch_vccnz .LBB12_20
; %bb.19:
	v_cmp_eq_u32_e32 vcc, 1, v0
	v_cndmask_b32_e32 v86, v29, v31, vcc
	v_cmp_eq_u32_e64 s[4:5], 2, v0
	v_cndmask_b32_e64 v86, v86, v33, s[4:5]
	v_cmp_eq_u32_e64 s[6:7], 3, v0
	v_cndmask_b32_e64 v86, v86, v35, s[6:7]
	;; [unrolled: 2-line block ×11, first 2 shown]
	v_cndmask_b32_e32 v86, v28, v30, vcc
	v_cndmask_b32_e64 v86, v86, v32, s[4:5]
	v_cndmask_b32_e64 v86, v86, v34, s[6:7]
	;; [unrolled: 1-line block ×7, first 2 shown]
	ds_read_b64 v[90:91], v89
	v_cndmask_b32_e64 v86, v86, v46, s[18:19]
	v_cndmask_b32_e64 v86, v86, v48, s[20:21]
	;; [unrolled: 1-line block ×4, first 2 shown]
	s_waitcnt lgkmcnt(0)
	v_mul_f64 v[86:87], v[86:87], v[90:91]
	s_cbranch_execz .LBB12_21
	s_branch .LBB12_22
.LBB12_20:
                                        ; implicit-def: $vgpr86_vgpr87
.LBB12_21:
	ds_read_b64 v[86:87], v89
.LBB12_22:
	s_and_saveexec_b64 s[6:7], s[2:3]
	s_cbranch_execz .LBB12_32
; %bb.23:
	v_add_u32_e32 v88, -11, v0
	v_add_u32_e32 v91, -10, v0
	v_cmp_lt_u32_e32 vcc, 6, v88
	v_mov_b32_e32 v88, 10
	s_and_saveexec_b64 s[2:3], vcc
	s_cbranch_execz .LBB12_27
; %bb.24:
	v_and_b32_e32 v88, -8, v91
	v_sub_u32_e32 v90, 0, v88
	s_mov_b64 s[4:5], 17
	s_movk_i32 s10, 0xc0
	s_mov_b64 s[8:9], 0
.LBB12_25:                              ; =>This Inner Loop Header: Depth=1
	s_lshl_b32 s11, s4, 1
	s_add_i32 s12, s11, -13
	s_add_i32 s13, s11, -14
	s_set_gpr_idx_on s12, gpr_idx(SRC0)
	v_mov_b32_e32 v109, v28
	s_set_gpr_idx_off
	v_mov_b32_e32 v88, s10
	s_add_i32 s14, s11, -11
	s_set_gpr_idx_on s13, gpr_idx(SRC0)
	v_mov_b32_e32 v108, v28
	s_set_gpr_idx_off
	s_add_i32 s15, s11, -12
	ds_read_b128 v[92:95], v88
	ds_read_b128 v[96:99], v88 offset:16
	ds_read_b128 v[100:103], v88 offset:32
	;; [unrolled: 1-line block ×3, first 2 shown]
	s_set_gpr_idx_on s14, gpr_idx(SRC0)
	v_mov_b32_e32 v111, v28
	s_set_gpr_idx_off
	s_add_i32 s16, s11, -9
	s_set_gpr_idx_on s15, gpr_idx(SRC0)
	v_mov_b32_e32 v110, v28
	s_set_gpr_idx_off
	s_add_i32 s17, s11, -10
	;; [unrolled: 4-line block ×4, first 2 shown]
	s_waitcnt lgkmcnt(3)
	v_fmac_f64_e32 v[86:87], v[108:109], v[92:93]
	s_set_gpr_idx_on s18, gpr_idx(SRC0)
	v_mov_b32_e32 v93, v28
	s_set_gpr_idx_off
	s_add_i32 s20, s11, -5
	v_fmac_f64_e32 v[86:87], v[110:111], v[94:95]
	s_set_gpr_idx_on s19, gpr_idx(SRC0)
	v_mov_b32_e32 v92, v28
	s_set_gpr_idx_off
	s_add_i32 s21, s11, -6
	s_waitcnt lgkmcnt(2)
	v_fmac_f64_e32 v[86:87], v[112:113], v[96:97]
	s_set_gpr_idx_on s20, gpr_idx(SRC0)
	v_mov_b32_e32 v95, v28
	s_set_gpr_idx_off
	s_add_i32 s22, s11, -3
	v_fmac_f64_e32 v[86:87], v[92:93], v[98:99]
	s_set_gpr_idx_on s21, gpr_idx(SRC0)
	v_mov_b32_e32 v94, v28
	s_set_gpr_idx_off
	s_add_i32 s23, s11, -4
	s_waitcnt lgkmcnt(1)
	v_fmac_f64_e32 v[86:87], v[94:95], v[100:101]
	s_set_gpr_idx_on s22, gpr_idx(SRC0)
	v_mov_b32_e32 v93, v28
	s_set_gpr_idx_off
	s_add_i32 s24, s11, -1
	s_set_gpr_idx_on s23, gpr_idx(SRC0)
	v_mov_b32_e32 v92, v28
	s_set_gpr_idx_off
	s_add_i32 s25, s11, -2
	v_fmac_f64_e32 v[86:87], v[92:93], v[102:103]
	s_set_gpr_idx_on s24, gpr_idx(SRC0)
	v_mov_b32_e32 v93, v28
	s_set_gpr_idx_off
	s_add_u32 s4, s4, 8
	s_set_gpr_idx_on s25, gpr_idx(SRC0)
	v_mov_b32_e32 v92, v28
	s_set_gpr_idx_off
	v_add_u32_e32 v88, s4, v90
	s_waitcnt lgkmcnt(0)
	v_fmac_f64_e32 v[86:87], v[92:93], v[104:105]
	s_set_gpr_idx_on s11, gpr_idx(SRC0)
	v_mov_b32_e32 v93, v29
	s_set_gpr_idx_off
	s_addc_u32 s5, s5, 0
	s_add_i32 s10, s10, 64
	s_add_i32 s12, s4, -7
	v_cmp_eq_u32_e32 vcc, 17, v88
	s_set_gpr_idx_on s11, gpr_idx(SRC0)
	v_mov_b32_e32 v92, v28
	s_set_gpr_idx_off
	v_mov_b32_e32 v88, s12
	s_or_b64 s[8:9], vcc, s[8:9]
	v_fmac_f64_e32 v[86:87], v[92:93], v[106:107]
	s_andn2_b64 exec, exec, s[8:9]
	s_cbranch_execnz .LBB12_25
; %bb.26:
	s_or_b64 exec, exec, s[8:9]
.LBB12_27:
	s_or_b64 exec, exec, s[2:3]
	v_and_b32_e32 v54, 7, v91
	v_cmp_ne_u32_e32 vcc, 0, v54
	s_and_saveexec_b64 s[8:9], vcc
	s_cbranch_execz .LBB12_31
; %bb.28:
	v_mov_b32_e32 v55, 0x70
	v_lshl_add_u32 v56, v88, 3, v55
	v_mov_b32_e32 v55, 0
	s_mov_b64 s[10:11], 0
.LBB12_29:                              ; =>This Inner Loop Header: Depth=1
	v_cmp_eq_u32_e32 vcc, 1, v88
	v_cndmask_b32_e32 v57, v29, v31, vcc
	v_add_u32_e32 v54, -1, v54
	v_cmp_eq_u32_e64 s[2:3], 2, v88
	v_cndmask_b32_e64 v57, v57, v33, s[2:3]
	v_cndmask_b32_e32 v90, v28, v30, vcc
	v_cmp_eq_u32_e32 vcc, 0, v54
	v_cmp_eq_u32_e64 s[4:5], 3, v88
	v_cndmask_b32_e64 v57, v57, v35, s[4:5]
	v_cndmask_b32_e64 v90, v90, v32, s[2:3]
	s_or_b64 s[10:11], vcc, s[10:11]
	v_cmp_eq_u32_e32 vcc, 4, v88
	v_cndmask_b32_e32 v57, v57, v37, vcc
	v_cndmask_b32_e64 v90, v90, v34, s[4:5]
	v_cmp_eq_u32_e64 s[2:3], 5, v88
	v_cndmask_b32_e64 v57, v57, v39, s[2:3]
	v_cndmask_b32_e32 v90, v90, v36, vcc
	v_cmp_eq_u32_e32 vcc, 6, v88
	v_cndmask_b32_e32 v57, v57, v41, vcc
	v_cndmask_b32_e64 v90, v90, v38, s[2:3]
	v_cmp_eq_u32_e64 s[2:3], 7, v88
	v_cndmask_b32_e64 v57, v57, v43, s[2:3]
	v_cndmask_b32_e32 v90, v90, v40, vcc
	v_cmp_eq_u32_e32 vcc, 8, v88
	v_cndmask_b32_e32 v57, v57, v45, vcc
	v_cndmask_b32_e64 v90, v90, v42, s[2:3]
	v_cmp_eq_u32_e64 s[2:3], 9, v88
	ds_read_b64 v[58:59], v56
	v_cndmask_b32_e64 v57, v57, v47, s[2:3]
	v_cndmask_b32_e32 v90, v90, v44, vcc
	v_cmp_eq_u32_e32 vcc, 10, v88
	v_cndmask_b32_e32 v57, v57, v49, vcc
	v_cndmask_b32_e64 v90, v90, v46, s[2:3]
	v_cmp_eq_u32_e64 s[2:3], 11, v88
	v_cndmask_b32_e64 v57, v57, v51, s[2:3]
	v_cmp_eq_u32_e64 s[4:5], 12, v88
	v_cndmask_b32_e32 v90, v90, v48, vcc
	v_cndmask_b32_e64 v91, v57, v53, s[4:5]
	v_cndmask_b32_e64 v57, v90, v50, s[2:3]
	v_add_co_u32_e32 v88, vcc, 1, v88
	v_cndmask_b32_e64 v90, v57, v52, s[4:5]
	v_add_u32_e32 v56, 8, v56
	v_addc_co_u32_e32 v55, vcc, 0, v55, vcc
	s_waitcnt lgkmcnt(0)
	v_fmac_f64_e32 v[86:87], v[90:91], v[58:59]
	s_andn2_b64 exec, exec, s[10:11]
	s_cbranch_execnz .LBB12_29
; %bb.30:
	s_or_b64 exec, exec, s[10:11]
.LBB12_31:
	s_or_b64 exec, exec, s[8:9]
.LBB12_32:
	s_or_b64 exec, exec, s[6:7]
	v_mov_b32_e32 v46, 0
	ds_read_b64 v[46:47], v46 offset:72
	s_waitcnt lgkmcnt(0)
	v_mul_f64 v[46:47], v[86:87], v[46:47]
.LBB12_33:
	s_or_b64 exec, exec, s[28:29]
	v_cmp_lt_u32_e64 s[2:3], 8, v0
	ds_write_b64 v89, v[44:45]
	s_waitcnt lgkmcnt(0)
	; wave barrier
	s_waitcnt lgkmcnt(0)
	s_and_saveexec_b64 s[28:29], s[2:3]
	s_cbranch_execz .LBB12_49
; %bb.34:
	s_andn2_b64 vcc, exec, s[26:27]
	s_cbranch_vccnz .LBB12_36
; %bb.35:
	v_cmp_eq_u32_e32 vcc, 1, v0
	v_cndmask_b32_e32 v86, v29, v31, vcc
	v_cmp_eq_u32_e64 s[4:5], 2, v0
	v_cndmask_b32_e64 v86, v86, v33, s[4:5]
	v_cmp_eq_u32_e64 s[6:7], 3, v0
	v_cndmask_b32_e64 v86, v86, v35, s[6:7]
	;; [unrolled: 2-line block ×11, first 2 shown]
	v_cndmask_b32_e32 v86, v28, v30, vcc
	v_cndmask_b32_e64 v86, v86, v32, s[4:5]
	v_cndmask_b32_e64 v86, v86, v34, s[6:7]
	;; [unrolled: 1-line block ×7, first 2 shown]
	ds_read_b64 v[90:91], v89
	v_cndmask_b32_e64 v86, v86, v46, s[18:19]
	v_cndmask_b32_e64 v86, v86, v48, s[20:21]
	v_cndmask_b32_e64 v86, v86, v50, s[22:23]
	v_cndmask_b32_e64 v86, v86, v52, s[24:25]
	s_waitcnt lgkmcnt(0)
	v_mul_f64 v[86:87], v[86:87], v[90:91]
	s_cbranch_execz .LBB12_37
	s_branch .LBB12_38
.LBB12_36:
                                        ; implicit-def: $vgpr86_vgpr87
.LBB12_37:
	ds_read_b64 v[86:87], v89
.LBB12_38:
	s_and_saveexec_b64 s[6:7], s[0:1]
	s_cbranch_execz .LBB12_48
; %bb.39:
	v_add_u32_e32 v88, -10, v0
	v_add_u32_e32 v91, -9, v0
	v_cmp_lt_u32_e32 vcc, 6, v88
	v_mov_b32_e32 v88, 9
	s_and_saveexec_b64 s[0:1], vcc
	s_cbranch_execz .LBB12_43
; %bb.40:
	v_and_b32_e32 v88, -8, v91
	v_sub_u32_e32 v90, 0, v88
	s_mov_b64 s[4:5], 16
	s_movk_i32 s10, 0xb8
	s_mov_b64 s[8:9], 0
.LBB12_41:                              ; =>This Inner Loop Header: Depth=1
	s_lshl_b32 s11, s4, 1
	s_add_i32 s12, s11, -13
	v_mov_b32_e32 v106, s10
	s_add_i32 s13, s11, -14
	s_set_gpr_idx_on s12, gpr_idx(SRC0)
	v_mov_b32_e32 v101, v28
	s_set_gpr_idx_off
	s_add_i32 s14, s11, -11
	s_set_gpr_idx_on s13, gpr_idx(SRC0)
	v_mov_b32_e32 v100, v28
	s_set_gpr_idx_off
	ds_read2_b64 v[92:95], v106 offset1:1
	s_add_i32 s15, s11, -12
	s_set_gpr_idx_on s14, gpr_idx(SRC0)
	v_mov_b32_e32 v103, v28
	s_set_gpr_idx_off
	s_add_i32 s16, s11, -9
	s_set_gpr_idx_on s15, gpr_idx(SRC0)
	v_mov_b32_e32 v102, v28
	s_set_gpr_idx_off
	;; [unrolled: 4-line block ×4, first 2 shown]
	ds_read2_b64 v[96:99], v106 offset0:2 offset1:3
	s_add_i32 s19, s11, -8
	s_waitcnt lgkmcnt(1)
	v_fmac_f64_e32 v[86:87], v[100:101], v[92:93]
	s_set_gpr_idx_on s18, gpr_idx(SRC0)
	v_mov_b32_e32 v101, v28
	s_set_gpr_idx_off
	s_add_i32 s20, s11, -5
	v_fmac_f64_e32 v[86:87], v[102:103], v[94:95]
	s_set_gpr_idx_on s19, gpr_idx(SRC0)
	v_mov_b32_e32 v100, v28
	s_set_gpr_idx_off
	s_add_i32 s21, s11, -6
	s_set_gpr_idx_on s20, gpr_idx(SRC0)
	v_mov_b32_e32 v103, v28
	s_set_gpr_idx_off
	s_add_i32 s22, s11, -3
	;; [unrolled: 4-line block ×3, first 2 shown]
	ds_read2_b64 v[92:95], v106 offset0:4 offset1:5
	s_waitcnt lgkmcnt(1)
	v_fmac_f64_e32 v[86:87], v[104:105], v[96:97]
	s_set_gpr_idx_on s22, gpr_idx(SRC0)
	v_mov_b32_e32 v105, v28
	s_set_gpr_idx_off
	s_add_i32 s24, s11, -1
	v_fmac_f64_e32 v[86:87], v[100:101], v[98:99]
	s_set_gpr_idx_on s23, gpr_idx(SRC0)
	v_mov_b32_e32 v104, v28
	s_set_gpr_idx_off
	s_add_i32 s25, s11, -2
	s_set_gpr_idx_on s24, gpr_idx(SRC0)
	v_mov_b32_e32 v101, v28
	s_set_gpr_idx_off
	s_set_gpr_idx_on s25, gpr_idx(SRC0)
	v_mov_b32_e32 v100, v28
	s_set_gpr_idx_off
	ds_read2_b64 v[96:99], v106 offset0:6 offset1:7
	s_add_u32 s4, s4, 8
	s_waitcnt lgkmcnt(1)
	v_fmac_f64_e32 v[86:87], v[102:103], v[92:93]
	s_set_gpr_idx_on s11, gpr_idx(SRC0)
	v_mov_b32_e32 v93, v29
	s_set_gpr_idx_off
	v_add_u32_e32 v88, s4, v90
	v_fmac_f64_e32 v[86:87], v[104:105], v[94:95]
	s_set_gpr_idx_on s11, gpr_idx(SRC0)
	v_mov_b32_e32 v92, v28
	s_set_gpr_idx_off
	s_addc_u32 s5, s5, 0
	s_add_i32 s10, s10, 64
	s_add_i32 s12, s4, -7
	v_cmp_eq_u32_e32 vcc, 16, v88
	s_waitcnt lgkmcnt(0)
	v_fmac_f64_e32 v[86:87], v[100:101], v[96:97]
	v_mov_b32_e32 v88, s12
	s_or_b64 s[8:9], vcc, s[8:9]
	v_fmac_f64_e32 v[86:87], v[92:93], v[98:99]
	s_andn2_b64 exec, exec, s[8:9]
	s_cbranch_execnz .LBB12_41
; %bb.42:
	s_or_b64 exec, exec, s[8:9]
.LBB12_43:
	s_or_b64 exec, exec, s[0:1]
	v_and_b32_e32 v54, 7, v91
	v_cmp_ne_u32_e32 vcc, 0, v54
	s_and_saveexec_b64 s[8:9], vcc
	s_cbranch_execz .LBB12_47
; %bb.44:
	v_mov_b32_e32 v55, 0x70
	v_lshl_add_u32 v56, v88, 3, v55
	v_mov_b32_e32 v55, 0
	s_mov_b64 s[10:11], 0
.LBB12_45:                              ; =>This Inner Loop Header: Depth=1
	v_cmp_eq_u32_e32 vcc, 1, v88
	v_cndmask_b32_e32 v57, v29, v31, vcc
	v_add_u32_e32 v54, -1, v54
	v_cmp_eq_u32_e64 s[0:1], 2, v88
	v_cndmask_b32_e64 v57, v57, v33, s[0:1]
	v_cndmask_b32_e32 v90, v28, v30, vcc
	v_cmp_eq_u32_e32 vcc, 0, v54
	v_cmp_eq_u32_e64 s[4:5], 3, v88
	v_cndmask_b32_e64 v57, v57, v35, s[4:5]
	v_cndmask_b32_e64 v90, v90, v32, s[0:1]
	s_or_b64 s[10:11], vcc, s[10:11]
	v_cmp_eq_u32_e32 vcc, 4, v88
	v_cndmask_b32_e32 v57, v57, v37, vcc
	v_cndmask_b32_e64 v90, v90, v34, s[4:5]
	v_cmp_eq_u32_e64 s[0:1], 5, v88
	v_cndmask_b32_e64 v57, v57, v39, s[0:1]
	v_cndmask_b32_e32 v90, v90, v36, vcc
	v_cmp_eq_u32_e32 vcc, 6, v88
	v_cndmask_b32_e32 v57, v57, v41, vcc
	v_cndmask_b32_e64 v90, v90, v38, s[0:1]
	v_cmp_eq_u32_e64 s[0:1], 7, v88
	v_cndmask_b32_e64 v57, v57, v43, s[0:1]
	v_cndmask_b32_e32 v90, v90, v40, vcc
	v_cmp_eq_u32_e32 vcc, 8, v88
	v_cndmask_b32_e32 v57, v57, v45, vcc
	v_cndmask_b32_e64 v90, v90, v42, s[0:1]
	v_cmp_eq_u32_e64 s[0:1], 9, v88
	ds_read_b64 v[58:59], v56
	v_cndmask_b32_e64 v57, v57, v47, s[0:1]
	v_cndmask_b32_e32 v90, v90, v44, vcc
	v_cmp_eq_u32_e32 vcc, 10, v88
	v_cndmask_b32_e32 v57, v57, v49, vcc
	v_cndmask_b32_e64 v90, v90, v46, s[0:1]
	v_cmp_eq_u32_e64 s[0:1], 11, v88
	v_cndmask_b32_e64 v57, v57, v51, s[0:1]
	v_cmp_eq_u32_e64 s[4:5], 12, v88
	v_cndmask_b32_e32 v90, v90, v48, vcc
	v_cndmask_b32_e64 v91, v57, v53, s[4:5]
	v_cndmask_b32_e64 v57, v90, v50, s[0:1]
	v_add_co_u32_e32 v88, vcc, 1, v88
	v_cndmask_b32_e64 v90, v57, v52, s[4:5]
	v_add_u32_e32 v56, 8, v56
	v_addc_co_u32_e32 v55, vcc, 0, v55, vcc
	s_waitcnt lgkmcnt(0)
	v_fmac_f64_e32 v[86:87], v[90:91], v[58:59]
	s_andn2_b64 exec, exec, s[10:11]
	s_cbranch_execnz .LBB12_45
; %bb.46:
	s_or_b64 exec, exec, s[10:11]
.LBB12_47:
	s_or_b64 exec, exec, s[8:9]
.LBB12_48:
	s_or_b64 exec, exec, s[6:7]
	v_mov_b32_e32 v44, 0
	ds_read_b64 v[44:45], v44 offset:64
	s_waitcnt lgkmcnt(0)
	v_mul_f64 v[44:45], v[86:87], v[44:45]
.LBB12_49:
	s_or_b64 exec, exec, s[28:29]
	v_cmp_lt_u32_e64 s[4:5], 7, v0
	ds_write_b64 v89, v[42:43]
	s_waitcnt lgkmcnt(0)
	; wave barrier
	s_waitcnt lgkmcnt(0)
	s_and_saveexec_b64 s[28:29], s[4:5]
	s_cbranch_execz .LBB12_65
; %bb.50:
	s_andn2_b64 vcc, exec, s[26:27]
	s_cbranch_vccnz .LBB12_52
; %bb.51:
	v_cmp_eq_u32_e32 vcc, 1, v0
	v_cndmask_b32_e32 v86, v29, v31, vcc
	v_cmp_eq_u32_e64 s[0:1], 2, v0
	v_cndmask_b32_e64 v86, v86, v33, s[0:1]
	v_cmp_eq_u32_e64 s[6:7], 3, v0
	v_cndmask_b32_e64 v86, v86, v35, s[6:7]
	;; [unrolled: 2-line block ×11, first 2 shown]
	v_cndmask_b32_e32 v86, v28, v30, vcc
	v_cndmask_b32_e64 v86, v86, v32, s[0:1]
	v_cndmask_b32_e64 v86, v86, v34, s[6:7]
	;; [unrolled: 1-line block ×7, first 2 shown]
	ds_read_b64 v[90:91], v89
	v_cndmask_b32_e64 v86, v86, v46, s[18:19]
	v_cndmask_b32_e64 v86, v86, v48, s[20:21]
	;; [unrolled: 1-line block ×4, first 2 shown]
	s_waitcnt lgkmcnt(0)
	v_mul_f64 v[86:87], v[86:87], v[90:91]
	s_cbranch_execz .LBB12_53
	s_branch .LBB12_54
.LBB12_52:
                                        ; implicit-def: $vgpr86_vgpr87
.LBB12_53:
	ds_read_b64 v[86:87], v89
.LBB12_54:
	s_and_saveexec_b64 s[6:7], s[2:3]
	s_cbranch_execz .LBB12_64
; %bb.55:
	v_add_u32_e32 v88, -9, v0
	v_cmp_lt_u32_e32 vcc, 6, v88
	v_mov_b32_e32 v88, 8
	s_and_saveexec_b64 s[0:1], vcc
	s_cbranch_execz .LBB12_59
; %bb.56:
	v_and_b32_e32 v88, 8, v0
	v_sub_u32_e32 v90, 0, v88
	s_mov_b64 s[2:3], 15
	s_movk_i32 s10, 0xb0
	s_mov_b64 s[8:9], 0
.LBB12_57:                              ; =>This Inner Loop Header: Depth=1
	s_lshl_b32 s11, s2, 1
	s_add_i32 s12, s11, -13
	s_add_i32 s13, s11, -14
	s_set_gpr_idx_on s12, gpr_idx(SRC0)
	v_mov_b32_e32 v109, v28
	s_set_gpr_idx_off
	v_mov_b32_e32 v88, s10
	s_add_i32 s14, s11, -11
	s_set_gpr_idx_on s13, gpr_idx(SRC0)
	v_mov_b32_e32 v108, v28
	s_set_gpr_idx_off
	s_add_i32 s15, s11, -12
	ds_read_b128 v[92:95], v88
	ds_read_b128 v[96:99], v88 offset:16
	ds_read_b128 v[100:103], v88 offset:32
	;; [unrolled: 1-line block ×3, first 2 shown]
	s_set_gpr_idx_on s14, gpr_idx(SRC0)
	v_mov_b32_e32 v111, v28
	s_set_gpr_idx_off
	s_add_i32 s16, s11, -9
	s_set_gpr_idx_on s15, gpr_idx(SRC0)
	v_mov_b32_e32 v110, v28
	s_set_gpr_idx_off
	s_add_i32 s17, s11, -10
	s_set_gpr_idx_on s16, gpr_idx(SRC0)
	v_mov_b32_e32 v113, v28
	s_set_gpr_idx_off
	s_add_i32 s18, s11, -7
	s_set_gpr_idx_on s17, gpr_idx(SRC0)
	v_mov_b32_e32 v112, v28
	s_set_gpr_idx_off
	s_add_i32 s19, s11, -8
	s_waitcnt lgkmcnt(3)
	v_fmac_f64_e32 v[86:87], v[108:109], v[92:93]
	s_set_gpr_idx_on s18, gpr_idx(SRC0)
	v_mov_b32_e32 v93, v28
	s_set_gpr_idx_off
	s_add_i32 s20, s11, -5
	v_fmac_f64_e32 v[86:87], v[110:111], v[94:95]
	s_set_gpr_idx_on s19, gpr_idx(SRC0)
	v_mov_b32_e32 v92, v28
	s_set_gpr_idx_off
	s_add_i32 s21, s11, -6
	s_waitcnt lgkmcnt(2)
	v_fmac_f64_e32 v[86:87], v[112:113], v[96:97]
	s_set_gpr_idx_on s20, gpr_idx(SRC0)
	v_mov_b32_e32 v95, v28
	s_set_gpr_idx_off
	s_add_i32 s22, s11, -3
	v_fmac_f64_e32 v[86:87], v[92:93], v[98:99]
	s_set_gpr_idx_on s21, gpr_idx(SRC0)
	v_mov_b32_e32 v94, v28
	s_set_gpr_idx_off
	s_add_i32 s23, s11, -4
	s_waitcnt lgkmcnt(1)
	v_fmac_f64_e32 v[86:87], v[94:95], v[100:101]
	s_set_gpr_idx_on s22, gpr_idx(SRC0)
	v_mov_b32_e32 v93, v28
	s_set_gpr_idx_off
	s_add_i32 s24, s11, -1
	s_set_gpr_idx_on s23, gpr_idx(SRC0)
	v_mov_b32_e32 v92, v28
	s_set_gpr_idx_off
	s_add_i32 s25, s11, -2
	v_fmac_f64_e32 v[86:87], v[92:93], v[102:103]
	s_set_gpr_idx_on s24, gpr_idx(SRC0)
	v_mov_b32_e32 v93, v28
	s_set_gpr_idx_off
	s_add_u32 s2, s2, 8
	s_set_gpr_idx_on s25, gpr_idx(SRC0)
	v_mov_b32_e32 v92, v28
	s_set_gpr_idx_off
	v_add_u32_e32 v88, s2, v90
	s_waitcnt lgkmcnt(0)
	v_fmac_f64_e32 v[86:87], v[92:93], v[104:105]
	s_set_gpr_idx_on s11, gpr_idx(SRC0)
	v_mov_b32_e32 v93, v29
	s_set_gpr_idx_off
	s_addc_u32 s3, s3, 0
	s_add_i32 s10, s10, 64
	s_add_i32 s12, s2, -7
	v_cmp_eq_u32_e32 vcc, 7, v88
	s_set_gpr_idx_on s11, gpr_idx(SRC0)
	v_mov_b32_e32 v92, v28
	s_set_gpr_idx_off
	v_mov_b32_e32 v88, s12
	s_or_b64 s[8:9], vcc, s[8:9]
	v_fmac_f64_e32 v[86:87], v[92:93], v[106:107]
	s_andn2_b64 exec, exec, s[8:9]
	s_cbranch_execnz .LBB12_57
; %bb.58:
	s_or_b64 exec, exec, s[8:9]
.LBB12_59:
	s_or_b64 exec, exec, s[0:1]
	v_and_b32_e32 v54, 7, v0
	v_cmp_ne_u32_e32 vcc, 0, v54
	s_and_saveexec_b64 s[8:9], vcc
	s_cbranch_execz .LBB12_63
; %bb.60:
	v_mov_b32_e32 v55, 0x70
	v_lshl_add_u32 v56, v88, 3, v55
	v_mov_b32_e32 v55, 0
	s_mov_b64 s[10:11], 0
.LBB12_61:                              ; =>This Inner Loop Header: Depth=1
	v_cmp_eq_u32_e32 vcc, 1, v88
	v_cndmask_b32_e32 v57, v29, v31, vcc
	v_add_u32_e32 v54, -1, v54
	v_cmp_eq_u32_e64 s[0:1], 2, v88
	v_cndmask_b32_e64 v57, v57, v33, s[0:1]
	v_cndmask_b32_e32 v90, v28, v30, vcc
	v_cmp_eq_u32_e32 vcc, 0, v54
	v_cmp_eq_u32_e64 s[2:3], 3, v88
	v_cndmask_b32_e64 v57, v57, v35, s[2:3]
	v_cndmask_b32_e64 v90, v90, v32, s[0:1]
	s_or_b64 s[10:11], vcc, s[10:11]
	v_cmp_eq_u32_e32 vcc, 4, v88
	v_cndmask_b32_e32 v57, v57, v37, vcc
	v_cndmask_b32_e64 v90, v90, v34, s[2:3]
	v_cmp_eq_u32_e64 s[0:1], 5, v88
	v_cndmask_b32_e64 v57, v57, v39, s[0:1]
	v_cndmask_b32_e32 v90, v90, v36, vcc
	v_cmp_eq_u32_e32 vcc, 6, v88
	v_cndmask_b32_e32 v57, v57, v41, vcc
	v_cndmask_b32_e64 v90, v90, v38, s[0:1]
	v_cmp_eq_u32_e64 s[0:1], 7, v88
	v_cndmask_b32_e64 v57, v57, v43, s[0:1]
	v_cndmask_b32_e32 v90, v90, v40, vcc
	v_cmp_eq_u32_e32 vcc, 8, v88
	v_cndmask_b32_e32 v57, v57, v45, vcc
	v_cndmask_b32_e64 v90, v90, v42, s[0:1]
	v_cmp_eq_u32_e64 s[0:1], 9, v88
	ds_read_b64 v[58:59], v56
	v_cndmask_b32_e64 v57, v57, v47, s[0:1]
	v_cndmask_b32_e32 v90, v90, v44, vcc
	v_cmp_eq_u32_e32 vcc, 10, v88
	v_cndmask_b32_e32 v57, v57, v49, vcc
	v_cndmask_b32_e64 v90, v90, v46, s[0:1]
	v_cmp_eq_u32_e64 s[0:1], 11, v88
	v_cndmask_b32_e64 v57, v57, v51, s[0:1]
	v_cmp_eq_u32_e64 s[2:3], 12, v88
	v_cndmask_b32_e32 v90, v90, v48, vcc
	v_cndmask_b32_e64 v91, v57, v53, s[2:3]
	v_cndmask_b32_e64 v57, v90, v50, s[0:1]
	v_add_co_u32_e32 v88, vcc, 1, v88
	v_cndmask_b32_e64 v90, v57, v52, s[2:3]
	v_add_u32_e32 v56, 8, v56
	v_addc_co_u32_e32 v55, vcc, 0, v55, vcc
	s_waitcnt lgkmcnt(0)
	v_fmac_f64_e32 v[86:87], v[90:91], v[58:59]
	s_andn2_b64 exec, exec, s[10:11]
	s_cbranch_execnz .LBB12_61
; %bb.62:
	s_or_b64 exec, exec, s[10:11]
.LBB12_63:
	s_or_b64 exec, exec, s[8:9]
.LBB12_64:
	s_or_b64 exec, exec, s[6:7]
	v_mov_b32_e32 v42, 0
	ds_read_b64 v[42:43], v42 offset:56
	s_waitcnt lgkmcnt(0)
	v_mul_f64 v[42:43], v[86:87], v[42:43]
.LBB12_65:
	s_or_b64 exec, exec, s[28:29]
	v_cmp_lt_u32_e64 s[0:1], 6, v0
	ds_write_b64 v89, v[40:41]
	s_waitcnt lgkmcnt(0)
	; wave barrier
	s_waitcnt lgkmcnt(0)
	s_and_saveexec_b64 s[28:29], s[0:1]
	s_cbranch_execz .LBB12_81
; %bb.66:
	s_andn2_b64 vcc, exec, s[26:27]
	s_cbranch_vccnz .LBB12_68
; %bb.67:
	v_cmp_eq_u32_e32 vcc, 1, v0
	v_cndmask_b32_e32 v86, v29, v31, vcc
	v_cmp_eq_u32_e64 s[2:3], 2, v0
	v_cndmask_b32_e64 v86, v86, v33, s[2:3]
	v_cmp_eq_u32_e64 s[6:7], 3, v0
	v_cndmask_b32_e64 v86, v86, v35, s[6:7]
	;; [unrolled: 2-line block ×11, first 2 shown]
	v_cndmask_b32_e32 v86, v28, v30, vcc
	v_cndmask_b32_e64 v86, v86, v32, s[2:3]
	v_cndmask_b32_e64 v86, v86, v34, s[6:7]
	;; [unrolled: 1-line block ×7, first 2 shown]
	ds_read_b64 v[90:91], v89
	v_cndmask_b32_e64 v86, v86, v46, s[18:19]
	v_cndmask_b32_e64 v86, v86, v48, s[20:21]
	;; [unrolled: 1-line block ×4, first 2 shown]
	s_waitcnt lgkmcnt(0)
	v_mul_f64 v[86:87], v[86:87], v[90:91]
	s_cbranch_execz .LBB12_69
	s_branch .LBB12_70
.LBB12_68:
                                        ; implicit-def: $vgpr86_vgpr87
.LBB12_69:
	ds_read_b64 v[86:87], v89
.LBB12_70:
	s_and_saveexec_b64 s[6:7], s[4:5]
	s_cbranch_execz .LBB12_80
; %bb.71:
	v_add_u32_e32 v88, -8, v0
	v_add_u32_e32 v91, -7, v0
	v_cmp_lt_u32_e32 vcc, 6, v88
	v_mov_b32_e32 v88, 7
	s_and_saveexec_b64 s[2:3], vcc
	s_cbranch_execz .LBB12_75
; %bb.72:
	v_and_b32_e32 v88, -8, v91
	v_sub_u32_e32 v90, 0, v88
	s_mov_b64 s[4:5], 14
	s_movk_i32 s10, 0xa8
	s_mov_b64 s[8:9], 0
.LBB12_73:                              ; =>This Inner Loop Header: Depth=1
	s_lshl_b32 s11, s4, 1
	s_add_i32 s12, s11, -13
	v_mov_b32_e32 v106, s10
	s_add_i32 s13, s11, -14
	s_set_gpr_idx_on s12, gpr_idx(SRC0)
	v_mov_b32_e32 v101, v28
	s_set_gpr_idx_off
	s_add_i32 s14, s11, -11
	s_set_gpr_idx_on s13, gpr_idx(SRC0)
	v_mov_b32_e32 v100, v28
	s_set_gpr_idx_off
	ds_read2_b64 v[92:95], v106 offset1:1
	s_add_i32 s15, s11, -12
	s_set_gpr_idx_on s14, gpr_idx(SRC0)
	v_mov_b32_e32 v103, v28
	s_set_gpr_idx_off
	s_add_i32 s16, s11, -9
	s_set_gpr_idx_on s15, gpr_idx(SRC0)
	v_mov_b32_e32 v102, v28
	s_set_gpr_idx_off
	;; [unrolled: 4-line block ×4, first 2 shown]
	ds_read2_b64 v[96:99], v106 offset0:2 offset1:3
	s_add_i32 s19, s11, -8
	s_waitcnt lgkmcnt(1)
	v_fmac_f64_e32 v[86:87], v[100:101], v[92:93]
	s_set_gpr_idx_on s18, gpr_idx(SRC0)
	v_mov_b32_e32 v101, v28
	s_set_gpr_idx_off
	s_add_i32 s20, s11, -5
	v_fmac_f64_e32 v[86:87], v[102:103], v[94:95]
	s_set_gpr_idx_on s19, gpr_idx(SRC0)
	v_mov_b32_e32 v100, v28
	s_set_gpr_idx_off
	s_add_i32 s21, s11, -6
	s_set_gpr_idx_on s20, gpr_idx(SRC0)
	v_mov_b32_e32 v103, v28
	s_set_gpr_idx_off
	s_add_i32 s22, s11, -3
	;; [unrolled: 4-line block ×3, first 2 shown]
	ds_read2_b64 v[92:95], v106 offset0:4 offset1:5
	s_waitcnt lgkmcnt(1)
	v_fmac_f64_e32 v[86:87], v[104:105], v[96:97]
	s_set_gpr_idx_on s22, gpr_idx(SRC0)
	v_mov_b32_e32 v105, v28
	s_set_gpr_idx_off
	s_add_i32 s24, s11, -1
	v_fmac_f64_e32 v[86:87], v[100:101], v[98:99]
	s_set_gpr_idx_on s23, gpr_idx(SRC0)
	v_mov_b32_e32 v104, v28
	s_set_gpr_idx_off
	s_add_i32 s25, s11, -2
	s_set_gpr_idx_on s24, gpr_idx(SRC0)
	v_mov_b32_e32 v101, v28
	s_set_gpr_idx_off
	s_set_gpr_idx_on s25, gpr_idx(SRC0)
	v_mov_b32_e32 v100, v28
	s_set_gpr_idx_off
	ds_read2_b64 v[96:99], v106 offset0:6 offset1:7
	s_add_u32 s4, s4, 8
	s_waitcnt lgkmcnt(1)
	v_fmac_f64_e32 v[86:87], v[102:103], v[92:93]
	s_set_gpr_idx_on s11, gpr_idx(SRC0)
	v_mov_b32_e32 v93, v29
	s_set_gpr_idx_off
	v_add_u32_e32 v88, s4, v90
	v_fmac_f64_e32 v[86:87], v[104:105], v[94:95]
	s_set_gpr_idx_on s11, gpr_idx(SRC0)
	v_mov_b32_e32 v92, v28
	s_set_gpr_idx_off
	s_addc_u32 s5, s5, 0
	s_add_i32 s10, s10, 64
	s_add_i32 s12, s4, -7
	v_cmp_eq_u32_e32 vcc, 14, v88
	s_waitcnt lgkmcnt(0)
	v_fmac_f64_e32 v[86:87], v[100:101], v[96:97]
	v_mov_b32_e32 v88, s12
	s_or_b64 s[8:9], vcc, s[8:9]
	v_fmac_f64_e32 v[86:87], v[92:93], v[98:99]
	s_andn2_b64 exec, exec, s[8:9]
	s_cbranch_execnz .LBB12_73
; %bb.74:
	s_or_b64 exec, exec, s[8:9]
.LBB12_75:
	s_or_b64 exec, exec, s[2:3]
	v_and_b32_e32 v54, 7, v91
	v_cmp_ne_u32_e32 vcc, 0, v54
	s_and_saveexec_b64 s[8:9], vcc
	s_cbranch_execz .LBB12_79
; %bb.76:
	v_mov_b32_e32 v55, 0x70
	v_lshl_add_u32 v56, v88, 3, v55
	v_mov_b32_e32 v55, 0
	s_mov_b64 s[10:11], 0
.LBB12_77:                              ; =>This Inner Loop Header: Depth=1
	v_cmp_eq_u32_e32 vcc, 1, v88
	v_cndmask_b32_e32 v57, v29, v31, vcc
	v_add_u32_e32 v54, -1, v54
	v_cmp_eq_u32_e64 s[2:3], 2, v88
	v_cndmask_b32_e64 v57, v57, v33, s[2:3]
	v_cndmask_b32_e32 v90, v28, v30, vcc
	v_cmp_eq_u32_e32 vcc, 0, v54
	v_cmp_eq_u32_e64 s[4:5], 3, v88
	v_cndmask_b32_e64 v57, v57, v35, s[4:5]
	v_cndmask_b32_e64 v90, v90, v32, s[2:3]
	s_or_b64 s[10:11], vcc, s[10:11]
	v_cmp_eq_u32_e32 vcc, 4, v88
	v_cndmask_b32_e32 v57, v57, v37, vcc
	v_cndmask_b32_e64 v90, v90, v34, s[4:5]
	v_cmp_eq_u32_e64 s[2:3], 5, v88
	v_cndmask_b32_e64 v57, v57, v39, s[2:3]
	v_cndmask_b32_e32 v90, v90, v36, vcc
	v_cmp_eq_u32_e32 vcc, 6, v88
	v_cndmask_b32_e32 v57, v57, v41, vcc
	v_cndmask_b32_e64 v90, v90, v38, s[2:3]
	v_cmp_eq_u32_e64 s[2:3], 7, v88
	v_cndmask_b32_e64 v57, v57, v43, s[2:3]
	v_cndmask_b32_e32 v90, v90, v40, vcc
	v_cmp_eq_u32_e32 vcc, 8, v88
	v_cndmask_b32_e32 v57, v57, v45, vcc
	v_cndmask_b32_e64 v90, v90, v42, s[2:3]
	v_cmp_eq_u32_e64 s[2:3], 9, v88
	ds_read_b64 v[58:59], v56
	v_cndmask_b32_e64 v57, v57, v47, s[2:3]
	v_cndmask_b32_e32 v90, v90, v44, vcc
	v_cmp_eq_u32_e32 vcc, 10, v88
	v_cndmask_b32_e32 v57, v57, v49, vcc
	v_cndmask_b32_e64 v90, v90, v46, s[2:3]
	v_cmp_eq_u32_e64 s[2:3], 11, v88
	v_cndmask_b32_e64 v57, v57, v51, s[2:3]
	v_cmp_eq_u32_e64 s[4:5], 12, v88
	v_cndmask_b32_e32 v90, v90, v48, vcc
	v_cndmask_b32_e64 v91, v57, v53, s[4:5]
	v_cndmask_b32_e64 v57, v90, v50, s[2:3]
	v_add_co_u32_e32 v88, vcc, 1, v88
	v_cndmask_b32_e64 v90, v57, v52, s[4:5]
	v_add_u32_e32 v56, 8, v56
	v_addc_co_u32_e32 v55, vcc, 0, v55, vcc
	s_waitcnt lgkmcnt(0)
	v_fmac_f64_e32 v[86:87], v[90:91], v[58:59]
	s_andn2_b64 exec, exec, s[10:11]
	s_cbranch_execnz .LBB12_77
; %bb.78:
	s_or_b64 exec, exec, s[10:11]
.LBB12_79:
	s_or_b64 exec, exec, s[8:9]
.LBB12_80:
	s_or_b64 exec, exec, s[6:7]
	v_mov_b32_e32 v40, 0
	ds_read_b64 v[40:41], v40 offset:48
	s_waitcnt lgkmcnt(0)
	v_mul_f64 v[40:41], v[86:87], v[40:41]
.LBB12_81:
	s_or_b64 exec, exec, s[28:29]
	v_cmp_lt_u32_e64 s[2:3], 5, v0
	ds_write_b64 v89, v[38:39]
	s_waitcnt lgkmcnt(0)
	; wave barrier
	s_waitcnt lgkmcnt(0)
	s_and_saveexec_b64 s[28:29], s[2:3]
	s_cbranch_execz .LBB12_97
; %bb.82:
	s_andn2_b64 vcc, exec, s[26:27]
	s_cbranch_vccnz .LBB12_84
; %bb.83:
	v_cmp_eq_u32_e32 vcc, 1, v0
	v_cndmask_b32_e32 v86, v29, v31, vcc
	v_cmp_eq_u32_e64 s[4:5], 2, v0
	v_cndmask_b32_e64 v86, v86, v33, s[4:5]
	v_cmp_eq_u32_e64 s[6:7], 3, v0
	v_cndmask_b32_e64 v86, v86, v35, s[6:7]
	;; [unrolled: 2-line block ×11, first 2 shown]
	v_cndmask_b32_e32 v86, v28, v30, vcc
	v_cndmask_b32_e64 v86, v86, v32, s[4:5]
	v_cndmask_b32_e64 v86, v86, v34, s[6:7]
	v_cndmask_b32_e64 v86, v86, v36, s[8:9]
	v_cndmask_b32_e64 v86, v86, v38, s[10:11]
	v_cndmask_b32_e64 v86, v86, v40, s[12:13]
	v_cndmask_b32_e64 v86, v86, v42, s[14:15]
	v_cndmask_b32_e64 v86, v86, v44, s[16:17]
	ds_read_b64 v[90:91], v89
	v_cndmask_b32_e64 v86, v86, v46, s[18:19]
	v_cndmask_b32_e64 v86, v86, v48, s[20:21]
	v_cndmask_b32_e64 v86, v86, v50, s[22:23]
	v_cndmask_b32_e64 v86, v86, v52, s[24:25]
	s_waitcnt lgkmcnt(0)
	v_mul_f64 v[86:87], v[86:87], v[90:91]
	s_cbranch_execz .LBB12_85
	s_branch .LBB12_86
.LBB12_84:
                                        ; implicit-def: $vgpr86_vgpr87
.LBB12_85:
	ds_read_b64 v[86:87], v89
.LBB12_86:
	s_and_saveexec_b64 s[6:7], s[0:1]
	s_cbranch_execz .LBB12_96
; %bb.87:
	v_add_u32_e32 v88, -7, v0
	v_add_u32_e32 v91, -6, v0
	v_cmp_lt_u32_e32 vcc, 6, v88
	v_mov_b32_e32 v88, 6
	s_and_saveexec_b64 s[0:1], vcc
	s_cbranch_execz .LBB12_91
; %bb.88:
	v_and_b32_e32 v88, -8, v91
	v_sub_u32_e32 v90, 0, v88
	s_mov_b64 s[4:5], 13
	s_movk_i32 s10, 0xa0
	s_mov_b64 s[8:9], 0
.LBB12_89:                              ; =>This Inner Loop Header: Depth=1
	s_lshl_b32 s11, s4, 1
	s_add_i32 s12, s11, -13
	s_add_i32 s13, s11, -14
	s_set_gpr_idx_on s12, gpr_idx(SRC0)
	v_mov_b32_e32 v109, v28
	s_set_gpr_idx_off
	v_mov_b32_e32 v88, s10
	s_add_i32 s14, s11, -11
	s_set_gpr_idx_on s13, gpr_idx(SRC0)
	v_mov_b32_e32 v108, v28
	s_set_gpr_idx_off
	s_add_i32 s15, s11, -12
	ds_read_b128 v[92:95], v88
	ds_read_b128 v[96:99], v88 offset:16
	ds_read_b128 v[100:103], v88 offset:32
	ds_read_b128 v[104:107], v88 offset:48
	s_set_gpr_idx_on s14, gpr_idx(SRC0)
	v_mov_b32_e32 v111, v28
	s_set_gpr_idx_off
	s_add_i32 s16, s11, -9
	s_set_gpr_idx_on s15, gpr_idx(SRC0)
	v_mov_b32_e32 v110, v28
	s_set_gpr_idx_off
	s_add_i32 s17, s11, -10
	;; [unrolled: 4-line block ×4, first 2 shown]
	s_waitcnt lgkmcnt(3)
	v_fmac_f64_e32 v[86:87], v[108:109], v[92:93]
	s_set_gpr_idx_on s18, gpr_idx(SRC0)
	v_mov_b32_e32 v93, v28
	s_set_gpr_idx_off
	s_add_i32 s20, s11, -5
	v_fmac_f64_e32 v[86:87], v[110:111], v[94:95]
	s_set_gpr_idx_on s19, gpr_idx(SRC0)
	v_mov_b32_e32 v92, v28
	s_set_gpr_idx_off
	s_add_i32 s21, s11, -6
	s_waitcnt lgkmcnt(2)
	v_fmac_f64_e32 v[86:87], v[112:113], v[96:97]
	s_set_gpr_idx_on s20, gpr_idx(SRC0)
	v_mov_b32_e32 v95, v28
	s_set_gpr_idx_off
	s_add_i32 s22, s11, -3
	v_fmac_f64_e32 v[86:87], v[92:93], v[98:99]
	s_set_gpr_idx_on s21, gpr_idx(SRC0)
	v_mov_b32_e32 v94, v28
	s_set_gpr_idx_off
	s_add_i32 s23, s11, -4
	s_waitcnt lgkmcnt(1)
	v_fmac_f64_e32 v[86:87], v[94:95], v[100:101]
	s_set_gpr_idx_on s22, gpr_idx(SRC0)
	v_mov_b32_e32 v93, v28
	s_set_gpr_idx_off
	s_add_i32 s24, s11, -1
	s_set_gpr_idx_on s23, gpr_idx(SRC0)
	v_mov_b32_e32 v92, v28
	s_set_gpr_idx_off
	s_add_i32 s25, s11, -2
	v_fmac_f64_e32 v[86:87], v[92:93], v[102:103]
	s_set_gpr_idx_on s24, gpr_idx(SRC0)
	v_mov_b32_e32 v93, v28
	s_set_gpr_idx_off
	s_add_u32 s4, s4, 8
	s_set_gpr_idx_on s25, gpr_idx(SRC0)
	v_mov_b32_e32 v92, v28
	s_set_gpr_idx_off
	v_add_u32_e32 v88, s4, v90
	s_waitcnt lgkmcnt(0)
	v_fmac_f64_e32 v[86:87], v[92:93], v[104:105]
	s_set_gpr_idx_on s11, gpr_idx(SRC0)
	v_mov_b32_e32 v93, v29
	s_set_gpr_idx_off
	s_addc_u32 s5, s5, 0
	s_add_i32 s10, s10, 64
	s_add_i32 s12, s4, -7
	v_cmp_eq_u32_e32 vcc, 13, v88
	s_set_gpr_idx_on s11, gpr_idx(SRC0)
	v_mov_b32_e32 v92, v28
	s_set_gpr_idx_off
	v_mov_b32_e32 v88, s12
	s_or_b64 s[8:9], vcc, s[8:9]
	v_fmac_f64_e32 v[86:87], v[92:93], v[106:107]
	s_andn2_b64 exec, exec, s[8:9]
	s_cbranch_execnz .LBB12_89
; %bb.90:
	s_or_b64 exec, exec, s[8:9]
.LBB12_91:
	s_or_b64 exec, exec, s[0:1]
	v_and_b32_e32 v54, 7, v91
	v_cmp_ne_u32_e32 vcc, 0, v54
	s_and_saveexec_b64 s[8:9], vcc
	s_cbranch_execz .LBB12_95
; %bb.92:
	v_mov_b32_e32 v55, 0x70
	v_lshl_add_u32 v56, v88, 3, v55
	v_mov_b32_e32 v55, 0
	s_mov_b64 s[10:11], 0
.LBB12_93:                              ; =>This Inner Loop Header: Depth=1
	v_cmp_eq_u32_e32 vcc, 1, v88
	v_cndmask_b32_e32 v57, v29, v31, vcc
	v_add_u32_e32 v54, -1, v54
	v_cmp_eq_u32_e64 s[0:1], 2, v88
	v_cndmask_b32_e64 v57, v57, v33, s[0:1]
	v_cndmask_b32_e32 v90, v28, v30, vcc
	v_cmp_eq_u32_e32 vcc, 0, v54
	v_cmp_eq_u32_e64 s[4:5], 3, v88
	v_cndmask_b32_e64 v57, v57, v35, s[4:5]
	v_cndmask_b32_e64 v90, v90, v32, s[0:1]
	s_or_b64 s[10:11], vcc, s[10:11]
	v_cmp_eq_u32_e32 vcc, 4, v88
	v_cndmask_b32_e32 v57, v57, v37, vcc
	v_cndmask_b32_e64 v90, v90, v34, s[4:5]
	v_cmp_eq_u32_e64 s[0:1], 5, v88
	v_cndmask_b32_e64 v57, v57, v39, s[0:1]
	v_cndmask_b32_e32 v90, v90, v36, vcc
	v_cmp_eq_u32_e32 vcc, 6, v88
	v_cndmask_b32_e32 v57, v57, v41, vcc
	v_cndmask_b32_e64 v90, v90, v38, s[0:1]
	v_cmp_eq_u32_e64 s[0:1], 7, v88
	v_cndmask_b32_e64 v57, v57, v43, s[0:1]
	v_cndmask_b32_e32 v90, v90, v40, vcc
	v_cmp_eq_u32_e32 vcc, 8, v88
	v_cndmask_b32_e32 v57, v57, v45, vcc
	v_cndmask_b32_e64 v90, v90, v42, s[0:1]
	v_cmp_eq_u32_e64 s[0:1], 9, v88
	ds_read_b64 v[58:59], v56
	v_cndmask_b32_e64 v57, v57, v47, s[0:1]
	v_cndmask_b32_e32 v90, v90, v44, vcc
	v_cmp_eq_u32_e32 vcc, 10, v88
	v_cndmask_b32_e32 v57, v57, v49, vcc
	v_cndmask_b32_e64 v90, v90, v46, s[0:1]
	v_cmp_eq_u32_e64 s[0:1], 11, v88
	v_cndmask_b32_e64 v57, v57, v51, s[0:1]
	v_cmp_eq_u32_e64 s[4:5], 12, v88
	v_cndmask_b32_e32 v90, v90, v48, vcc
	v_cndmask_b32_e64 v91, v57, v53, s[4:5]
	v_cndmask_b32_e64 v57, v90, v50, s[0:1]
	v_add_co_u32_e32 v88, vcc, 1, v88
	v_cndmask_b32_e64 v90, v57, v52, s[4:5]
	v_add_u32_e32 v56, 8, v56
	v_addc_co_u32_e32 v55, vcc, 0, v55, vcc
	s_waitcnt lgkmcnt(0)
	v_fmac_f64_e32 v[86:87], v[90:91], v[58:59]
	s_andn2_b64 exec, exec, s[10:11]
	s_cbranch_execnz .LBB12_93
; %bb.94:
	s_or_b64 exec, exec, s[10:11]
.LBB12_95:
	s_or_b64 exec, exec, s[8:9]
.LBB12_96:
	s_or_b64 exec, exec, s[6:7]
	v_mov_b32_e32 v38, 0
	ds_read_b64 v[38:39], v38 offset:40
	s_waitcnt lgkmcnt(0)
	v_mul_f64 v[38:39], v[86:87], v[38:39]
.LBB12_97:
	s_or_b64 exec, exec, s[28:29]
	v_cmp_lt_u32_e64 s[0:1], 4, v0
	ds_write_b64 v89, v[36:37]
	s_waitcnt lgkmcnt(0)
	; wave barrier
	s_waitcnt lgkmcnt(0)
	s_and_saveexec_b64 s[28:29], s[0:1]
	s_cbranch_execz .LBB12_113
; %bb.98:
	s_andn2_b64 vcc, exec, s[26:27]
	s_cbranch_vccnz .LBB12_100
; %bb.99:
	v_cmp_eq_u32_e32 vcc, 1, v0
	v_cndmask_b32_e32 v86, v29, v31, vcc
	v_cmp_eq_u32_e64 s[4:5], 2, v0
	v_cndmask_b32_e64 v86, v86, v33, s[4:5]
	v_cmp_eq_u32_e64 s[6:7], 3, v0
	v_cndmask_b32_e64 v86, v86, v35, s[6:7]
	;; [unrolled: 2-line block ×11, first 2 shown]
	v_cndmask_b32_e32 v86, v28, v30, vcc
	v_cndmask_b32_e64 v86, v86, v32, s[4:5]
	v_cndmask_b32_e64 v86, v86, v34, s[6:7]
	;; [unrolled: 1-line block ×7, first 2 shown]
	ds_read_b64 v[90:91], v89
	v_cndmask_b32_e64 v86, v86, v46, s[18:19]
	v_cndmask_b32_e64 v86, v86, v48, s[20:21]
	;; [unrolled: 1-line block ×4, first 2 shown]
	s_waitcnt lgkmcnt(0)
	v_mul_f64 v[86:87], v[86:87], v[90:91]
	s_cbranch_execz .LBB12_101
	s_branch .LBB12_102
.LBB12_100:
                                        ; implicit-def: $vgpr86_vgpr87
.LBB12_101:
	ds_read_b64 v[86:87], v89
.LBB12_102:
	s_and_saveexec_b64 s[6:7], s[2:3]
	s_cbranch_execz .LBB12_112
; %bb.103:
	v_add_u32_e32 v88, -6, v0
	v_add_u32_e32 v91, -5, v0
	v_cmp_lt_u32_e32 vcc, 6, v88
	v_mov_b32_e32 v88, 5
	s_and_saveexec_b64 s[2:3], vcc
	s_cbranch_execz .LBB12_107
; %bb.104:
	v_and_b32_e32 v88, -8, v91
	v_sub_u32_e32 v90, 0, v88
	s_mov_b64 s[4:5], 12
	s_movk_i32 s10, 0x98
	s_mov_b64 s[8:9], 0
.LBB12_105:                             ; =>This Inner Loop Header: Depth=1
	s_lshl_b32 s11, s4, 1
	s_add_i32 s12, s11, -13
	v_mov_b32_e32 v106, s10
	s_add_i32 s13, s11, -14
	s_set_gpr_idx_on s12, gpr_idx(SRC0)
	v_mov_b32_e32 v101, v28
	s_set_gpr_idx_off
	s_add_i32 s14, s11, -11
	s_set_gpr_idx_on s13, gpr_idx(SRC0)
	v_mov_b32_e32 v100, v28
	s_set_gpr_idx_off
	ds_read2_b64 v[92:95], v106 offset1:1
	s_add_i32 s15, s11, -12
	s_set_gpr_idx_on s14, gpr_idx(SRC0)
	v_mov_b32_e32 v103, v28
	s_set_gpr_idx_off
	s_add_i32 s16, s11, -9
	s_set_gpr_idx_on s15, gpr_idx(SRC0)
	v_mov_b32_e32 v102, v28
	s_set_gpr_idx_off
	;; [unrolled: 4-line block ×4, first 2 shown]
	ds_read2_b64 v[96:99], v106 offset0:2 offset1:3
	s_add_i32 s19, s11, -8
	s_waitcnt lgkmcnt(1)
	v_fmac_f64_e32 v[86:87], v[100:101], v[92:93]
	s_set_gpr_idx_on s18, gpr_idx(SRC0)
	v_mov_b32_e32 v101, v28
	s_set_gpr_idx_off
	s_add_i32 s20, s11, -5
	v_fmac_f64_e32 v[86:87], v[102:103], v[94:95]
	s_set_gpr_idx_on s19, gpr_idx(SRC0)
	v_mov_b32_e32 v100, v28
	s_set_gpr_idx_off
	s_add_i32 s21, s11, -6
	s_set_gpr_idx_on s20, gpr_idx(SRC0)
	v_mov_b32_e32 v103, v28
	s_set_gpr_idx_off
	s_add_i32 s22, s11, -3
	;; [unrolled: 4-line block ×3, first 2 shown]
	ds_read2_b64 v[92:95], v106 offset0:4 offset1:5
	s_waitcnt lgkmcnt(1)
	v_fmac_f64_e32 v[86:87], v[104:105], v[96:97]
	s_set_gpr_idx_on s22, gpr_idx(SRC0)
	v_mov_b32_e32 v105, v28
	s_set_gpr_idx_off
	s_add_i32 s24, s11, -1
	v_fmac_f64_e32 v[86:87], v[100:101], v[98:99]
	s_set_gpr_idx_on s23, gpr_idx(SRC0)
	v_mov_b32_e32 v104, v28
	s_set_gpr_idx_off
	s_add_i32 s25, s11, -2
	s_set_gpr_idx_on s24, gpr_idx(SRC0)
	v_mov_b32_e32 v101, v28
	s_set_gpr_idx_off
	s_set_gpr_idx_on s25, gpr_idx(SRC0)
	v_mov_b32_e32 v100, v28
	s_set_gpr_idx_off
	ds_read2_b64 v[96:99], v106 offset0:6 offset1:7
	s_add_u32 s4, s4, 8
	s_waitcnt lgkmcnt(1)
	v_fmac_f64_e32 v[86:87], v[102:103], v[92:93]
	s_set_gpr_idx_on s11, gpr_idx(SRC0)
	v_mov_b32_e32 v93, v29
	s_set_gpr_idx_off
	v_add_u32_e32 v88, s4, v90
	v_fmac_f64_e32 v[86:87], v[104:105], v[94:95]
	s_set_gpr_idx_on s11, gpr_idx(SRC0)
	v_mov_b32_e32 v92, v28
	s_set_gpr_idx_off
	s_addc_u32 s5, s5, 0
	s_add_i32 s10, s10, 64
	s_add_i32 s12, s4, -7
	v_cmp_eq_u32_e32 vcc, 12, v88
	s_waitcnt lgkmcnt(0)
	v_fmac_f64_e32 v[86:87], v[100:101], v[96:97]
	v_mov_b32_e32 v88, s12
	s_or_b64 s[8:9], vcc, s[8:9]
	v_fmac_f64_e32 v[86:87], v[92:93], v[98:99]
	s_andn2_b64 exec, exec, s[8:9]
	s_cbranch_execnz .LBB12_105
; %bb.106:
	s_or_b64 exec, exec, s[8:9]
.LBB12_107:
	s_or_b64 exec, exec, s[2:3]
	v_and_b32_e32 v54, 7, v91
	v_cmp_ne_u32_e32 vcc, 0, v54
	s_and_saveexec_b64 s[8:9], vcc
	s_cbranch_execz .LBB12_111
; %bb.108:
	v_mov_b32_e32 v55, 0x70
	v_lshl_add_u32 v56, v88, 3, v55
	v_mov_b32_e32 v55, 0
	s_mov_b64 s[10:11], 0
.LBB12_109:                             ; =>This Inner Loop Header: Depth=1
	v_cmp_eq_u32_e32 vcc, 1, v88
	v_cndmask_b32_e32 v57, v29, v31, vcc
	v_add_u32_e32 v54, -1, v54
	v_cmp_eq_u32_e64 s[2:3], 2, v88
	v_cndmask_b32_e64 v57, v57, v33, s[2:3]
	v_cndmask_b32_e32 v90, v28, v30, vcc
	v_cmp_eq_u32_e32 vcc, 0, v54
	v_cmp_eq_u32_e64 s[4:5], 3, v88
	v_cndmask_b32_e64 v57, v57, v35, s[4:5]
	v_cndmask_b32_e64 v90, v90, v32, s[2:3]
	s_or_b64 s[10:11], vcc, s[10:11]
	v_cmp_eq_u32_e32 vcc, 4, v88
	v_cndmask_b32_e32 v57, v57, v37, vcc
	v_cndmask_b32_e64 v90, v90, v34, s[4:5]
	v_cmp_eq_u32_e64 s[2:3], 5, v88
	v_cndmask_b32_e64 v57, v57, v39, s[2:3]
	v_cndmask_b32_e32 v90, v90, v36, vcc
	v_cmp_eq_u32_e32 vcc, 6, v88
	v_cndmask_b32_e32 v57, v57, v41, vcc
	v_cndmask_b32_e64 v90, v90, v38, s[2:3]
	v_cmp_eq_u32_e64 s[2:3], 7, v88
	v_cndmask_b32_e64 v57, v57, v43, s[2:3]
	v_cndmask_b32_e32 v90, v90, v40, vcc
	v_cmp_eq_u32_e32 vcc, 8, v88
	v_cndmask_b32_e32 v57, v57, v45, vcc
	v_cndmask_b32_e64 v90, v90, v42, s[2:3]
	v_cmp_eq_u32_e64 s[2:3], 9, v88
	ds_read_b64 v[58:59], v56
	v_cndmask_b32_e64 v57, v57, v47, s[2:3]
	v_cndmask_b32_e32 v90, v90, v44, vcc
	v_cmp_eq_u32_e32 vcc, 10, v88
	v_cndmask_b32_e32 v57, v57, v49, vcc
	v_cndmask_b32_e64 v90, v90, v46, s[2:3]
	v_cmp_eq_u32_e64 s[2:3], 11, v88
	v_cndmask_b32_e64 v57, v57, v51, s[2:3]
	v_cmp_eq_u32_e64 s[4:5], 12, v88
	v_cndmask_b32_e32 v90, v90, v48, vcc
	v_cndmask_b32_e64 v91, v57, v53, s[4:5]
	v_cndmask_b32_e64 v57, v90, v50, s[2:3]
	v_add_co_u32_e32 v88, vcc, 1, v88
	v_cndmask_b32_e64 v90, v57, v52, s[4:5]
	v_add_u32_e32 v56, 8, v56
	v_addc_co_u32_e32 v55, vcc, 0, v55, vcc
	s_waitcnt lgkmcnt(0)
	v_fmac_f64_e32 v[86:87], v[90:91], v[58:59]
	s_andn2_b64 exec, exec, s[10:11]
	s_cbranch_execnz .LBB12_109
; %bb.110:
	s_or_b64 exec, exec, s[10:11]
.LBB12_111:
	s_or_b64 exec, exec, s[8:9]
.LBB12_112:
	s_or_b64 exec, exec, s[6:7]
	v_mov_b32_e32 v36, 0
	ds_read_b64 v[36:37], v36 offset:32
	s_waitcnt lgkmcnt(0)
	v_mul_f64 v[36:37], v[86:87], v[36:37]
.LBB12_113:
	s_or_b64 exec, exec, s[28:29]
	v_cmp_lt_u32_e64 s[2:3], 3, v0
	ds_write_b64 v89, v[34:35]
	s_waitcnt lgkmcnt(0)
	; wave barrier
	s_waitcnt lgkmcnt(0)
	s_and_saveexec_b64 s[28:29], s[2:3]
	s_cbranch_execz .LBB12_129
; %bb.114:
	s_andn2_b64 vcc, exec, s[26:27]
	s_cbranch_vccnz .LBB12_116
; %bb.115:
	v_cmp_eq_u32_e32 vcc, 1, v0
	v_cndmask_b32_e32 v86, v29, v31, vcc
	v_cmp_eq_u32_e64 s[4:5], 2, v0
	v_cndmask_b32_e64 v86, v86, v33, s[4:5]
	v_cmp_eq_u32_e64 s[6:7], 3, v0
	v_cndmask_b32_e64 v86, v86, v35, s[6:7]
	;; [unrolled: 2-line block ×11, first 2 shown]
	v_cndmask_b32_e32 v86, v28, v30, vcc
	v_cndmask_b32_e64 v86, v86, v32, s[4:5]
	v_cndmask_b32_e64 v86, v86, v34, s[6:7]
	;; [unrolled: 1-line block ×7, first 2 shown]
	ds_read_b64 v[90:91], v89
	v_cndmask_b32_e64 v86, v86, v46, s[18:19]
	v_cndmask_b32_e64 v86, v86, v48, s[20:21]
	;; [unrolled: 1-line block ×4, first 2 shown]
	s_waitcnt lgkmcnt(0)
	v_mul_f64 v[86:87], v[86:87], v[90:91]
	s_cbranch_execz .LBB12_117
	s_branch .LBB12_118
.LBB12_116:
                                        ; implicit-def: $vgpr86_vgpr87
.LBB12_117:
	ds_read_b64 v[86:87], v89
.LBB12_118:
	s_and_saveexec_b64 s[6:7], s[0:1]
	s_cbranch_execz .LBB12_128
; %bb.119:
	v_add_u32_e32 v88, -5, v0
	v_add_u32_e32 v91, -4, v0
	v_cmp_lt_u32_e32 vcc, 6, v88
	v_mov_b32_e32 v88, 4
	s_and_saveexec_b64 s[0:1], vcc
	s_cbranch_execz .LBB12_123
; %bb.120:
	v_and_b32_e32 v88, -8, v91
	v_sub_u32_e32 v90, 0, v88
	s_mov_b64 s[4:5], 5
	s_movk_i32 s10, 0x90
	s_mov_b64 s[8:9], 0
.LBB12_121:                             ; =>This Inner Loop Header: Depth=1
	s_lshl_b32 s11, s4, 1
	s_add_i32 s12, s11, -1
	s_add_i32 s13, s11, -2
	s_set_gpr_idx_on s12, gpr_idx(SRC0)
	v_mov_b32_e32 v109, v28
	s_set_gpr_idx_off
	v_mov_b32_e32 v88, s10
	s_set_gpr_idx_on s13, gpr_idx(SRC0)
	v_mov_b32_e32 v108, v28
	s_set_gpr_idx_off
	ds_read_b128 v[92:95], v88
	ds_read_b128 v[96:99], v88 offset:16
	ds_read_b128 v[100:103], v88 offset:32
	ds_read_b128 v[104:107], v88 offset:48
	s_set_gpr_idx_on s11, gpr_idx(SRC0)
	v_mov_b32_e32 v111, v29
	s_add_i32 s14, s11, 3
	v_mov_b32_e32 v110, v28
	s_set_gpr_idx_off
	s_add_i32 s15, s11, 2
	s_set_gpr_idx_on s14, gpr_idx(SRC0)
	v_mov_b32_e32 v113, v28
	s_set_gpr_idx_off
	s_add_i32 s16, s11, 5
	s_set_gpr_idx_on s15, gpr_idx(SRC0)
	v_mov_b32_e32 v112, v28
	s_set_gpr_idx_off
	s_add_i32 s17, s11, 4
	s_waitcnt lgkmcnt(3)
	v_fmac_f64_e32 v[86:87], v[108:109], v[92:93]
	s_set_gpr_idx_on s16, gpr_idx(SRC0)
	v_mov_b32_e32 v93, v28
	s_set_gpr_idx_off
	s_add_i32 s18, s11, 7
	v_fmac_f64_e32 v[86:87], v[110:111], v[94:95]
	s_set_gpr_idx_on s17, gpr_idx(SRC0)
	v_mov_b32_e32 v92, v28
	s_set_gpr_idx_off
	s_add_i32 s19, s11, 6
	s_waitcnt lgkmcnt(2)
	v_fmac_f64_e32 v[86:87], v[112:113], v[96:97]
	s_set_gpr_idx_on s18, gpr_idx(SRC0)
	v_mov_b32_e32 v95, v28
	s_set_gpr_idx_off
	s_add_i32 s20, s11, 9
	v_fmac_f64_e32 v[86:87], v[92:93], v[98:99]
	s_set_gpr_idx_on s19, gpr_idx(SRC0)
	v_mov_b32_e32 v94, v28
	s_set_gpr_idx_off
	s_add_i32 s21, s11, 8
	s_waitcnt lgkmcnt(1)
	v_fmac_f64_e32 v[86:87], v[94:95], v[100:101]
	s_set_gpr_idx_on s20, gpr_idx(SRC0)
	v_mov_b32_e32 v93, v28
	s_set_gpr_idx_off
	s_add_i32 s22, s11, 11
	s_set_gpr_idx_on s21, gpr_idx(SRC0)
	v_mov_b32_e32 v92, v28
	s_set_gpr_idx_off
	s_add_i32 s23, s11, 10
	s_add_i32 s24, s11, 13
	;; [unrolled: 1-line block ×3, first 2 shown]
	v_fmac_f64_e32 v[86:87], v[92:93], v[102:103]
	s_set_gpr_idx_on s22, gpr_idx(SRC0)
	v_mov_b32_e32 v93, v28
	s_set_gpr_idx_off
	s_add_u32 s4, s4, 8
	s_set_gpr_idx_on s23, gpr_idx(SRC0)
	v_mov_b32_e32 v92, v28
	s_set_gpr_idx_off
	v_add_u32_e32 v88, s4, v90
	s_waitcnt lgkmcnt(0)
	v_fmac_f64_e32 v[86:87], v[92:93], v[104:105]
	s_set_gpr_idx_on s24, gpr_idx(SRC0)
	v_mov_b32_e32 v93, v28
	s_set_gpr_idx_off
	s_addc_u32 s5, s5, 0
	s_add_i32 s10, s10, 64
	s_add_i32 s12, s4, -1
	v_cmp_eq_u32_e32 vcc, 5, v88
	s_set_gpr_idx_on s25, gpr_idx(SRC0)
	v_mov_b32_e32 v92, v28
	s_set_gpr_idx_off
	v_mov_b32_e32 v88, s12
	s_or_b64 s[8:9], vcc, s[8:9]
	v_fmac_f64_e32 v[86:87], v[92:93], v[106:107]
	s_andn2_b64 exec, exec, s[8:9]
	s_cbranch_execnz .LBB12_121
; %bb.122:
	s_or_b64 exec, exec, s[8:9]
.LBB12_123:
	s_or_b64 exec, exec, s[0:1]
	v_and_b32_e32 v54, 7, v91
	v_cmp_ne_u32_e32 vcc, 0, v54
	s_and_saveexec_b64 s[8:9], vcc
	s_cbranch_execz .LBB12_127
; %bb.124:
	v_mov_b32_e32 v55, 0x70
	v_lshl_add_u32 v56, v88, 3, v55
	v_mov_b32_e32 v55, 0
	s_mov_b64 s[10:11], 0
.LBB12_125:                             ; =>This Inner Loop Header: Depth=1
	v_cmp_eq_u32_e32 vcc, 1, v88
	v_cndmask_b32_e32 v57, v29, v31, vcc
	v_add_u32_e32 v54, -1, v54
	v_cmp_eq_u32_e64 s[0:1], 2, v88
	v_cndmask_b32_e64 v57, v57, v33, s[0:1]
	v_cndmask_b32_e32 v90, v28, v30, vcc
	v_cmp_eq_u32_e32 vcc, 0, v54
	v_cmp_eq_u32_e64 s[4:5], 3, v88
	v_cndmask_b32_e64 v57, v57, v35, s[4:5]
	v_cndmask_b32_e64 v90, v90, v32, s[0:1]
	s_or_b64 s[10:11], vcc, s[10:11]
	v_cmp_eq_u32_e32 vcc, 4, v88
	v_cndmask_b32_e32 v57, v57, v37, vcc
	v_cndmask_b32_e64 v90, v90, v34, s[4:5]
	v_cmp_eq_u32_e64 s[0:1], 5, v88
	v_cndmask_b32_e64 v57, v57, v39, s[0:1]
	v_cndmask_b32_e32 v90, v90, v36, vcc
	v_cmp_eq_u32_e32 vcc, 6, v88
	v_cndmask_b32_e32 v57, v57, v41, vcc
	v_cndmask_b32_e64 v90, v90, v38, s[0:1]
	v_cmp_eq_u32_e64 s[0:1], 7, v88
	v_cndmask_b32_e64 v57, v57, v43, s[0:1]
	v_cndmask_b32_e32 v90, v90, v40, vcc
	v_cmp_eq_u32_e32 vcc, 8, v88
	v_cndmask_b32_e32 v57, v57, v45, vcc
	v_cndmask_b32_e64 v90, v90, v42, s[0:1]
	v_cmp_eq_u32_e64 s[0:1], 9, v88
	ds_read_b64 v[58:59], v56
	v_cndmask_b32_e64 v57, v57, v47, s[0:1]
	v_cndmask_b32_e32 v90, v90, v44, vcc
	v_cmp_eq_u32_e32 vcc, 10, v88
	v_cndmask_b32_e32 v57, v57, v49, vcc
	v_cndmask_b32_e64 v90, v90, v46, s[0:1]
	v_cmp_eq_u32_e64 s[0:1], 11, v88
	v_cndmask_b32_e64 v57, v57, v51, s[0:1]
	v_cmp_eq_u32_e64 s[4:5], 12, v88
	v_cndmask_b32_e32 v90, v90, v48, vcc
	v_cndmask_b32_e64 v91, v57, v53, s[4:5]
	v_cndmask_b32_e64 v57, v90, v50, s[0:1]
	v_add_co_u32_e32 v88, vcc, 1, v88
	v_cndmask_b32_e64 v90, v57, v52, s[4:5]
	v_add_u32_e32 v56, 8, v56
	v_addc_co_u32_e32 v55, vcc, 0, v55, vcc
	s_waitcnt lgkmcnt(0)
	v_fmac_f64_e32 v[86:87], v[90:91], v[58:59]
	s_andn2_b64 exec, exec, s[10:11]
	s_cbranch_execnz .LBB12_125
; %bb.126:
	s_or_b64 exec, exec, s[10:11]
.LBB12_127:
	s_or_b64 exec, exec, s[8:9]
.LBB12_128:
	s_or_b64 exec, exec, s[6:7]
	v_mov_b32_e32 v34, 0
	ds_read_b64 v[34:35], v34 offset:24
	s_waitcnt lgkmcnt(0)
	v_mul_f64 v[34:35], v[86:87], v[34:35]
.LBB12_129:
	s_or_b64 exec, exec, s[28:29]
	v_cmp_lt_u32_e64 s[0:1], 2, v0
	ds_write_b64 v89, v[32:33]
	s_waitcnt lgkmcnt(0)
	; wave barrier
	s_waitcnt lgkmcnt(0)
	s_and_saveexec_b64 s[28:29], s[0:1]
	s_cbranch_execz .LBB12_145
; %bb.130:
	s_andn2_b64 vcc, exec, s[26:27]
	s_cbranch_vccnz .LBB12_132
; %bb.131:
	v_cmp_eq_u32_e32 vcc, 1, v0
	v_cndmask_b32_e32 v86, v29, v31, vcc
	v_cmp_eq_u32_e64 s[4:5], 2, v0
	v_cndmask_b32_e64 v86, v86, v33, s[4:5]
	v_cmp_eq_u32_e64 s[6:7], 3, v0
	v_cndmask_b32_e64 v86, v86, v35, s[6:7]
	;; [unrolled: 2-line block ×11, first 2 shown]
	v_cndmask_b32_e32 v86, v28, v30, vcc
	v_cndmask_b32_e64 v86, v86, v32, s[4:5]
	v_cndmask_b32_e64 v86, v86, v34, s[6:7]
	;; [unrolled: 1-line block ×7, first 2 shown]
	ds_read_b64 v[90:91], v89
	v_cndmask_b32_e64 v86, v86, v46, s[18:19]
	v_cndmask_b32_e64 v86, v86, v48, s[20:21]
	;; [unrolled: 1-line block ×4, first 2 shown]
	s_waitcnt lgkmcnt(0)
	v_mul_f64 v[86:87], v[86:87], v[90:91]
	s_cbranch_execz .LBB12_133
	s_branch .LBB12_134
.LBB12_132:
                                        ; implicit-def: $vgpr86_vgpr87
.LBB12_133:
	ds_read_b64 v[86:87], v89
.LBB12_134:
	s_and_saveexec_b64 s[6:7], s[2:3]
	s_cbranch_execz .LBB12_144
; %bb.135:
	v_add_u32_e32 v88, -4, v0
	v_add_u32_e32 v91, -3, v0
	v_cmp_lt_u32_e32 vcc, 6, v88
	v_mov_b32_e32 v88, 3
	s_and_saveexec_b64 s[2:3], vcc
	s_cbranch_execz .LBB12_139
; %bb.136:
	v_and_b32_e32 v88, -8, v91
	v_sub_u32_e32 v90, 0, v88
	s_mov_b64 s[4:5], 10
	s_movk_i32 s10, 0x88
	s_mov_b64 s[8:9], 0
.LBB12_137:                             ; =>This Inner Loop Header: Depth=1
	s_lshl_b32 s11, s4, 1
	s_add_i32 s12, s11, -13
	v_mov_b32_e32 v106, s10
	s_add_i32 s13, s11, -14
	s_set_gpr_idx_on s12, gpr_idx(SRC0)
	v_mov_b32_e32 v101, v28
	s_set_gpr_idx_off
	s_add_i32 s14, s11, -11
	s_set_gpr_idx_on s13, gpr_idx(SRC0)
	v_mov_b32_e32 v100, v28
	s_set_gpr_idx_off
	ds_read2_b64 v[92:95], v106 offset1:1
	s_add_i32 s15, s11, -12
	s_set_gpr_idx_on s14, gpr_idx(SRC0)
	v_mov_b32_e32 v103, v28
	s_set_gpr_idx_off
	s_add_i32 s16, s11, -9
	s_set_gpr_idx_on s15, gpr_idx(SRC0)
	v_mov_b32_e32 v102, v28
	s_set_gpr_idx_off
	;; [unrolled: 4-line block ×4, first 2 shown]
	ds_read2_b64 v[96:99], v106 offset0:2 offset1:3
	s_add_i32 s19, s11, -8
	s_waitcnt lgkmcnt(1)
	v_fmac_f64_e32 v[86:87], v[100:101], v[92:93]
	s_set_gpr_idx_on s18, gpr_idx(SRC0)
	v_mov_b32_e32 v101, v28
	s_set_gpr_idx_off
	s_add_i32 s20, s11, -5
	v_fmac_f64_e32 v[86:87], v[102:103], v[94:95]
	s_set_gpr_idx_on s19, gpr_idx(SRC0)
	v_mov_b32_e32 v100, v28
	s_set_gpr_idx_off
	s_add_i32 s21, s11, -6
	s_set_gpr_idx_on s20, gpr_idx(SRC0)
	v_mov_b32_e32 v103, v28
	s_set_gpr_idx_off
	s_add_i32 s22, s11, -3
	;; [unrolled: 4-line block ×3, first 2 shown]
	ds_read2_b64 v[92:95], v106 offset0:4 offset1:5
	s_waitcnt lgkmcnt(1)
	v_fmac_f64_e32 v[86:87], v[104:105], v[96:97]
	s_set_gpr_idx_on s22, gpr_idx(SRC0)
	v_mov_b32_e32 v105, v28
	s_set_gpr_idx_off
	s_add_i32 s24, s11, -1
	v_fmac_f64_e32 v[86:87], v[100:101], v[98:99]
	s_set_gpr_idx_on s23, gpr_idx(SRC0)
	v_mov_b32_e32 v104, v28
	s_set_gpr_idx_off
	s_add_i32 s25, s11, -2
	s_set_gpr_idx_on s24, gpr_idx(SRC0)
	v_mov_b32_e32 v101, v28
	s_set_gpr_idx_off
	s_set_gpr_idx_on s25, gpr_idx(SRC0)
	v_mov_b32_e32 v100, v28
	s_set_gpr_idx_off
	ds_read2_b64 v[96:99], v106 offset0:6 offset1:7
	s_add_u32 s4, s4, 8
	s_waitcnt lgkmcnt(1)
	v_fmac_f64_e32 v[86:87], v[102:103], v[92:93]
	s_set_gpr_idx_on s11, gpr_idx(SRC0)
	v_mov_b32_e32 v93, v29
	s_set_gpr_idx_off
	v_add_u32_e32 v88, s4, v90
	v_fmac_f64_e32 v[86:87], v[104:105], v[94:95]
	s_set_gpr_idx_on s11, gpr_idx(SRC0)
	v_mov_b32_e32 v92, v28
	s_set_gpr_idx_off
	s_addc_u32 s5, s5, 0
	s_add_i32 s10, s10, 64
	s_add_i32 s12, s4, -7
	v_cmp_eq_u32_e32 vcc, 10, v88
	s_waitcnt lgkmcnt(0)
	v_fmac_f64_e32 v[86:87], v[100:101], v[96:97]
	v_mov_b32_e32 v88, s12
	s_or_b64 s[8:9], vcc, s[8:9]
	v_fmac_f64_e32 v[86:87], v[92:93], v[98:99]
	s_andn2_b64 exec, exec, s[8:9]
	s_cbranch_execnz .LBB12_137
; %bb.138:
	s_or_b64 exec, exec, s[8:9]
.LBB12_139:
	s_or_b64 exec, exec, s[2:3]
	v_and_b32_e32 v54, 7, v91
	v_cmp_ne_u32_e32 vcc, 0, v54
	s_and_saveexec_b64 s[8:9], vcc
	s_cbranch_execz .LBB12_143
; %bb.140:
	v_mov_b32_e32 v55, 0x70
	v_lshl_add_u32 v56, v88, 3, v55
	v_mov_b32_e32 v55, 0
	s_mov_b64 s[10:11], 0
.LBB12_141:                             ; =>This Inner Loop Header: Depth=1
	v_cmp_eq_u32_e32 vcc, 1, v88
	v_cndmask_b32_e32 v57, v29, v31, vcc
	v_add_u32_e32 v54, -1, v54
	v_cmp_eq_u32_e64 s[2:3], 2, v88
	v_cndmask_b32_e64 v57, v57, v33, s[2:3]
	v_cndmask_b32_e32 v90, v28, v30, vcc
	v_cmp_eq_u32_e32 vcc, 0, v54
	v_cmp_eq_u32_e64 s[4:5], 3, v88
	v_cndmask_b32_e64 v57, v57, v35, s[4:5]
	v_cndmask_b32_e64 v90, v90, v32, s[2:3]
	s_or_b64 s[10:11], vcc, s[10:11]
	v_cmp_eq_u32_e32 vcc, 4, v88
	v_cndmask_b32_e32 v57, v57, v37, vcc
	v_cndmask_b32_e64 v90, v90, v34, s[4:5]
	v_cmp_eq_u32_e64 s[2:3], 5, v88
	v_cndmask_b32_e64 v57, v57, v39, s[2:3]
	v_cndmask_b32_e32 v90, v90, v36, vcc
	v_cmp_eq_u32_e32 vcc, 6, v88
	v_cndmask_b32_e32 v57, v57, v41, vcc
	v_cndmask_b32_e64 v90, v90, v38, s[2:3]
	v_cmp_eq_u32_e64 s[2:3], 7, v88
	v_cndmask_b32_e64 v57, v57, v43, s[2:3]
	v_cndmask_b32_e32 v90, v90, v40, vcc
	v_cmp_eq_u32_e32 vcc, 8, v88
	v_cndmask_b32_e32 v57, v57, v45, vcc
	v_cndmask_b32_e64 v90, v90, v42, s[2:3]
	v_cmp_eq_u32_e64 s[2:3], 9, v88
	ds_read_b64 v[58:59], v56
	v_cndmask_b32_e64 v57, v57, v47, s[2:3]
	v_cndmask_b32_e32 v90, v90, v44, vcc
	v_cmp_eq_u32_e32 vcc, 10, v88
	v_cndmask_b32_e32 v57, v57, v49, vcc
	v_cndmask_b32_e64 v90, v90, v46, s[2:3]
	v_cmp_eq_u32_e64 s[2:3], 11, v88
	v_cndmask_b32_e64 v57, v57, v51, s[2:3]
	v_cmp_eq_u32_e64 s[4:5], 12, v88
	v_cndmask_b32_e32 v90, v90, v48, vcc
	v_cndmask_b32_e64 v91, v57, v53, s[4:5]
	v_cndmask_b32_e64 v57, v90, v50, s[2:3]
	v_add_co_u32_e32 v88, vcc, 1, v88
	v_cndmask_b32_e64 v90, v57, v52, s[4:5]
	v_add_u32_e32 v56, 8, v56
	v_addc_co_u32_e32 v55, vcc, 0, v55, vcc
	s_waitcnt lgkmcnt(0)
	v_fmac_f64_e32 v[86:87], v[90:91], v[58:59]
	s_andn2_b64 exec, exec, s[10:11]
	s_cbranch_execnz .LBB12_141
; %bb.142:
	s_or_b64 exec, exec, s[10:11]
.LBB12_143:
	s_or_b64 exec, exec, s[8:9]
.LBB12_144:
	s_or_b64 exec, exec, s[6:7]
	v_mov_b32_e32 v32, 0
	ds_read_b64 v[32:33], v32 offset:16
	s_waitcnt lgkmcnt(0)
	v_mul_f64 v[32:33], v[86:87], v[32:33]
.LBB12_145:
	s_or_b64 exec, exec, s[28:29]
	v_cmp_lt_u32_e64 s[2:3], 1, v0
	ds_write_b64 v89, v[30:31]
	s_waitcnt lgkmcnt(0)
	; wave barrier
	s_waitcnt lgkmcnt(0)
	s_and_saveexec_b64 s[28:29], s[2:3]
	s_cbranch_execz .LBB12_161
; %bb.146:
	s_andn2_b64 vcc, exec, s[26:27]
	s_cbranch_vccnz .LBB12_148
; %bb.147:
	v_cmp_eq_u32_e32 vcc, 1, v0
	v_cndmask_b32_e32 v86, v29, v31, vcc
	v_cmp_eq_u32_e64 s[4:5], 2, v0
	v_cndmask_b32_e64 v86, v86, v33, s[4:5]
	v_cmp_eq_u32_e64 s[6:7], 3, v0
	v_cndmask_b32_e64 v86, v86, v35, s[6:7]
	;; [unrolled: 2-line block ×11, first 2 shown]
	v_cndmask_b32_e32 v86, v28, v30, vcc
	v_cndmask_b32_e64 v86, v86, v32, s[4:5]
	v_cndmask_b32_e64 v86, v86, v34, s[6:7]
	;; [unrolled: 1-line block ×7, first 2 shown]
	ds_read_b64 v[90:91], v89
	v_cndmask_b32_e64 v86, v86, v46, s[18:19]
	v_cndmask_b32_e64 v86, v86, v48, s[20:21]
	;; [unrolled: 1-line block ×4, first 2 shown]
	s_waitcnt lgkmcnt(0)
	v_mul_f64 v[86:87], v[86:87], v[90:91]
	s_cbranch_execz .LBB12_149
	s_branch .LBB12_150
.LBB12_148:
                                        ; implicit-def: $vgpr86_vgpr87
.LBB12_149:
	ds_read_b64 v[86:87], v89
.LBB12_150:
	s_and_saveexec_b64 s[6:7], s[0:1]
	s_cbranch_execz .LBB12_160
; %bb.151:
	v_add_u32_e32 v88, -3, v0
	v_add_u32_e32 v91, -2, v0
	v_cmp_lt_u32_e32 vcc, 6, v88
	v_mov_b32_e32 v88, 2
	s_and_saveexec_b64 s[0:1], vcc
	s_cbranch_execz .LBB12_155
; %bb.152:
	v_and_b32_e32 v88, -8, v91
	v_sub_u32_e32 v90, 0, v88
	s_mov_b64 s[4:5], 9
	s_movk_i32 s10, 0x80
	s_mov_b64 s[8:9], 0
.LBB12_153:                             ; =>This Inner Loop Header: Depth=1
	s_lshl_b32 s11, s4, 1
	s_add_i32 s12, s11, -13
	s_add_i32 s13, s11, -14
	s_set_gpr_idx_on s12, gpr_idx(SRC0)
	v_mov_b32_e32 v109, v28
	s_set_gpr_idx_off
	v_mov_b32_e32 v88, s10
	s_add_i32 s14, s11, -11
	s_set_gpr_idx_on s13, gpr_idx(SRC0)
	v_mov_b32_e32 v108, v28
	s_set_gpr_idx_off
	s_add_i32 s15, s11, -12
	ds_read_b128 v[92:95], v88
	ds_read_b128 v[96:99], v88 offset:16
	ds_read_b128 v[100:103], v88 offset:32
	;; [unrolled: 1-line block ×3, first 2 shown]
	s_set_gpr_idx_on s14, gpr_idx(SRC0)
	v_mov_b32_e32 v111, v28
	s_set_gpr_idx_off
	s_add_i32 s16, s11, -9
	s_set_gpr_idx_on s15, gpr_idx(SRC0)
	v_mov_b32_e32 v110, v28
	s_set_gpr_idx_off
	s_add_i32 s17, s11, -10
	;; [unrolled: 4-line block ×4, first 2 shown]
	s_waitcnt lgkmcnt(3)
	v_fmac_f64_e32 v[86:87], v[108:109], v[92:93]
	s_set_gpr_idx_on s18, gpr_idx(SRC0)
	v_mov_b32_e32 v93, v28
	s_set_gpr_idx_off
	s_add_i32 s20, s11, -5
	v_fmac_f64_e32 v[86:87], v[110:111], v[94:95]
	s_set_gpr_idx_on s19, gpr_idx(SRC0)
	v_mov_b32_e32 v92, v28
	s_set_gpr_idx_off
	s_add_i32 s21, s11, -6
	s_waitcnt lgkmcnt(2)
	v_fmac_f64_e32 v[86:87], v[112:113], v[96:97]
	s_set_gpr_idx_on s20, gpr_idx(SRC0)
	v_mov_b32_e32 v95, v28
	s_set_gpr_idx_off
	s_add_i32 s22, s11, -3
	v_fmac_f64_e32 v[86:87], v[92:93], v[98:99]
	s_set_gpr_idx_on s21, gpr_idx(SRC0)
	v_mov_b32_e32 v94, v28
	s_set_gpr_idx_off
	s_add_i32 s23, s11, -4
	s_waitcnt lgkmcnt(1)
	v_fmac_f64_e32 v[86:87], v[94:95], v[100:101]
	s_set_gpr_idx_on s22, gpr_idx(SRC0)
	v_mov_b32_e32 v93, v28
	s_set_gpr_idx_off
	s_add_i32 s24, s11, -1
	s_set_gpr_idx_on s23, gpr_idx(SRC0)
	v_mov_b32_e32 v92, v28
	s_set_gpr_idx_off
	s_add_i32 s25, s11, -2
	v_fmac_f64_e32 v[86:87], v[92:93], v[102:103]
	s_set_gpr_idx_on s24, gpr_idx(SRC0)
	v_mov_b32_e32 v93, v28
	s_set_gpr_idx_off
	s_add_u32 s4, s4, 8
	s_set_gpr_idx_on s25, gpr_idx(SRC0)
	v_mov_b32_e32 v92, v28
	s_set_gpr_idx_off
	v_add_u32_e32 v88, s4, v90
	s_waitcnt lgkmcnt(0)
	v_fmac_f64_e32 v[86:87], v[92:93], v[104:105]
	s_set_gpr_idx_on s11, gpr_idx(SRC0)
	v_mov_b32_e32 v93, v29
	s_set_gpr_idx_off
	s_addc_u32 s5, s5, 0
	s_add_i32 s10, s10, 64
	s_add_i32 s12, s4, -7
	v_cmp_eq_u32_e32 vcc, 9, v88
	s_set_gpr_idx_on s11, gpr_idx(SRC0)
	v_mov_b32_e32 v92, v28
	s_set_gpr_idx_off
	v_mov_b32_e32 v88, s12
	s_or_b64 s[8:9], vcc, s[8:9]
	v_fmac_f64_e32 v[86:87], v[92:93], v[106:107]
	s_andn2_b64 exec, exec, s[8:9]
	s_cbranch_execnz .LBB12_153
; %bb.154:
	s_or_b64 exec, exec, s[8:9]
.LBB12_155:
	s_or_b64 exec, exec, s[0:1]
	v_and_b32_e32 v54, 7, v91
	v_cmp_ne_u32_e32 vcc, 0, v54
	s_and_saveexec_b64 s[8:9], vcc
	s_cbranch_execz .LBB12_159
; %bb.156:
	v_mov_b32_e32 v55, 0x70
	v_lshl_add_u32 v56, v88, 3, v55
	v_mov_b32_e32 v55, 0
	s_mov_b64 s[10:11], 0
.LBB12_157:                             ; =>This Inner Loop Header: Depth=1
	v_cmp_eq_u32_e32 vcc, 1, v88
	v_cndmask_b32_e32 v57, v29, v31, vcc
	v_add_u32_e32 v54, -1, v54
	v_cmp_eq_u32_e64 s[0:1], 2, v88
	v_cndmask_b32_e64 v57, v57, v33, s[0:1]
	v_cndmask_b32_e32 v90, v28, v30, vcc
	v_cmp_eq_u32_e32 vcc, 0, v54
	v_cmp_eq_u32_e64 s[4:5], 3, v88
	v_cndmask_b32_e64 v57, v57, v35, s[4:5]
	v_cndmask_b32_e64 v90, v90, v32, s[0:1]
	s_or_b64 s[10:11], vcc, s[10:11]
	v_cmp_eq_u32_e32 vcc, 4, v88
	v_cndmask_b32_e32 v57, v57, v37, vcc
	v_cndmask_b32_e64 v90, v90, v34, s[4:5]
	v_cmp_eq_u32_e64 s[0:1], 5, v88
	v_cndmask_b32_e64 v57, v57, v39, s[0:1]
	v_cndmask_b32_e32 v90, v90, v36, vcc
	v_cmp_eq_u32_e32 vcc, 6, v88
	v_cndmask_b32_e32 v57, v57, v41, vcc
	v_cndmask_b32_e64 v90, v90, v38, s[0:1]
	v_cmp_eq_u32_e64 s[0:1], 7, v88
	v_cndmask_b32_e64 v57, v57, v43, s[0:1]
	v_cndmask_b32_e32 v90, v90, v40, vcc
	v_cmp_eq_u32_e32 vcc, 8, v88
	v_cndmask_b32_e32 v57, v57, v45, vcc
	v_cndmask_b32_e64 v90, v90, v42, s[0:1]
	v_cmp_eq_u32_e64 s[0:1], 9, v88
	ds_read_b64 v[58:59], v56
	v_cndmask_b32_e64 v57, v57, v47, s[0:1]
	v_cndmask_b32_e32 v90, v90, v44, vcc
	v_cmp_eq_u32_e32 vcc, 10, v88
	v_cndmask_b32_e32 v57, v57, v49, vcc
	v_cndmask_b32_e64 v90, v90, v46, s[0:1]
	v_cmp_eq_u32_e64 s[0:1], 11, v88
	v_cndmask_b32_e64 v57, v57, v51, s[0:1]
	v_cmp_eq_u32_e64 s[4:5], 12, v88
	v_cndmask_b32_e32 v90, v90, v48, vcc
	v_cndmask_b32_e64 v91, v57, v53, s[4:5]
	v_cndmask_b32_e64 v57, v90, v50, s[0:1]
	v_add_co_u32_e32 v88, vcc, 1, v88
	v_cndmask_b32_e64 v90, v57, v52, s[4:5]
	v_add_u32_e32 v56, 8, v56
	v_addc_co_u32_e32 v55, vcc, 0, v55, vcc
	s_waitcnt lgkmcnt(0)
	v_fmac_f64_e32 v[86:87], v[90:91], v[58:59]
	s_andn2_b64 exec, exec, s[10:11]
	s_cbranch_execnz .LBB12_157
; %bb.158:
	s_or_b64 exec, exec, s[10:11]
.LBB12_159:
	s_or_b64 exec, exec, s[8:9]
.LBB12_160:
	s_or_b64 exec, exec, s[6:7]
	v_mov_b32_e32 v30, 0
	ds_read_b64 v[30:31], v30 offset:8
	s_waitcnt lgkmcnt(0)
	v_mul_f64 v[30:31], v[86:87], v[30:31]
.LBB12_161:
	s_or_b64 exec, exec, s[28:29]
	v_cmp_ne_u32_e32 vcc, 0, v0
	ds_write_b64 v89, v[28:29]
	s_waitcnt lgkmcnt(0)
	; wave barrier
	s_waitcnt lgkmcnt(0)
	s_and_saveexec_b64 s[24:25], vcc
	s_cbranch_execz .LBB12_177
; %bb.162:
	s_andn2_b64 vcc, exec, s[26:27]
	s_cbranch_vccnz .LBB12_164
; %bb.163:
	v_cmp_eq_u32_e32 vcc, 1, v0
	v_cndmask_b32_e32 v86, v29, v31, vcc
	v_cmp_eq_u32_e64 s[0:1], 2, v0
	v_cndmask_b32_e64 v86, v86, v33, s[0:1]
	v_cmp_eq_u32_e64 s[4:5], 3, v0
	v_cndmask_b32_e64 v86, v86, v35, s[4:5]
	;; [unrolled: 2-line block ×11, first 2 shown]
	v_cndmask_b32_e32 v86, v28, v30, vcc
	v_cndmask_b32_e64 v86, v86, v32, s[0:1]
	v_cndmask_b32_e64 v86, v86, v34, s[4:5]
	;; [unrolled: 1-line block ×7, first 2 shown]
	ds_read_b64 v[90:91], v89
	v_cndmask_b32_e64 v86, v86, v46, s[16:17]
	v_cndmask_b32_e64 v86, v86, v48, s[18:19]
	v_cndmask_b32_e64 v86, v86, v50, s[20:21]
	v_cndmask_b32_e64 v86, v86, v52, s[22:23]
	s_waitcnt lgkmcnt(0)
	v_mul_f64 v[86:87], v[86:87], v[90:91]
	s_cbranch_execz .LBB12_165
	s_branch .LBB12_166
.LBB12_164:
                                        ; implicit-def: $vgpr86_vgpr87
.LBB12_165:
	ds_read_b64 v[86:87], v89
.LBB12_166:
	s_and_saveexec_b64 s[4:5], s[2:3]
	s_cbranch_execz .LBB12_176
; %bb.167:
	v_add_u32_e32 v88, -2, v0
	v_add_u32_e32 v91, -1, v0
	v_cmp_lt_u32_e32 vcc, 6, v88
	v_mov_b32_e32 v88, 1
	s_and_saveexec_b64 s[0:1], vcc
	s_cbranch_execz .LBB12_171
; %bb.168:
	v_and_b32_e32 v88, -8, v91
	v_sub_u32_e32 v90, 0, v88
	s_mov_b64 s[2:3], 8
	s_movk_i32 s8, 0x78
	s_mov_b64 s[6:7], 0
.LBB12_169:                             ; =>This Inner Loop Header: Depth=1
	s_lshl_b32 s9, s2, 1
	s_add_i32 s10, s9, -13
	v_mov_b32_e32 v106, s8
	s_add_i32 s11, s9, -14
	s_set_gpr_idx_on s10, gpr_idx(SRC0)
	v_mov_b32_e32 v101, v28
	s_set_gpr_idx_off
	s_add_i32 s12, s9, -11
	s_set_gpr_idx_on s11, gpr_idx(SRC0)
	v_mov_b32_e32 v100, v28
	s_set_gpr_idx_off
	ds_read2_b64 v[92:95], v106 offset1:1
	s_add_i32 s13, s9, -12
	s_set_gpr_idx_on s12, gpr_idx(SRC0)
	v_mov_b32_e32 v103, v28
	s_set_gpr_idx_off
	s_add_i32 s14, s9, -9
	s_set_gpr_idx_on s13, gpr_idx(SRC0)
	v_mov_b32_e32 v102, v28
	s_set_gpr_idx_off
	;; [unrolled: 4-line block ×4, first 2 shown]
	ds_read2_b64 v[96:99], v106 offset0:2 offset1:3
	s_add_i32 s17, s9, -8
	s_waitcnt lgkmcnt(1)
	v_fmac_f64_e32 v[86:87], v[100:101], v[92:93]
	s_set_gpr_idx_on s16, gpr_idx(SRC0)
	v_mov_b32_e32 v101, v28
	s_set_gpr_idx_off
	s_add_i32 s18, s9, -5
	v_fmac_f64_e32 v[86:87], v[102:103], v[94:95]
	s_set_gpr_idx_on s17, gpr_idx(SRC0)
	v_mov_b32_e32 v100, v28
	s_set_gpr_idx_off
	s_add_i32 s19, s9, -6
	s_set_gpr_idx_on s18, gpr_idx(SRC0)
	v_mov_b32_e32 v103, v28
	s_set_gpr_idx_off
	s_add_i32 s20, s9, -3
	;; [unrolled: 4-line block ×3, first 2 shown]
	ds_read2_b64 v[92:95], v106 offset0:4 offset1:5
	s_waitcnt lgkmcnt(1)
	v_fmac_f64_e32 v[86:87], v[104:105], v[96:97]
	s_set_gpr_idx_on s20, gpr_idx(SRC0)
	v_mov_b32_e32 v105, v28
	s_set_gpr_idx_off
	s_add_i32 s22, s9, -1
	v_fmac_f64_e32 v[86:87], v[100:101], v[98:99]
	s_set_gpr_idx_on s21, gpr_idx(SRC0)
	v_mov_b32_e32 v104, v28
	s_set_gpr_idx_off
	s_add_i32 s23, s9, -2
	s_set_gpr_idx_on s22, gpr_idx(SRC0)
	v_mov_b32_e32 v101, v28
	s_set_gpr_idx_off
	s_set_gpr_idx_on s23, gpr_idx(SRC0)
	v_mov_b32_e32 v100, v28
	s_set_gpr_idx_off
	ds_read2_b64 v[96:99], v106 offset0:6 offset1:7
	s_add_u32 s2, s2, 8
	s_waitcnt lgkmcnt(1)
	v_fmac_f64_e32 v[86:87], v[102:103], v[92:93]
	s_set_gpr_idx_on s9, gpr_idx(SRC0)
	v_mov_b32_e32 v93, v29
	s_set_gpr_idx_off
	v_add_u32_e32 v88, s2, v90
	v_fmac_f64_e32 v[86:87], v[104:105], v[94:95]
	s_set_gpr_idx_on s9, gpr_idx(SRC0)
	v_mov_b32_e32 v92, v28
	s_set_gpr_idx_off
	s_addc_u32 s3, s3, 0
	s_add_i32 s8, s8, 64
	s_add_i32 s10, s2, -7
	v_cmp_eq_u32_e32 vcc, 8, v88
	s_waitcnt lgkmcnt(0)
	v_fmac_f64_e32 v[86:87], v[100:101], v[96:97]
	v_mov_b32_e32 v88, s10
	s_or_b64 s[6:7], vcc, s[6:7]
	v_fmac_f64_e32 v[86:87], v[92:93], v[98:99]
	s_andn2_b64 exec, exec, s[6:7]
	s_cbranch_execnz .LBB12_169
; %bb.170:
	s_or_b64 exec, exec, s[6:7]
.LBB12_171:
	s_or_b64 exec, exec, s[0:1]
	v_and_b32_e32 v54, 7, v91
	v_cmp_ne_u32_e32 vcc, 0, v54
	s_and_saveexec_b64 s[6:7], vcc
	s_cbranch_execz .LBB12_175
; %bb.172:
	v_mov_b32_e32 v55, 0x70
	v_lshl_add_u32 v56, v88, 3, v55
	v_mov_b32_e32 v55, 0
	s_mov_b64 s[8:9], 0
.LBB12_173:                             ; =>This Inner Loop Header: Depth=1
	v_cmp_eq_u32_e32 vcc, 1, v88
	v_cndmask_b32_e32 v57, v29, v31, vcc
	v_add_u32_e32 v54, -1, v54
	v_cmp_eq_u32_e64 s[0:1], 2, v88
	v_cndmask_b32_e64 v57, v57, v33, s[0:1]
	v_cndmask_b32_e32 v90, v28, v30, vcc
	v_cmp_eq_u32_e32 vcc, 0, v54
	v_cmp_eq_u32_e64 s[2:3], 3, v88
	v_cndmask_b32_e64 v57, v57, v35, s[2:3]
	v_cndmask_b32_e64 v90, v90, v32, s[0:1]
	s_or_b64 s[8:9], vcc, s[8:9]
	v_cmp_eq_u32_e32 vcc, 4, v88
	v_cndmask_b32_e32 v57, v57, v37, vcc
	v_cndmask_b32_e64 v90, v90, v34, s[2:3]
	v_cmp_eq_u32_e64 s[0:1], 5, v88
	v_cndmask_b32_e64 v57, v57, v39, s[0:1]
	v_cndmask_b32_e32 v90, v90, v36, vcc
	v_cmp_eq_u32_e32 vcc, 6, v88
	v_cndmask_b32_e32 v57, v57, v41, vcc
	v_cndmask_b32_e64 v90, v90, v38, s[0:1]
	v_cmp_eq_u32_e64 s[0:1], 7, v88
	v_cndmask_b32_e64 v57, v57, v43, s[0:1]
	v_cndmask_b32_e32 v90, v90, v40, vcc
	v_cmp_eq_u32_e32 vcc, 8, v88
	v_cndmask_b32_e32 v57, v57, v45, vcc
	v_cndmask_b32_e64 v90, v90, v42, s[0:1]
	v_cmp_eq_u32_e64 s[0:1], 9, v88
	ds_read_b64 v[58:59], v56
	v_cndmask_b32_e64 v57, v57, v47, s[0:1]
	v_cndmask_b32_e32 v90, v90, v44, vcc
	v_cmp_eq_u32_e32 vcc, 10, v88
	v_cndmask_b32_e32 v57, v57, v49, vcc
	v_cndmask_b32_e64 v90, v90, v46, s[0:1]
	v_cmp_eq_u32_e64 s[0:1], 11, v88
	v_cndmask_b32_e64 v57, v57, v51, s[0:1]
	v_cmp_eq_u32_e64 s[2:3], 12, v88
	v_cndmask_b32_e32 v90, v90, v48, vcc
	v_cndmask_b32_e64 v91, v57, v53, s[2:3]
	v_cndmask_b32_e64 v57, v90, v50, s[0:1]
	v_add_co_u32_e32 v88, vcc, 1, v88
	v_cndmask_b32_e64 v90, v57, v52, s[2:3]
	v_add_u32_e32 v56, 8, v56
	v_addc_co_u32_e32 v55, vcc, 0, v55, vcc
	s_waitcnt lgkmcnt(0)
	v_fmac_f64_e32 v[86:87], v[90:91], v[58:59]
	s_andn2_b64 exec, exec, s[8:9]
	s_cbranch_execnz .LBB12_173
; %bb.174:
	s_or_b64 exec, exec, s[8:9]
.LBB12_175:
	s_or_b64 exec, exec, s[6:7]
.LBB12_176:
	s_or_b64 exec, exec, s[4:5]
	v_mov_b32_e32 v28, 0
	ds_read_b64 v[28:29], v28
	s_waitcnt lgkmcnt(0)
	v_mul_f64 v[28:29], v[86:87], v[28:29]
.LBB12_177:
	s_or_b64 exec, exec, s[24:25]
	s_branch .LBB12_303
.LBB12_178:
	v_cmp_eq_u32_e64 s[2:3], 0, v0
	s_waitcnt vmcnt(11)
	ds_write_b64 v89, v[4:5]
	s_waitcnt lgkmcnt(0)
	; wave barrier
	s_waitcnt lgkmcnt(0)
	s_and_saveexec_b64 s[24:25], s[2:3]
	s_cbranch_execz .LBB12_184
; %bb.179:
	s_and_b64 vcc, exec, s[26:27]
	s_cbranch_vccz .LBB12_181
; %bb.180:
	v_cmp_eq_u32_e32 vcc, 1, v0
	v_cndmask_b32_e32 v5, v3, v5, vcc
	v_cmp_eq_u32_e64 s[0:1], 2, v0
	v_cndmask_b32_e32 v4, v2, v4, vcc
	s_waitcnt vmcnt(10)
	v_cndmask_b32_e64 v5, v5, v7, s[0:1]
	v_cmp_eq_u32_e64 s[4:5], 3, v0
	v_cndmask_b32_e64 v4, v4, v6, s[0:1]
	s_waitcnt vmcnt(9)
	v_cndmask_b32_e64 v5, v5, v9, s[4:5]
	v_cmp_eq_u32_e64 s[6:7], 4, v0
	v_cndmask_b32_e64 v4, v4, v8, s[4:5]
	;; [unrolled: 4-line block ×7, first 2 shown]
	ds_read_b64 v[28:29], v89
	s_waitcnt vmcnt(3)
	v_cndmask_b32_e64 v5, v5, v21, s[16:17]
	v_cmp_eq_u32_e64 s[18:19], 10, v0
	v_cndmask_b32_e64 v4, v4, v20, s[16:17]
	s_waitcnt vmcnt(2)
	v_cndmask_b32_e64 v5, v5, v23, s[18:19]
	v_cmp_eq_u32_e64 s[20:21], 11, v0
	v_cndmask_b32_e64 v4, v4, v22, s[18:19]
	s_waitcnt vmcnt(1)
	v_cndmask_b32_e64 v5, v5, v25, s[20:21]
	v_cmp_eq_u32_e64 s[22:23], 12, v0
	v_cndmask_b32_e64 v4, v4, v24, s[20:21]
	s_waitcnt vmcnt(0)
	v_cndmask_b32_e64 v5, v5, v27, s[22:23]
	v_cndmask_b32_e64 v4, v4, v26, s[22:23]
	s_waitcnt lgkmcnt(0)
	v_mul_f64 v[4:5], v[4:5], v[28:29]
	s_cbranch_execz .LBB12_182
	s_branch .LBB12_183
.LBB12_181:
                                        ; implicit-def: $vgpr4_vgpr5
.LBB12_182:
	ds_read_b64 v[4:5], v89
.LBB12_183:
	v_mov_b32_e32 v28, 0
	ds_read_b64 v[28:29], v28 offset:8
	s_waitcnt lgkmcnt(0)
	v_mul_f64 v[4:5], v[4:5], v[28:29]
.LBB12_184:
	s_or_b64 exec, exec, s[24:25]
	v_cndmask_b32_e64 v28, 0, 1, s[26:27]
	v_add_u32_e32 v32, 1, v0
	v_cmp_gt_u32_e32 vcc, 2, v0
	v_cmp_ne_u32_e64 s[0:1], 1, v28
	s_waitcnt vmcnt(10)
	ds_write_b64 v89, v[6:7]
	s_waitcnt lgkmcnt(0)
	; wave barrier
	s_waitcnt lgkmcnt(0)
	s_and_saveexec_b64 s[26:27], vcc
	s_cbranch_execz .LBB12_192
; %bb.185:
	s_and_b64 vcc, exec, s[0:1]
	s_cbranch_vccnz .LBB12_187
; %bb.186:
	v_cmp_eq_u32_e32 vcc, 1, v0
	v_cndmask_b32_e32 v28, v3, v5, vcc
	v_cmp_eq_u32_e64 s[4:5], 2, v0
	v_cndmask_b32_e64 v28, v28, v7, s[4:5]
	v_cmp_eq_u32_e64 s[6:7], 3, v0
	s_waitcnt vmcnt(9)
	v_cndmask_b32_e64 v28, v28, v9, s[6:7]
	v_cmp_eq_u32_e64 s[8:9], 4, v0
	s_waitcnt vmcnt(8)
	;; [unrolled: 3-line block ×10, first 2 shown]
	v_cndmask_b32_e64 v29, v28, v27, s[24:25]
	v_cndmask_b32_e32 v28, v2, v4, vcc
	v_cndmask_b32_e64 v28, v28, v6, s[4:5]
	v_cndmask_b32_e64 v28, v28, v8, s[6:7]
	;; [unrolled: 1-line block ×7, first 2 shown]
	ds_read_b64 v[30:31], v89
	v_cndmask_b32_e64 v28, v28, v20, s[18:19]
	v_cndmask_b32_e64 v28, v28, v22, s[20:21]
	;; [unrolled: 1-line block ×4, first 2 shown]
	s_waitcnt lgkmcnt(0)
	v_mul_f64 v[28:29], v[28:29], v[30:31]
	s_cbranch_execz .LBB12_188
	s_branch .LBB12_189
.LBB12_187:
                                        ; implicit-def: $vgpr28_vgpr29
.LBB12_188:
	ds_read_b64 v[28:29], v89
.LBB12_189:
	s_and_saveexec_b64 s[28:29], s[2:3]
	s_cbranch_execz .LBB12_191
; %bb.190:
	v_cmp_eq_u32_e32 vcc, 1, v32
	v_cndmask_b32_e32 v30, v3, v5, vcc
	v_cmp_eq_u32_e64 s[4:5], 2, v32
	v_cndmask_b32_e64 v7, v30, v7, s[4:5]
	v_cndmask_b32_e32 v30, v2, v4, vcc
	v_cmp_eq_u32_e64 s[6:7], 3, v32
	v_cndmask_b32_e64 v6, v30, v6, s[4:5]
	s_waitcnt vmcnt(9)
	v_cndmask_b32_e64 v7, v7, v9, s[6:7]
	v_cmp_eq_u32_e64 s[8:9], 4, v32
	v_cndmask_b32_e64 v6, v6, v8, s[6:7]
	s_waitcnt vmcnt(8)
	v_cndmask_b32_e64 v7, v7, v11, s[8:9]
	;; [unrolled: 4-line block ×6, first 2 shown]
	v_cmp_eq_u32_e64 s[18:19], 9, v32
	v_cndmask_b32_e64 v6, v6, v18, s[16:17]
	ds_read_b64 v[30:31], v89 offset:8
	s_waitcnt vmcnt(3)
	v_cndmask_b32_e64 v7, v7, v21, s[18:19]
	v_cmp_eq_u32_e64 s[20:21], 10, v32
	v_cndmask_b32_e64 v6, v6, v20, s[18:19]
	s_waitcnt vmcnt(2)
	v_cndmask_b32_e64 v7, v7, v23, s[20:21]
	v_cmp_eq_u32_e64 s[22:23], 11, v32
	v_cndmask_b32_e64 v6, v6, v22, s[20:21]
	;; [unrolled: 4-line block ×3, first 2 shown]
	s_waitcnt vmcnt(0)
	v_cndmask_b32_e64 v7, v7, v27, s[24:25]
	v_cndmask_b32_e64 v6, v6, v26, s[24:25]
	s_waitcnt lgkmcnt(0)
	v_fmac_f64_e32 v[28:29], v[6:7], v[30:31]
.LBB12_191:
	s_or_b64 exec, exec, s[28:29]
	v_mov_b32_e32 v6, 0
	ds_read_b64 v[6:7], v6 offset:16
	s_waitcnt lgkmcnt(0)
	v_mul_f64 v[6:7], v[28:29], v[6:7]
.LBB12_192:
	s_or_b64 exec, exec, s[26:27]
	v_cmp_gt_u32_e64 s[4:5], 3, v0
	s_waitcnt vmcnt(9)
	ds_write_b64 v89, v[8:9]
	s_waitcnt lgkmcnt(0)
	; wave barrier
	s_waitcnt lgkmcnt(0)
	s_and_saveexec_b64 s[28:29], s[4:5]
	s_cbranch_execz .LBB12_200
; %bb.193:
	s_and_b64 vcc, exec, s[0:1]
	s_cbranch_vccnz .LBB12_195
; %bb.194:
	v_cmp_eq_u32_e32 vcc, 1, v0
	v_cndmask_b32_e32 v28, v3, v5, vcc
	v_cmp_eq_u32_e64 s[6:7], 2, v0
	v_cndmask_b32_e64 v28, v28, v7, s[6:7]
	v_cmp_eq_u32_e64 s[8:9], 3, v0
	v_cndmask_b32_e64 v28, v28, v9, s[8:9]
	v_cmp_eq_u32_e64 s[10:11], 4, v0
	s_waitcnt vmcnt(8)
	v_cndmask_b32_e64 v28, v28, v11, s[10:11]
	v_cmp_eq_u32_e64 s[12:13], 5, v0
	s_waitcnt vmcnt(7)
	;; [unrolled: 3-line block ×9, first 2 shown]
	v_cndmask_b32_e64 v29, v28, v27, s[26:27]
	v_cndmask_b32_e32 v28, v2, v4, vcc
	v_cndmask_b32_e64 v28, v28, v6, s[6:7]
	v_cndmask_b32_e64 v28, v28, v8, s[8:9]
	;; [unrolled: 1-line block ×7, first 2 shown]
	ds_read_b64 v[30:31], v89
	v_cndmask_b32_e64 v28, v28, v20, s[20:21]
	v_cndmask_b32_e64 v28, v28, v22, s[22:23]
	;; [unrolled: 1-line block ×4, first 2 shown]
	s_waitcnt lgkmcnt(0)
	v_mul_f64 v[28:29], v[28:29], v[30:31]
	s_cbranch_execz .LBB12_196
	s_branch .LBB12_197
.LBB12_195:
                                        ; implicit-def: $vgpr28_vgpr29
.LBB12_196:
	ds_read_b64 v[28:29], v89
.LBB12_197:
	v_cmp_ne_u32_e32 vcc, 2, v0
	s_and_saveexec_b64 s[30:31], vcc
	s_cbranch_execz .LBB12_199
; %bb.198:
	v_cmp_eq_u32_e32 vcc, 1, v32
	v_cndmask_b32_e32 v30, v3, v5, vcc
	v_cmp_eq_u32_e64 s[6:7], 2, v32
	v_cndmask_b32_e64 v30, v30, v7, s[6:7]
	v_cmp_eq_u32_e64 s[8:9], 3, v32
	v_cndmask_b32_e64 v9, v30, v9, s[8:9]
	v_cndmask_b32_e32 v30, v2, v4, vcc
	v_cndmask_b32_e64 v30, v30, v6, s[6:7]
	v_cmp_eq_u32_e64 s[10:11], 4, v32
	v_cndmask_b32_e64 v8, v30, v8, s[8:9]
	s_waitcnt vmcnt(8)
	v_cndmask_b32_e64 v9, v9, v11, s[10:11]
	v_cmp_eq_u32_e64 s[12:13], 5, v32
	v_cndmask_b32_e64 v8, v8, v10, s[10:11]
	s_waitcnt vmcnt(7)
	;; [unrolled: 4-line block ×6, first 2 shown]
	v_cndmask_b32_e64 v9, v9, v21, s[20:21]
	v_cmp_eq_u32_e64 s[22:23], 10, v32
	v_cndmask_b32_e64 v8, v8, v20, s[20:21]
	v_mov_b32_e32 v33, 0
	ds_read_b64 v[30:31], v89 offset:8
	ds_read_b64 v[34:35], v33 offset:128
	s_waitcnt vmcnt(2)
	v_cndmask_b32_e64 v9, v9, v23, s[22:23]
	v_cmp_eq_u32_e64 s[24:25], 11, v32
	v_cndmask_b32_e64 v8, v8, v22, s[22:23]
	s_waitcnt vmcnt(1)
	v_cndmask_b32_e64 v9, v9, v25, s[24:25]
	v_cmp_eq_u32_e64 s[26:27], 12, v32
	v_cndmask_b32_e64 v8, v8, v24, s[24:25]
	s_waitcnt vmcnt(0)
	v_cndmask_b32_e64 v9, v9, v27, s[26:27]
	v_cndmask_b32_e64 v8, v8, v26, s[26:27]
	s_waitcnt lgkmcnt(1)
	v_fmac_f64_e32 v[28:29], v[8:9], v[30:31]
	s_waitcnt lgkmcnt(0)
	v_fma_f64 v[8:9], v[6:7], v[34:35], v[28:29]
	v_cndmask_b32_e64 v29, v29, v9, s[2:3]
	v_cndmask_b32_e64 v28, v28, v8, s[2:3]
.LBB12_199:
	s_or_b64 exec, exec, s[30:31]
	v_mov_b32_e32 v8, 0
	ds_read_b64 v[8:9], v8 offset:24
	s_waitcnt lgkmcnt(0)
	v_mul_f64 v[8:9], v[28:29], v[8:9]
.LBB12_200:
	s_or_b64 exec, exec, s[28:29]
	v_cmp_gt_u32_e32 vcc, 4, v0
	s_waitcnt vmcnt(8)
	ds_write_b64 v89, v[10:11]
	s_waitcnt lgkmcnt(0)
	; wave barrier
	s_waitcnt lgkmcnt(0)
	s_and_saveexec_b64 s[28:29], vcc
	s_cbranch_execz .LBB12_210
; %bb.201:
	s_and_b64 vcc, exec, s[0:1]
	s_cbranch_vccnz .LBB12_203
; %bb.202:
	v_cmp_eq_u32_e32 vcc, 1, v0
	v_cndmask_b32_e32 v28, v3, v5, vcc
	v_cmp_eq_u32_e64 s[6:7], 2, v0
	v_cndmask_b32_e64 v28, v28, v7, s[6:7]
	v_cmp_eq_u32_e64 s[8:9], 3, v0
	v_cndmask_b32_e64 v28, v28, v9, s[8:9]
	;; [unrolled: 2-line block ×3, first 2 shown]
	v_cmp_eq_u32_e64 s[12:13], 5, v0
	s_waitcnt vmcnt(7)
	v_cndmask_b32_e64 v28, v28, v13, s[12:13]
	v_cmp_eq_u32_e64 s[14:15], 6, v0
	s_waitcnt vmcnt(6)
	v_cndmask_b32_e64 v28, v28, v15, s[14:15]
	;; [unrolled: 3-line block ×8, first 2 shown]
	v_cndmask_b32_e32 v28, v2, v4, vcc
	v_cndmask_b32_e64 v28, v28, v6, s[6:7]
	v_cndmask_b32_e64 v28, v28, v8, s[8:9]
	;; [unrolled: 1-line block ×7, first 2 shown]
	ds_read_b64 v[30:31], v89
	v_cndmask_b32_e64 v28, v28, v20, s[20:21]
	v_cndmask_b32_e64 v28, v28, v22, s[22:23]
	;; [unrolled: 1-line block ×4, first 2 shown]
	s_waitcnt lgkmcnt(0)
	v_mul_f64 v[28:29], v[28:29], v[30:31]
	s_cbranch_execz .LBB12_204
	s_branch .LBB12_205
.LBB12_203:
                                        ; implicit-def: $vgpr28_vgpr29
.LBB12_204:
	ds_read_b64 v[28:29], v89
.LBB12_205:
	v_cmp_ne_u32_e32 vcc, 3, v0
	s_and_saveexec_b64 s[10:11], vcc
	s_cbranch_execz .LBB12_209
; %bb.206:
	v_mov_b32_e32 v30, 0x78
	v_lshl_add_u32 v33, v0, 3, v30
	s_mov_b64 s[12:13], 0
	v_pk_mov_b32 v[30:31], v[0:1], v[0:1] op_sel:[0,1]
.LBB12_207:                             ; =>This Inner Loop Header: Depth=1
	v_add_co_u32_e32 v30, vcc, 1, v30
	v_addc_co_u32_e32 v31, vcc, 0, v31, vcc
	v_cmp_eq_u32_e32 vcc, 1, v30
	v_cndmask_b32_e32 v36, v3, v5, vcc
	v_cmp_eq_u32_e64 s[8:9], 2, v30
	v_cmp_lt_u32_e64 s[6:7], 2, v30
	v_cndmask_b32_e64 v36, v36, v7, s[8:9]
	v_cndmask_b32_e32 v37, v2, v4, vcc
	v_cmp_eq_u32_e32 vcc, 3, v30
	s_or_b64 s[12:13], s[6:7], s[12:13]
	v_cndmask_b32_e32 v36, v36, v9, vcc
	v_cndmask_b32_e64 v37, v37, v6, s[8:9]
	v_cmp_eq_u32_e64 s[6:7], 4, v30
	v_cndmask_b32_e64 v36, v36, v11, s[6:7]
	v_cndmask_b32_e32 v37, v37, v8, vcc
	v_cmp_eq_u32_e32 vcc, 5, v30
	s_waitcnt vmcnt(7)
	v_cndmask_b32_e32 v36, v36, v13, vcc
	v_cndmask_b32_e64 v37, v37, v10, s[6:7]
	v_cmp_eq_u32_e64 s[6:7], 6, v30
	s_waitcnt vmcnt(6)
	v_cndmask_b32_e64 v36, v36, v15, s[6:7]
	v_cndmask_b32_e32 v37, v37, v12, vcc
	v_cmp_eq_u32_e32 vcc, 7, v30
	s_waitcnt vmcnt(5)
	v_cndmask_b32_e32 v36, v36, v17, vcc
	v_cndmask_b32_e64 v37, v37, v14, s[6:7]
	v_cmp_eq_u32_e64 s[6:7], 8, v30
	s_waitcnt vmcnt(4)
	v_cndmask_b32_e64 v36, v36, v19, s[6:7]
	v_cndmask_b32_e32 v37, v37, v16, vcc
	v_cmp_eq_u32_e32 vcc, 9, v30
	ds_read_b64 v[34:35], v33
	s_waitcnt vmcnt(3)
	v_cndmask_b32_e32 v36, v36, v21, vcc
	v_cndmask_b32_e64 v37, v37, v18, s[6:7]
	v_cmp_eq_u32_e64 s[6:7], 10, v30
	s_waitcnt vmcnt(2)
	v_cndmask_b32_e64 v36, v36, v23, s[6:7]
	v_cndmask_b32_e32 v37, v37, v20, vcc
	v_cmp_eq_u32_e32 vcc, 11, v30
	s_waitcnt vmcnt(1)
	v_cndmask_b32_e32 v36, v36, v25, vcc
	v_cndmask_b32_e64 v38, v37, v22, s[6:7]
	v_cmp_eq_u32_e64 s[6:7], 12, v30
	s_waitcnt vmcnt(0)
	v_cndmask_b32_e64 v37, v36, v27, s[6:7]
	v_cndmask_b32_e32 v36, v38, v24, vcc
	v_cndmask_b32_e64 v36, v36, v26, s[6:7]
	v_add_u32_e32 v33, 8, v33
	s_waitcnt lgkmcnt(0)
	v_fmac_f64_e32 v[28:29], v[36:37], v[34:35]
	s_andn2_b64 exec, exec, s[12:13]
	s_cbranch_execnz .LBB12_207
; %bb.208:
	s_or_b64 exec, exec, s[12:13]
.LBB12_209:
	s_or_b64 exec, exec, s[10:11]
	v_mov_b32_e32 v10, 0
	ds_read_b64 v[10:11], v10 offset:32
	s_waitcnt lgkmcnt(0)
	v_mul_f64 v[10:11], v[28:29], v[10:11]
.LBB12_210:
	s_or_b64 exec, exec, s[28:29]
	v_cmp_gt_u32_e64 s[6:7], 5, v0
	s_waitcnt vmcnt(7)
	ds_write_b64 v89, v[12:13]
	s_waitcnt lgkmcnt(0)
	; wave barrier
	s_waitcnt lgkmcnt(0)
	s_and_saveexec_b64 s[30:31], s[6:7]
	s_cbranch_execz .LBB12_220
; %bb.211:
	s_and_b64 vcc, exec, s[0:1]
	s_cbranch_vccnz .LBB12_213
; %bb.212:
	v_cmp_eq_u32_e32 vcc, 1, v0
	v_cndmask_b32_e32 v28, v3, v5, vcc
	v_cmp_eq_u32_e64 s[8:9], 2, v0
	v_cndmask_b32_e64 v28, v28, v7, s[8:9]
	v_cmp_eq_u32_e64 s[10:11], 3, v0
	v_cndmask_b32_e64 v28, v28, v9, s[10:11]
	;; [unrolled: 2-line block ×4, first 2 shown]
	v_cmp_eq_u32_e64 s[16:17], 6, v0
	s_waitcnt vmcnt(6)
	v_cndmask_b32_e64 v28, v28, v15, s[16:17]
	v_cmp_eq_u32_e64 s[18:19], 7, v0
	s_waitcnt vmcnt(5)
	v_cndmask_b32_e64 v28, v28, v17, s[18:19]
	;; [unrolled: 3-line block ×7, first 2 shown]
	v_cndmask_b32_e32 v28, v2, v4, vcc
	v_cndmask_b32_e64 v28, v28, v6, s[8:9]
	v_cndmask_b32_e64 v28, v28, v8, s[10:11]
	;; [unrolled: 1-line block ×7, first 2 shown]
	ds_read_b64 v[30:31], v89
	v_cndmask_b32_e64 v28, v28, v20, s[22:23]
	v_cndmask_b32_e64 v28, v28, v22, s[24:25]
	;; [unrolled: 1-line block ×4, first 2 shown]
	s_waitcnt lgkmcnt(0)
	v_mul_f64 v[28:29], v[28:29], v[30:31]
	s_cbranch_execz .LBB12_214
	s_branch .LBB12_215
.LBB12_213:
                                        ; implicit-def: $vgpr28_vgpr29
.LBB12_214:
	ds_read_b64 v[28:29], v89
.LBB12_215:
	v_cmp_ne_u32_e32 vcc, 4, v0
	s_and_saveexec_b64 s[12:13], vcc
	s_cbranch_execz .LBB12_219
; %bb.216:
	v_mov_b32_e32 v30, 0x78
	v_lshl_add_u32 v33, v0, 3, v30
	s_mov_b64 s[14:15], 0
	v_pk_mov_b32 v[30:31], v[0:1], v[0:1] op_sel:[0,1]
.LBB12_217:                             ; =>This Inner Loop Header: Depth=1
	v_add_co_u32_e32 v30, vcc, 1, v30
	v_addc_co_u32_e32 v31, vcc, 0, v31, vcc
	v_cmp_eq_u32_e32 vcc, 1, v30
	v_cndmask_b32_e32 v36, v3, v5, vcc
	v_cmp_eq_u32_e64 s[10:11], 2, v30
	v_cmp_lt_u32_e64 s[8:9], 3, v30
	v_cndmask_b32_e64 v36, v36, v7, s[10:11]
	v_cndmask_b32_e32 v37, v2, v4, vcc
	v_cmp_eq_u32_e32 vcc, 3, v30
	s_or_b64 s[14:15], s[8:9], s[14:15]
	v_cndmask_b32_e32 v36, v36, v9, vcc
	v_cndmask_b32_e64 v37, v37, v6, s[10:11]
	v_cmp_eq_u32_e64 s[8:9], 4, v30
	v_cndmask_b32_e64 v36, v36, v11, s[8:9]
	v_cndmask_b32_e32 v37, v37, v8, vcc
	v_cmp_eq_u32_e32 vcc, 5, v30
	v_cndmask_b32_e32 v36, v36, v13, vcc
	v_cndmask_b32_e64 v37, v37, v10, s[8:9]
	v_cmp_eq_u32_e64 s[8:9], 6, v30
	s_waitcnt vmcnt(6)
	v_cndmask_b32_e64 v36, v36, v15, s[8:9]
	v_cndmask_b32_e32 v37, v37, v12, vcc
	v_cmp_eq_u32_e32 vcc, 7, v30
	s_waitcnt vmcnt(5)
	v_cndmask_b32_e32 v36, v36, v17, vcc
	v_cndmask_b32_e64 v37, v37, v14, s[8:9]
	v_cmp_eq_u32_e64 s[8:9], 8, v30
	s_waitcnt vmcnt(4)
	v_cndmask_b32_e64 v36, v36, v19, s[8:9]
	v_cndmask_b32_e32 v37, v37, v16, vcc
	v_cmp_eq_u32_e32 vcc, 9, v30
	ds_read_b64 v[34:35], v33
	s_waitcnt vmcnt(3)
	v_cndmask_b32_e32 v36, v36, v21, vcc
	v_cndmask_b32_e64 v37, v37, v18, s[8:9]
	v_cmp_eq_u32_e64 s[8:9], 10, v30
	s_waitcnt vmcnt(2)
	v_cndmask_b32_e64 v36, v36, v23, s[8:9]
	v_cndmask_b32_e32 v37, v37, v20, vcc
	v_cmp_eq_u32_e32 vcc, 11, v30
	s_waitcnt vmcnt(1)
	v_cndmask_b32_e32 v36, v36, v25, vcc
	v_cndmask_b32_e64 v38, v37, v22, s[8:9]
	v_cmp_eq_u32_e64 s[8:9], 12, v30
	s_waitcnt vmcnt(0)
	v_cndmask_b32_e64 v37, v36, v27, s[8:9]
	v_cndmask_b32_e32 v36, v38, v24, vcc
	v_cndmask_b32_e64 v36, v36, v26, s[8:9]
	v_add_u32_e32 v33, 8, v33
	s_waitcnt lgkmcnt(0)
	v_fmac_f64_e32 v[28:29], v[36:37], v[34:35]
	s_andn2_b64 exec, exec, s[14:15]
	s_cbranch_execnz .LBB12_217
; %bb.218:
	s_or_b64 exec, exec, s[14:15]
.LBB12_219:
	s_or_b64 exec, exec, s[12:13]
	v_mov_b32_e32 v12, 0
	ds_read_b64 v[12:13], v12 offset:40
	s_waitcnt lgkmcnt(0)
	v_mul_f64 v[12:13], v[28:29], v[12:13]
.LBB12_220:
	s_or_b64 exec, exec, s[30:31]
	v_cmp_gt_u32_e32 vcc, 6, v0
	s_waitcnt vmcnt(6)
	ds_write_b64 v89, v[14:15]
	s_waitcnt lgkmcnt(0)
	; wave barrier
	s_waitcnt lgkmcnt(0)
	s_and_saveexec_b64 s[30:31], vcc
	s_cbranch_execz .LBB12_230
; %bb.221:
	s_and_b64 vcc, exec, s[0:1]
	s_cbranch_vccnz .LBB12_223
; %bb.222:
	v_cmp_eq_u32_e32 vcc, 1, v0
	v_cndmask_b32_e32 v28, v3, v5, vcc
	v_cmp_eq_u32_e64 s[8:9], 2, v0
	v_cndmask_b32_e64 v28, v28, v7, s[8:9]
	v_cmp_eq_u32_e64 s[10:11], 3, v0
	v_cndmask_b32_e64 v28, v28, v9, s[10:11]
	;; [unrolled: 2-line block ×5, first 2 shown]
	v_cmp_eq_u32_e64 s[18:19], 7, v0
	s_waitcnt vmcnt(5)
	v_cndmask_b32_e64 v28, v28, v17, s[18:19]
	v_cmp_eq_u32_e64 s[20:21], 8, v0
	s_waitcnt vmcnt(4)
	v_cndmask_b32_e64 v28, v28, v19, s[20:21]
	;; [unrolled: 3-line block ×6, first 2 shown]
	v_cndmask_b32_e32 v28, v2, v4, vcc
	v_cndmask_b32_e64 v28, v28, v6, s[8:9]
	v_cndmask_b32_e64 v28, v28, v8, s[10:11]
	;; [unrolled: 1-line block ×7, first 2 shown]
	ds_read_b64 v[30:31], v89
	v_cndmask_b32_e64 v28, v28, v20, s[22:23]
	v_cndmask_b32_e64 v28, v28, v22, s[24:25]
	;; [unrolled: 1-line block ×4, first 2 shown]
	s_waitcnt lgkmcnt(0)
	v_mul_f64 v[28:29], v[28:29], v[30:31]
	s_cbranch_execz .LBB12_224
	s_branch .LBB12_225
.LBB12_223:
                                        ; implicit-def: $vgpr28_vgpr29
.LBB12_224:
	ds_read_b64 v[28:29], v89
.LBB12_225:
	v_cmp_ne_u32_e32 vcc, 5, v0
	s_and_saveexec_b64 s[12:13], vcc
	s_cbranch_execz .LBB12_229
; %bb.226:
	v_mov_b32_e32 v30, 0x78
	v_lshl_add_u32 v33, v0, 3, v30
	s_mov_b64 s[14:15], 0
	v_pk_mov_b32 v[30:31], v[0:1], v[0:1] op_sel:[0,1]
.LBB12_227:                             ; =>This Inner Loop Header: Depth=1
	v_add_co_u32_e32 v30, vcc, 1, v30
	v_addc_co_u32_e32 v31, vcc, 0, v31, vcc
	v_cmp_eq_u32_e32 vcc, 1, v30
	v_cndmask_b32_e32 v36, v3, v5, vcc
	v_cmp_eq_u32_e64 s[10:11], 2, v30
	v_cmp_lt_u32_e64 s[8:9], 4, v30
	v_cndmask_b32_e64 v36, v36, v7, s[10:11]
	v_cndmask_b32_e32 v37, v2, v4, vcc
	v_cmp_eq_u32_e32 vcc, 3, v30
	s_or_b64 s[14:15], s[8:9], s[14:15]
	v_cndmask_b32_e32 v36, v36, v9, vcc
	v_cndmask_b32_e64 v37, v37, v6, s[10:11]
	v_cmp_eq_u32_e64 s[8:9], 4, v30
	v_cndmask_b32_e64 v36, v36, v11, s[8:9]
	v_cndmask_b32_e32 v37, v37, v8, vcc
	v_cmp_eq_u32_e32 vcc, 5, v30
	v_cndmask_b32_e32 v36, v36, v13, vcc
	v_cndmask_b32_e64 v37, v37, v10, s[8:9]
	v_cmp_eq_u32_e64 s[8:9], 6, v30
	v_cndmask_b32_e64 v36, v36, v15, s[8:9]
	v_cndmask_b32_e32 v37, v37, v12, vcc
	v_cmp_eq_u32_e32 vcc, 7, v30
	s_waitcnt vmcnt(5)
	v_cndmask_b32_e32 v36, v36, v17, vcc
	v_cndmask_b32_e64 v37, v37, v14, s[8:9]
	v_cmp_eq_u32_e64 s[8:9], 8, v30
	s_waitcnt vmcnt(4)
	v_cndmask_b32_e64 v36, v36, v19, s[8:9]
	v_cndmask_b32_e32 v37, v37, v16, vcc
	v_cmp_eq_u32_e32 vcc, 9, v30
	ds_read_b64 v[34:35], v33
	s_waitcnt vmcnt(3)
	v_cndmask_b32_e32 v36, v36, v21, vcc
	v_cndmask_b32_e64 v37, v37, v18, s[8:9]
	v_cmp_eq_u32_e64 s[8:9], 10, v30
	s_waitcnt vmcnt(2)
	v_cndmask_b32_e64 v36, v36, v23, s[8:9]
	v_cndmask_b32_e32 v37, v37, v20, vcc
	v_cmp_eq_u32_e32 vcc, 11, v30
	s_waitcnt vmcnt(1)
	v_cndmask_b32_e32 v36, v36, v25, vcc
	v_cndmask_b32_e64 v38, v37, v22, s[8:9]
	v_cmp_eq_u32_e64 s[8:9], 12, v30
	s_waitcnt vmcnt(0)
	v_cndmask_b32_e64 v37, v36, v27, s[8:9]
	v_cndmask_b32_e32 v36, v38, v24, vcc
	v_cndmask_b32_e64 v36, v36, v26, s[8:9]
	v_add_u32_e32 v33, 8, v33
	s_waitcnt lgkmcnt(0)
	v_fmac_f64_e32 v[28:29], v[36:37], v[34:35]
	s_andn2_b64 exec, exec, s[14:15]
	s_cbranch_execnz .LBB12_227
; %bb.228:
	s_or_b64 exec, exec, s[14:15]
.LBB12_229:
	s_or_b64 exec, exec, s[12:13]
	v_mov_b32_e32 v14, 0
	ds_read_b64 v[14:15], v14 offset:48
	s_waitcnt lgkmcnt(0)
	v_mul_f64 v[14:15], v[28:29], v[14:15]
.LBB12_230:
	s_or_b64 exec, exec, s[30:31]
	v_cmp_gt_u32_e64 s[8:9], 7, v0
	s_waitcnt vmcnt(5)
	ds_write_b64 v89, v[16:17]
	s_waitcnt lgkmcnt(0)
	; wave barrier
	s_waitcnt lgkmcnt(0)
	s_and_saveexec_b64 s[34:35], s[8:9]
	s_cbranch_execz .LBB12_240
; %bb.231:
	s_and_b64 vcc, exec, s[0:1]
	s_cbranch_vccnz .LBB12_233
; %bb.232:
	v_cmp_eq_u32_e32 vcc, 1, v0
	v_cndmask_b32_e32 v28, v3, v5, vcc
	v_cmp_eq_u32_e64 s[10:11], 2, v0
	v_cndmask_b32_e64 v28, v28, v7, s[10:11]
	v_cmp_eq_u32_e64 s[12:13], 3, v0
	v_cndmask_b32_e64 v28, v28, v9, s[12:13]
	;; [unrolled: 2-line block ×6, first 2 shown]
	v_cmp_eq_u32_e64 s[22:23], 8, v0
	s_waitcnt vmcnt(4)
	v_cndmask_b32_e64 v28, v28, v19, s[22:23]
	v_cmp_eq_u32_e64 s[24:25], 9, v0
	s_waitcnt vmcnt(3)
	v_cndmask_b32_e64 v28, v28, v21, s[24:25]
	;; [unrolled: 3-line block ×5, first 2 shown]
	v_cndmask_b32_e32 v28, v2, v4, vcc
	v_cndmask_b32_e64 v28, v28, v6, s[10:11]
	v_cndmask_b32_e64 v28, v28, v8, s[12:13]
	;; [unrolled: 1-line block ×7, first 2 shown]
	ds_read_b64 v[30:31], v89
	v_cndmask_b32_e64 v28, v28, v20, s[24:25]
	v_cndmask_b32_e64 v28, v28, v22, s[26:27]
	;; [unrolled: 1-line block ×4, first 2 shown]
	s_waitcnt lgkmcnt(0)
	v_mul_f64 v[28:29], v[28:29], v[30:31]
	s_cbranch_execz .LBB12_234
	s_branch .LBB12_235
.LBB12_233:
                                        ; implicit-def: $vgpr28_vgpr29
.LBB12_234:
	ds_read_b64 v[28:29], v89
.LBB12_235:
	v_cmp_ne_u32_e32 vcc, 6, v0
	s_and_saveexec_b64 s[14:15], vcc
	s_cbranch_execz .LBB12_239
; %bb.236:
	v_mov_b32_e32 v30, 0x78
	v_lshl_add_u32 v33, v0, 3, v30
	s_mov_b64 s[16:17], 0
	v_pk_mov_b32 v[30:31], v[0:1], v[0:1] op_sel:[0,1]
.LBB12_237:                             ; =>This Inner Loop Header: Depth=1
	v_add_co_u32_e32 v30, vcc, 1, v30
	v_addc_co_u32_e32 v31, vcc, 0, v31, vcc
	v_cmp_eq_u32_e32 vcc, 1, v30
	v_cndmask_b32_e32 v36, v3, v5, vcc
	v_cmp_eq_u32_e64 s[12:13], 2, v30
	v_cmp_lt_u32_e64 s[10:11], 5, v30
	v_cndmask_b32_e64 v36, v36, v7, s[12:13]
	v_cndmask_b32_e32 v37, v2, v4, vcc
	v_cmp_eq_u32_e32 vcc, 3, v30
	s_or_b64 s[16:17], s[10:11], s[16:17]
	v_cndmask_b32_e32 v36, v36, v9, vcc
	v_cndmask_b32_e64 v37, v37, v6, s[12:13]
	v_cmp_eq_u32_e64 s[10:11], 4, v30
	v_cndmask_b32_e64 v36, v36, v11, s[10:11]
	v_cndmask_b32_e32 v37, v37, v8, vcc
	v_cmp_eq_u32_e32 vcc, 5, v30
	v_cndmask_b32_e32 v36, v36, v13, vcc
	v_cndmask_b32_e64 v37, v37, v10, s[10:11]
	v_cmp_eq_u32_e64 s[10:11], 6, v30
	v_cndmask_b32_e64 v36, v36, v15, s[10:11]
	v_cndmask_b32_e32 v37, v37, v12, vcc
	v_cmp_eq_u32_e32 vcc, 7, v30
	v_cndmask_b32_e32 v36, v36, v17, vcc
	v_cndmask_b32_e64 v37, v37, v14, s[10:11]
	v_cmp_eq_u32_e64 s[10:11], 8, v30
	s_waitcnt vmcnt(4)
	v_cndmask_b32_e64 v36, v36, v19, s[10:11]
	v_cndmask_b32_e32 v37, v37, v16, vcc
	v_cmp_eq_u32_e32 vcc, 9, v30
	ds_read_b64 v[34:35], v33
	s_waitcnt vmcnt(3)
	v_cndmask_b32_e32 v36, v36, v21, vcc
	v_cndmask_b32_e64 v37, v37, v18, s[10:11]
	v_cmp_eq_u32_e64 s[10:11], 10, v30
	s_waitcnt vmcnt(2)
	v_cndmask_b32_e64 v36, v36, v23, s[10:11]
	v_cndmask_b32_e32 v37, v37, v20, vcc
	v_cmp_eq_u32_e32 vcc, 11, v30
	s_waitcnt vmcnt(1)
	v_cndmask_b32_e32 v36, v36, v25, vcc
	v_cndmask_b32_e64 v38, v37, v22, s[10:11]
	v_cmp_eq_u32_e64 s[10:11], 12, v30
	s_waitcnt vmcnt(0)
	v_cndmask_b32_e64 v37, v36, v27, s[10:11]
	v_cndmask_b32_e32 v36, v38, v24, vcc
	v_cndmask_b32_e64 v36, v36, v26, s[10:11]
	v_add_u32_e32 v33, 8, v33
	s_waitcnt lgkmcnt(0)
	v_fmac_f64_e32 v[28:29], v[36:37], v[34:35]
	s_andn2_b64 exec, exec, s[16:17]
	s_cbranch_execnz .LBB12_237
; %bb.238:
	s_or_b64 exec, exec, s[16:17]
.LBB12_239:
	s_or_b64 exec, exec, s[14:15]
	v_mov_b32_e32 v16, 0
	ds_read_b64 v[16:17], v16 offset:56
	s_waitcnt lgkmcnt(0)
	v_mul_f64 v[16:17], v[28:29], v[16:17]
.LBB12_240:
	s_or_b64 exec, exec, s[34:35]
	v_cmp_gt_u32_e32 vcc, 8, v0
	s_waitcnt vmcnt(4)
	ds_write_b64 v89, v[18:19]
	s_waitcnt lgkmcnt(0)
	; wave barrier
	s_waitcnt lgkmcnt(0)
	s_and_saveexec_b64 s[34:35], vcc
	s_cbranch_execz .LBB12_250
; %bb.241:
	s_and_b64 vcc, exec, s[0:1]
	s_cbranch_vccnz .LBB12_243
; %bb.242:
	v_cmp_eq_u32_e32 vcc, 1, v0
	v_cndmask_b32_e32 v28, v3, v5, vcc
	v_cmp_eq_u32_e64 s[10:11], 2, v0
	v_cndmask_b32_e64 v28, v28, v7, s[10:11]
	v_cmp_eq_u32_e64 s[12:13], 3, v0
	v_cndmask_b32_e64 v28, v28, v9, s[12:13]
	;; [unrolled: 2-line block ×7, first 2 shown]
	v_cmp_eq_u32_e64 s[24:25], 9, v0
	s_waitcnt vmcnt(3)
	v_cndmask_b32_e64 v28, v28, v21, s[24:25]
	v_cmp_eq_u32_e64 s[26:27], 10, v0
	s_waitcnt vmcnt(2)
	v_cndmask_b32_e64 v28, v28, v23, s[26:27]
	;; [unrolled: 3-line block ×4, first 2 shown]
	v_cndmask_b32_e32 v28, v2, v4, vcc
	v_cndmask_b32_e64 v28, v28, v6, s[10:11]
	v_cndmask_b32_e64 v28, v28, v8, s[12:13]
	;; [unrolled: 1-line block ×7, first 2 shown]
	ds_read_b64 v[30:31], v89
	v_cndmask_b32_e64 v28, v28, v20, s[24:25]
	v_cndmask_b32_e64 v28, v28, v22, s[26:27]
	v_cndmask_b32_e64 v28, v28, v24, s[28:29]
	v_cndmask_b32_e64 v28, v28, v26, s[30:31]
	s_waitcnt lgkmcnt(0)
	v_mul_f64 v[28:29], v[28:29], v[30:31]
	s_cbranch_execz .LBB12_244
	s_branch .LBB12_245
.LBB12_243:
                                        ; implicit-def: $vgpr28_vgpr29
.LBB12_244:
	ds_read_b64 v[28:29], v89
.LBB12_245:
	v_cmp_ne_u32_e32 vcc, 7, v0
	s_and_saveexec_b64 s[14:15], vcc
	s_cbranch_execz .LBB12_249
; %bb.246:
	v_mov_b32_e32 v30, 0x78
	v_lshl_add_u32 v33, v0, 3, v30
	s_mov_b64 s[16:17], 0
	v_pk_mov_b32 v[30:31], v[0:1], v[0:1] op_sel:[0,1]
.LBB12_247:                             ; =>This Inner Loop Header: Depth=1
	v_add_co_u32_e32 v30, vcc, 1, v30
	v_addc_co_u32_e32 v31, vcc, 0, v31, vcc
	v_cmp_eq_u32_e32 vcc, 1, v30
	v_cndmask_b32_e32 v36, v3, v5, vcc
	v_cmp_eq_u32_e64 s[12:13], 2, v30
	v_cmp_lt_u32_e64 s[10:11], 6, v30
	v_cndmask_b32_e64 v36, v36, v7, s[12:13]
	v_cndmask_b32_e32 v37, v2, v4, vcc
	v_cmp_eq_u32_e32 vcc, 3, v30
	s_or_b64 s[16:17], s[10:11], s[16:17]
	v_cndmask_b32_e32 v36, v36, v9, vcc
	v_cndmask_b32_e64 v37, v37, v6, s[12:13]
	v_cmp_eq_u32_e64 s[10:11], 4, v30
	v_cndmask_b32_e64 v36, v36, v11, s[10:11]
	v_cndmask_b32_e32 v37, v37, v8, vcc
	v_cmp_eq_u32_e32 vcc, 5, v30
	v_cndmask_b32_e32 v36, v36, v13, vcc
	v_cndmask_b32_e64 v37, v37, v10, s[10:11]
	v_cmp_eq_u32_e64 s[10:11], 6, v30
	v_cndmask_b32_e64 v36, v36, v15, s[10:11]
	v_cndmask_b32_e32 v37, v37, v12, vcc
	v_cmp_eq_u32_e32 vcc, 7, v30
	;; [unrolled: 6-line block ×3, first 2 shown]
	ds_read_b64 v[34:35], v33
	s_waitcnt vmcnt(3)
	v_cndmask_b32_e32 v36, v36, v21, vcc
	v_cndmask_b32_e64 v37, v37, v18, s[10:11]
	v_cmp_eq_u32_e64 s[10:11], 10, v30
	s_waitcnt vmcnt(2)
	v_cndmask_b32_e64 v36, v36, v23, s[10:11]
	v_cndmask_b32_e32 v37, v37, v20, vcc
	v_cmp_eq_u32_e32 vcc, 11, v30
	s_waitcnt vmcnt(1)
	v_cndmask_b32_e32 v36, v36, v25, vcc
	v_cndmask_b32_e64 v38, v37, v22, s[10:11]
	v_cmp_eq_u32_e64 s[10:11], 12, v30
	s_waitcnt vmcnt(0)
	v_cndmask_b32_e64 v37, v36, v27, s[10:11]
	v_cndmask_b32_e32 v36, v38, v24, vcc
	v_cndmask_b32_e64 v36, v36, v26, s[10:11]
	v_add_u32_e32 v33, 8, v33
	s_waitcnt lgkmcnt(0)
	v_fmac_f64_e32 v[28:29], v[36:37], v[34:35]
	s_andn2_b64 exec, exec, s[16:17]
	s_cbranch_execnz .LBB12_247
; %bb.248:
	s_or_b64 exec, exec, s[16:17]
.LBB12_249:
	s_or_b64 exec, exec, s[14:15]
	v_mov_b32_e32 v18, 0
	ds_read_b64 v[18:19], v18 offset:64
	s_waitcnt lgkmcnt(0)
	v_mul_f64 v[18:19], v[28:29], v[18:19]
.LBB12_250:
	s_or_b64 exec, exec, s[34:35]
	v_cmp_gt_u32_e32 vcc, 9, v0
	s_waitcnt vmcnt(3)
	ds_write_b64 v89, v[20:21]
	s_waitcnt lgkmcnt(0)
	; wave barrier
	s_waitcnt lgkmcnt(0)
	s_and_saveexec_b64 s[34:35], vcc
	s_cbranch_execz .LBB12_272
; %bb.251:
	s_and_b64 vcc, exec, s[0:1]
	s_cbranch_vccnz .LBB12_253
; %bb.252:
	v_cmp_eq_u32_e32 vcc, 1, v0
	v_cndmask_b32_e32 v28, v3, v5, vcc
	v_cmp_eq_u32_e64 s[10:11], 2, v0
	v_cndmask_b32_e64 v28, v28, v7, s[10:11]
	v_cmp_eq_u32_e64 s[12:13], 3, v0
	v_cndmask_b32_e64 v28, v28, v9, s[12:13]
	;; [unrolled: 2-line block ×8, first 2 shown]
	v_cmp_eq_u32_e64 s[26:27], 10, v0
	s_waitcnt vmcnt(2)
	v_cndmask_b32_e64 v28, v28, v23, s[26:27]
	v_cmp_eq_u32_e64 s[28:29], 11, v0
	s_waitcnt vmcnt(1)
	v_cndmask_b32_e64 v28, v28, v25, s[28:29]
	;; [unrolled: 3-line block ×3, first 2 shown]
	v_cndmask_b32_e32 v28, v2, v4, vcc
	v_cndmask_b32_e64 v28, v28, v6, s[10:11]
	v_cndmask_b32_e64 v28, v28, v8, s[12:13]
	;; [unrolled: 1-line block ×7, first 2 shown]
	ds_read_b64 v[30:31], v89
	v_cndmask_b32_e64 v28, v28, v20, s[24:25]
	v_cndmask_b32_e64 v28, v28, v22, s[26:27]
	;; [unrolled: 1-line block ×4, first 2 shown]
	s_waitcnt lgkmcnt(0)
	v_mul_f64 v[28:29], v[28:29], v[30:31]
	s_cbranch_execz .LBB12_254
	s_branch .LBB12_255
.LBB12_253:
                                        ; implicit-def: $vgpr28_vgpr29
.LBB12_254:
	ds_read_b64 v[28:29], v89
.LBB12_255:
	v_cmp_ne_u32_e32 vcc, 8, v0
	s_and_saveexec_b64 s[36:37], vcc
	s_cbranch_execz .LBB12_271
; %bb.256:
	v_cmp_eq_u32_e32 vcc, 1, v32
	v_cndmask_b32_e32 v30, v3, v5, vcc
	v_cmp_eq_u32_e64 s[10:11], 2, v32
	v_cndmask_b32_e64 v30, v30, v7, s[10:11]
	v_cmp_eq_u32_e64 s[12:13], 3, v32
	v_cndmask_b32_e64 v30, v30, v9, s[12:13]
	;; [unrolled: 2-line block ×8, first 2 shown]
	v_cmp_eq_u32_e64 s[26:27], 10, v32
	s_waitcnt vmcnt(2)
	v_cndmask_b32_e64 v30, v30, v23, s[26:27]
	v_cmp_eq_u32_e64 s[28:29], 11, v32
	s_waitcnt vmcnt(1)
	v_cndmask_b32_e64 v30, v30, v25, s[28:29]
	;; [unrolled: 3-line block ×3, first 2 shown]
	v_cndmask_b32_e32 v30, v2, v4, vcc
	v_cndmask_b32_e64 v30, v30, v6, s[10:11]
	v_cndmask_b32_e64 v30, v30, v8, s[12:13]
	;; [unrolled: 1-line block ×7, first 2 shown]
	ds_read_b64 v[32:33], v89 offset:8
	v_cndmask_b32_e64 v30, v30, v20, s[24:25]
	v_cndmask_b32_e64 v30, v30, v22, s[26:27]
	;; [unrolled: 1-line block ×4, first 2 shown]
	s_waitcnt lgkmcnt(0)
	v_fmac_f64_e32 v[28:29], v[30:31], v[32:33]
	s_and_saveexec_b64 s[30:31], s[8:9]
	s_cbranch_execz .LBB12_270
; %bb.257:
	v_add_u32_e32 v30, 2, v0
	v_cmp_eq_u32_e32 vcc, 1, v30
	v_cndmask_b32_e32 v31, v3, v5, vcc
	v_cmp_eq_u32_e64 s[8:9], 2, v30
	v_cmp_eq_u32_e64 s[10:11], 3, v30
	;; [unrolled: 1-line block ×11, first 2 shown]
	v_cndmask_b32_e32 v30, v2, v4, vcc
	v_cndmask_b32_e64 v31, v31, v7, s[8:9]
	v_cndmask_b32_e64 v30, v30, v6, s[8:9]
	;; [unrolled: 1-line block ×14, first 2 shown]
	ds_read_b64 v[32:33], v89 offset:16
	v_cndmask_b32_e64 v31, v31, v21, s[22:23]
	v_cndmask_b32_e64 v30, v30, v20, s[22:23]
	;; [unrolled: 1-line block ×8, first 2 shown]
	s_waitcnt lgkmcnt(0)
	v_fmac_f64_e32 v[28:29], v[30:31], v[32:33]
	v_cmp_ne_u32_e32 vcc, 6, v0
	s_and_saveexec_b64 s[38:39], vcc
	s_cbranch_execz .LBB12_269
; %bb.258:
	v_add_u32_e32 v30, 3, v0
	v_cmp_eq_u32_e32 vcc, 1, v30
	v_cndmask_b32_e32 v31, v3, v5, vcc
	v_cmp_eq_u32_e64 s[8:9], 2, v30
	v_cmp_eq_u32_e64 s[10:11], 3, v30
	;; [unrolled: 1-line block ×11, first 2 shown]
	v_cndmask_b32_e32 v30, v2, v4, vcc
	v_cndmask_b32_e64 v31, v31, v7, s[8:9]
	v_cndmask_b32_e64 v30, v30, v6, s[8:9]
	;; [unrolled: 1-line block ×14, first 2 shown]
	ds_read_b64 v[32:33], v89 offset:24
	v_cndmask_b32_e64 v31, v31, v21, s[22:23]
	v_cndmask_b32_e64 v30, v30, v20, s[22:23]
	;; [unrolled: 1-line block ×8, first 2 shown]
	s_waitcnt lgkmcnt(0)
	v_fmac_f64_e32 v[28:29], v[30:31], v[32:33]
	s_and_saveexec_b64 s[28:29], s[6:7]
	s_cbranch_execz .LBB12_268
; %bb.259:
	v_add_u32_e32 v30, 4, v0
	v_cmp_eq_u32_e32 vcc, 1, v30
	v_cndmask_b32_e32 v31, v3, v5, vcc
	v_cmp_eq_u32_e64 s[6:7], 2, v30
	v_cmp_eq_u32_e64 s[8:9], 3, v30
	;; [unrolled: 1-line block ×11, first 2 shown]
	v_cndmask_b32_e32 v30, v2, v4, vcc
	v_cndmask_b32_e64 v31, v31, v7, s[6:7]
	v_cndmask_b32_e64 v30, v30, v6, s[6:7]
	;; [unrolled: 1-line block ×14, first 2 shown]
	ds_read_b64 v[32:33], v89 offset:32
	v_cndmask_b32_e64 v31, v31, v21, s[20:21]
	v_cndmask_b32_e64 v30, v30, v20, s[20:21]
	;; [unrolled: 1-line block ×8, first 2 shown]
	s_waitcnt lgkmcnt(0)
	v_fmac_f64_e32 v[28:29], v[30:31], v[32:33]
	v_cmp_ne_u32_e32 vcc, 4, v0
	s_and_saveexec_b64 s[40:41], vcc
	s_cbranch_execz .LBB12_267
; %bb.260:
	v_add_u32_e32 v30, 5, v0
	v_cmp_eq_u32_e32 vcc, 1, v30
	v_cndmask_b32_e32 v31, v3, v5, vcc
	v_cmp_eq_u32_e64 s[6:7], 2, v30
	v_cmp_eq_u32_e64 s[8:9], 3, v30
	;; [unrolled: 1-line block ×11, first 2 shown]
	v_cndmask_b32_e32 v30, v2, v4, vcc
	v_cndmask_b32_e64 v31, v31, v7, s[6:7]
	v_cndmask_b32_e64 v30, v30, v6, s[6:7]
	;; [unrolled: 1-line block ×14, first 2 shown]
	ds_read_b64 v[32:33], v89 offset:40
	v_cndmask_b32_e64 v31, v31, v21, s[20:21]
	v_cndmask_b32_e64 v30, v30, v20, s[20:21]
	;; [unrolled: 1-line block ×8, first 2 shown]
	s_waitcnt lgkmcnt(0)
	v_fmac_f64_e32 v[28:29], v[30:31], v[32:33]
	s_and_saveexec_b64 s[26:27], s[4:5]
	s_cbranch_execz .LBB12_266
; %bb.261:
	v_add_u32_e32 v30, 6, v0
	v_cmp_eq_u32_e32 vcc, 1, v30
	v_cndmask_b32_e32 v31, v3, v5, vcc
	v_cmp_eq_u32_e64 s[4:5], 2, v30
	v_cmp_eq_u32_e64 s[6:7], 3, v30
	;; [unrolled: 1-line block ×11, first 2 shown]
	v_cndmask_b32_e32 v30, v2, v4, vcc
	v_cndmask_b32_e64 v31, v31, v7, s[4:5]
	v_cndmask_b32_e64 v30, v30, v6, s[4:5]
	;; [unrolled: 1-line block ×14, first 2 shown]
	ds_read_b64 v[32:33], v89 offset:48
	v_cndmask_b32_e64 v31, v31, v21, s[18:19]
	v_cndmask_b32_e64 v30, v30, v20, s[18:19]
	;; [unrolled: 1-line block ×8, first 2 shown]
	s_waitcnt lgkmcnt(0)
	v_fmac_f64_e32 v[28:29], v[30:31], v[32:33]
	v_cmp_ne_u32_e32 vcc, 2, v0
	s_and_saveexec_b64 s[42:43], vcc
	s_cbranch_execz .LBB12_265
; %bb.262:
	v_add_u32_e32 v30, 7, v0
	v_cmp_eq_u32_e32 vcc, 1, v30
	v_cndmask_b32_e32 v31, v3, v5, vcc
	v_cmp_eq_u32_e64 s[4:5], 2, v30
	v_cndmask_b32_e64 v31, v31, v7, s[4:5]
	v_cmp_eq_u32_e64 s[6:7], 3, v30
	v_cmp_eq_u32_e64 s[8:9], 4, v30
	;; [unrolled: 1-line block ×10, first 2 shown]
	v_cndmask_b32_e32 v30, v2, v4, vcc
	v_cndmask_b32_e64 v31, v31, v9, s[6:7]
	v_cndmask_b32_e64 v30, v30, v6, s[4:5]
	;; [unrolled: 1-line block ×14, first 2 shown]
	ds_read_b64 v[30:31], v89 offset:56
	v_cndmask_b32_e64 v20, v32, v20, s[18:19]
	v_cndmask_b32_e64 v21, v21, v23, s[20:21]
	;; [unrolled: 1-line block ×7, first 2 shown]
	s_waitcnt lgkmcnt(0)
	v_fmac_f64_e32 v[28:29], v[20:21], v[30:31]
	s_and_saveexec_b64 s[4:5], s[2:3]
	s_cbranch_execz .LBB12_264
; %bb.263:
	ds_read_b64 v[20:21], v89 offset:64
	s_waitcnt lgkmcnt(0)
	v_fmac_f64_e32 v[28:29], v[18:19], v[20:21]
.LBB12_264:
	s_or_b64 exec, exec, s[4:5]
.LBB12_265:
	s_or_b64 exec, exec, s[42:43]
.LBB12_266:
	s_or_b64 exec, exec, s[26:27]
.LBB12_267:
	s_or_b64 exec, exec, s[40:41]
.LBB12_268:
	s_or_b64 exec, exec, s[28:29]
.LBB12_269:
	s_or_b64 exec, exec, s[38:39]
.LBB12_270:
	s_or_b64 exec, exec, s[30:31]
.LBB12_271:
	s_or_b64 exec, exec, s[36:37]
	v_mov_b32_e32 v20, 0
	ds_read_b64 v[20:21], v20 offset:72
	s_waitcnt lgkmcnt(0)
	v_mul_f64 v[20:21], v[28:29], v[20:21]
.LBB12_272:
	s_or_b64 exec, exec, s[34:35]
	v_cmp_gt_u32_e32 vcc, 10, v0
	s_waitcnt vmcnt(2)
	ds_write_b64 v89, v[22:23]
	s_waitcnt lgkmcnt(0)
	; wave barrier
	s_waitcnt lgkmcnt(0)
	s_and_saveexec_b64 s[24:25], vcc
	s_cbranch_execz .LBB12_282
; %bb.273:
	s_and_b64 vcc, exec, s[0:1]
	s_cbranch_vccnz .LBB12_275
; %bb.274:
	v_cmp_eq_u32_e32 vcc, 1, v0
	v_cndmask_b32_e32 v28, v3, v5, vcc
	v_cmp_eq_u32_e64 s[2:3], 2, v0
	v_cndmask_b32_e64 v28, v28, v7, s[2:3]
	v_cmp_eq_u32_e64 s[4:5], 3, v0
	v_cndmask_b32_e64 v28, v28, v9, s[4:5]
	;; [unrolled: 2-line block ×9, first 2 shown]
	v_cmp_eq_u32_e64 s[20:21], 11, v0
	s_waitcnt vmcnt(1)
	v_cndmask_b32_e64 v28, v28, v25, s[20:21]
	v_cmp_eq_u32_e64 s[22:23], 12, v0
	s_waitcnt vmcnt(0)
	v_cndmask_b32_e64 v29, v28, v27, s[22:23]
	v_cndmask_b32_e32 v28, v2, v4, vcc
	v_cndmask_b32_e64 v28, v28, v6, s[2:3]
	v_cndmask_b32_e64 v28, v28, v8, s[4:5]
	;; [unrolled: 1-line block ×7, first 2 shown]
	ds_read_b64 v[30:31], v89
	v_cndmask_b32_e64 v28, v28, v20, s[16:17]
	v_cndmask_b32_e64 v28, v28, v22, s[18:19]
	;; [unrolled: 1-line block ×4, first 2 shown]
	s_waitcnt lgkmcnt(0)
	v_mul_f64 v[28:29], v[28:29], v[30:31]
	s_cbranch_execz .LBB12_276
	s_branch .LBB12_277
.LBB12_275:
                                        ; implicit-def: $vgpr28_vgpr29
.LBB12_276:
	ds_read_b64 v[28:29], v89
.LBB12_277:
	v_cmp_ne_u32_e32 vcc, 9, v0
	s_and_saveexec_b64 s[6:7], vcc
	s_cbranch_execz .LBB12_281
; %bb.278:
	v_mov_b32_e32 v30, 0x78
	v_lshl_add_u32 v32, v0, 3, v30
	s_mov_b64 s[8:9], 0
	v_pk_mov_b32 v[30:31], v[0:1], v[0:1] op_sel:[0,1]
.LBB12_279:                             ; =>This Inner Loop Header: Depth=1
	v_add_co_u32_e32 v30, vcc, 1, v30
	v_addc_co_u32_e32 v31, vcc, 0, v31, vcc
	v_cmp_eq_u32_e32 vcc, 1, v30
	v_cndmask_b32_e32 v33, v3, v5, vcc
	v_cmp_eq_u32_e64 s[4:5], 2, v30
	v_cmp_lt_u32_e64 s[2:3], 8, v30
	v_cndmask_b32_e64 v33, v33, v7, s[4:5]
	v_cndmask_b32_e32 v36, v2, v4, vcc
	v_cmp_eq_u32_e32 vcc, 3, v30
	s_or_b64 s[8:9], s[2:3], s[8:9]
	v_cndmask_b32_e32 v33, v33, v9, vcc
	v_cndmask_b32_e64 v36, v36, v6, s[4:5]
	v_cmp_eq_u32_e64 s[2:3], 4, v30
	v_cndmask_b32_e64 v33, v33, v11, s[2:3]
	v_cndmask_b32_e32 v36, v36, v8, vcc
	v_cmp_eq_u32_e32 vcc, 5, v30
	v_cndmask_b32_e32 v33, v33, v13, vcc
	v_cndmask_b32_e64 v36, v36, v10, s[2:3]
	v_cmp_eq_u32_e64 s[2:3], 6, v30
	v_cndmask_b32_e64 v33, v33, v15, s[2:3]
	v_cndmask_b32_e32 v36, v36, v12, vcc
	v_cmp_eq_u32_e32 vcc, 7, v30
	;; [unrolled: 6-line block ×3, first 2 shown]
	ds_read_b64 v[34:35], v32
	v_cndmask_b32_e32 v33, v33, v21, vcc
	v_cndmask_b32_e64 v36, v36, v18, s[2:3]
	v_cmp_eq_u32_e64 s[2:3], 10, v30
	v_cndmask_b32_e64 v33, v33, v23, s[2:3]
	v_cndmask_b32_e32 v36, v36, v20, vcc
	v_cmp_eq_u32_e32 vcc, 11, v30
	s_waitcnt vmcnt(1)
	v_cndmask_b32_e32 v33, v33, v25, vcc
	v_cndmask_b32_e64 v36, v36, v22, s[2:3]
	v_cmp_eq_u32_e64 s[2:3], 12, v30
	s_waitcnt vmcnt(0)
	v_cndmask_b32_e64 v37, v33, v27, s[2:3]
	v_cndmask_b32_e32 v33, v36, v24, vcc
	v_cndmask_b32_e64 v36, v33, v26, s[2:3]
	v_add_u32_e32 v32, 8, v32
	s_waitcnt lgkmcnt(0)
	v_fmac_f64_e32 v[28:29], v[36:37], v[34:35]
	s_andn2_b64 exec, exec, s[8:9]
	s_cbranch_execnz .LBB12_279
; %bb.280:
	s_or_b64 exec, exec, s[8:9]
.LBB12_281:
	s_or_b64 exec, exec, s[6:7]
	v_mov_b32_e32 v22, 0
	ds_read_b64 v[22:23], v22 offset:80
	s_waitcnt lgkmcnt(0)
	v_mul_f64 v[22:23], v[28:29], v[22:23]
.LBB12_282:
	s_or_b64 exec, exec, s[24:25]
	v_cmp_gt_u32_e64 s[2:3], 11, v0
	s_waitcnt vmcnt(1)
	ds_write_b64 v89, v[24:25]
	s_waitcnt lgkmcnt(0)
	; wave barrier
	s_waitcnt lgkmcnt(0)
	s_and_saveexec_b64 s[26:27], s[2:3]
	s_cbranch_execz .LBB12_292
; %bb.283:
	s_and_b64 vcc, exec, s[0:1]
	s_cbranch_vccnz .LBB12_285
; %bb.284:
	v_cmp_eq_u32_e32 vcc, 1, v0
	v_cndmask_b32_e32 v28, v3, v5, vcc
	v_cmp_eq_u32_e64 s[4:5], 2, v0
	v_cndmask_b32_e64 v28, v28, v7, s[4:5]
	v_cmp_eq_u32_e64 s[6:7], 3, v0
	v_cndmask_b32_e64 v28, v28, v9, s[6:7]
	;; [unrolled: 2-line block ×10, first 2 shown]
	v_cmp_eq_u32_e64 s[24:25], 12, v0
	s_waitcnt vmcnt(0)
	v_cndmask_b32_e64 v29, v28, v27, s[24:25]
	v_cndmask_b32_e32 v28, v2, v4, vcc
	v_cndmask_b32_e64 v28, v28, v6, s[4:5]
	v_cndmask_b32_e64 v28, v28, v8, s[6:7]
	;; [unrolled: 1-line block ×7, first 2 shown]
	ds_read_b64 v[30:31], v89
	v_cndmask_b32_e64 v28, v28, v20, s[18:19]
	v_cndmask_b32_e64 v28, v28, v22, s[20:21]
	;; [unrolled: 1-line block ×4, first 2 shown]
	s_waitcnt lgkmcnt(0)
	v_mul_f64 v[28:29], v[28:29], v[30:31]
	s_cbranch_execz .LBB12_286
	s_branch .LBB12_287
.LBB12_285:
                                        ; implicit-def: $vgpr28_vgpr29
.LBB12_286:
	ds_read_b64 v[28:29], v89
.LBB12_287:
	v_cmp_ne_u32_e32 vcc, 10, v0
	s_and_saveexec_b64 s[8:9], vcc
	s_cbranch_execz .LBB12_291
; %bb.288:
	v_mov_b32_e32 v30, 0x78
	v_lshl_add_u32 v32, v0, 3, v30
	s_mov_b64 s[10:11], 0
	v_pk_mov_b32 v[30:31], v[0:1], v[0:1] op_sel:[0,1]
.LBB12_289:                             ; =>This Inner Loop Header: Depth=1
	v_add_co_u32_e32 v30, vcc, 1, v30
	v_addc_co_u32_e32 v31, vcc, 0, v31, vcc
	v_cmp_eq_u32_e32 vcc, 1, v30
	v_cndmask_b32_e32 v33, v3, v5, vcc
	v_cmp_eq_u32_e64 s[6:7], 2, v30
	v_cmp_lt_u32_e64 s[4:5], 9, v30
	v_cndmask_b32_e64 v33, v33, v7, s[6:7]
	v_cndmask_b32_e32 v36, v2, v4, vcc
	v_cmp_eq_u32_e32 vcc, 3, v30
	s_or_b64 s[10:11], s[4:5], s[10:11]
	v_cndmask_b32_e32 v33, v33, v9, vcc
	v_cndmask_b32_e64 v36, v36, v6, s[6:7]
	v_cmp_eq_u32_e64 s[4:5], 4, v30
	v_cndmask_b32_e64 v33, v33, v11, s[4:5]
	v_cndmask_b32_e32 v36, v36, v8, vcc
	v_cmp_eq_u32_e32 vcc, 5, v30
	v_cndmask_b32_e32 v33, v33, v13, vcc
	v_cndmask_b32_e64 v36, v36, v10, s[4:5]
	v_cmp_eq_u32_e64 s[4:5], 6, v30
	v_cndmask_b32_e64 v33, v33, v15, s[4:5]
	v_cndmask_b32_e32 v36, v36, v12, vcc
	v_cmp_eq_u32_e32 vcc, 7, v30
	v_cndmask_b32_e32 v33, v33, v17, vcc
	v_cndmask_b32_e64 v36, v36, v14, s[4:5]
	v_cmp_eq_u32_e64 s[4:5], 8, v30
	v_cndmask_b32_e64 v33, v33, v19, s[4:5]
	v_cndmask_b32_e32 v36, v36, v16, vcc
	v_cmp_eq_u32_e32 vcc, 9, v30
	ds_read_b64 v[34:35], v32
	v_cndmask_b32_e32 v33, v33, v21, vcc
	v_cndmask_b32_e64 v36, v36, v18, s[4:5]
	v_cmp_eq_u32_e64 s[4:5], 10, v30
	v_cndmask_b32_e64 v33, v33, v23, s[4:5]
	v_cndmask_b32_e32 v36, v36, v20, vcc
	v_cmp_eq_u32_e32 vcc, 11, v30
	v_cndmask_b32_e32 v33, v33, v25, vcc
	v_cndmask_b32_e64 v36, v36, v22, s[4:5]
	v_cmp_eq_u32_e64 s[4:5], 12, v30
	s_waitcnt vmcnt(0)
	v_cndmask_b32_e64 v37, v33, v27, s[4:5]
	v_cndmask_b32_e32 v33, v36, v24, vcc
	v_cndmask_b32_e64 v36, v33, v26, s[4:5]
	v_add_u32_e32 v32, 8, v32
	s_waitcnt lgkmcnt(0)
	v_fmac_f64_e32 v[28:29], v[36:37], v[34:35]
	s_andn2_b64 exec, exec, s[10:11]
	s_cbranch_execnz .LBB12_289
; %bb.290:
	s_or_b64 exec, exec, s[10:11]
.LBB12_291:
	s_or_b64 exec, exec, s[8:9]
	v_mov_b32_e32 v24, 0
	ds_read_b64 v[24:25], v24 offset:88
	s_waitcnt lgkmcnt(0)
	v_mul_f64 v[24:25], v[28:29], v[24:25]
.LBB12_292:
	s_or_b64 exec, exec, s[26:27]
	v_cmp_ne_u32_e32 vcc, 12, v0
	s_waitcnt vmcnt(0)
	ds_write_b64 v89, v[26:27]
	s_waitcnt lgkmcnt(0)
	; wave barrier
	s_waitcnt lgkmcnt(0)
	s_and_saveexec_b64 s[24:25], vcc
	s_cbranch_execz .LBB12_302
; %bb.293:
	s_and_b64 vcc, exec, s[0:1]
	s_cbranch_vccnz .LBB12_295
; %bb.294:
	v_cmp_eq_u32_e32 vcc, 1, v0
	v_cndmask_b32_e32 v28, v3, v5, vcc
	v_cmp_eq_u32_e64 s[0:1], 2, v0
	v_cndmask_b32_e64 v28, v28, v7, s[0:1]
	v_cmp_eq_u32_e64 s[4:5], 3, v0
	v_cndmask_b32_e64 v28, v28, v9, s[4:5]
	;; [unrolled: 2-line block ×11, first 2 shown]
	v_cndmask_b32_e32 v28, v2, v4, vcc
	v_cndmask_b32_e64 v28, v28, v6, s[0:1]
	v_cndmask_b32_e64 v28, v28, v8, s[4:5]
	;; [unrolled: 1-line block ×7, first 2 shown]
	ds_read_b64 v[30:31], v89
	v_cndmask_b32_e64 v28, v28, v20, s[16:17]
	v_cndmask_b32_e64 v28, v28, v22, s[18:19]
	v_cndmask_b32_e64 v28, v28, v24, s[20:21]
	v_cndmask_b32_e64 v28, v28, v26, s[22:23]
	s_waitcnt lgkmcnt(0)
	v_mul_f64 v[28:29], v[28:29], v[30:31]
	s_cbranch_execz .LBB12_296
	s_branch .LBB12_297
.LBB12_295:
                                        ; implicit-def: $vgpr28_vgpr29
.LBB12_296:
	ds_read_b64 v[28:29], v89
.LBB12_297:
	s_and_saveexec_b64 s[4:5], s[2:3]
	s_cbranch_execz .LBB12_301
; %bb.298:
	v_mov_b32_e32 v30, 0x78
	v_lshl_add_u32 v30, v0, 3, v30
	s_mov_b64 s[6:7], 0
.LBB12_299:                             ; =>This Inner Loop Header: Depth=1
	v_add_co_u32_e32 v0, vcc, 1, v0
	v_addc_co_u32_e32 v1, vcc, 0, v1, vcc
	v_cmp_eq_u32_e32 vcc, 1, v0
	v_cndmask_b32_e32 v31, v3, v5, vcc
	v_cmp_eq_u32_e64 s[2:3], 2, v0
	v_cmp_lt_u32_e64 s[0:1], 10, v0
	v_cndmask_b32_e64 v31, v31, v7, s[2:3]
	v_cndmask_b32_e32 v34, v2, v4, vcc
	v_cmp_eq_u32_e32 vcc, 3, v0
	s_or_b64 s[6:7], s[0:1], s[6:7]
	v_cndmask_b32_e32 v31, v31, v9, vcc
	v_cndmask_b32_e64 v34, v34, v6, s[2:3]
	v_cmp_eq_u32_e64 s[0:1], 4, v0
	v_cndmask_b32_e64 v31, v31, v11, s[0:1]
	v_cndmask_b32_e32 v34, v34, v8, vcc
	v_cmp_eq_u32_e32 vcc, 5, v0
	v_cndmask_b32_e32 v31, v31, v13, vcc
	v_cndmask_b32_e64 v34, v34, v10, s[0:1]
	v_cmp_eq_u32_e64 s[0:1], 6, v0
	v_cndmask_b32_e64 v31, v31, v15, s[0:1]
	v_cndmask_b32_e32 v34, v34, v12, vcc
	v_cmp_eq_u32_e32 vcc, 7, v0
	v_cndmask_b32_e32 v31, v31, v17, vcc
	v_cndmask_b32_e64 v34, v34, v14, s[0:1]
	v_cmp_eq_u32_e64 s[0:1], 8, v0
	v_cndmask_b32_e64 v31, v31, v19, s[0:1]
	v_cndmask_b32_e32 v34, v34, v16, vcc
	v_cmp_eq_u32_e32 vcc, 9, v0
	ds_read_b64 v[32:33], v30
	v_cndmask_b32_e32 v31, v31, v21, vcc
	v_cndmask_b32_e64 v34, v34, v18, s[0:1]
	v_cmp_eq_u32_e64 s[0:1], 10, v0
	v_cndmask_b32_e64 v31, v31, v23, s[0:1]
	v_cndmask_b32_e32 v34, v34, v20, vcc
	v_cmp_eq_u32_e32 vcc, 11, v0
	v_cndmask_b32_e32 v31, v31, v25, vcc
	v_cndmask_b32_e64 v34, v34, v22, s[0:1]
	v_cmp_eq_u32_e64 s[0:1], 12, v0
	v_cndmask_b32_e64 v35, v31, v27, s[0:1]
	v_cndmask_b32_e32 v31, v34, v24, vcc
	v_cndmask_b32_e64 v34, v31, v26, s[0:1]
	v_add_u32_e32 v30, 8, v30
	s_waitcnt lgkmcnt(0)
	v_fmac_f64_e32 v[28:29], v[34:35], v[32:33]
	s_andn2_b64 exec, exec, s[6:7]
	s_cbranch_execnz .LBB12_299
; %bb.300:
	s_or_b64 exec, exec, s[6:7]
.LBB12_301:
	s_or_b64 exec, exec, s[4:5]
	v_mov_b32_e32 v0, 0
	ds_read_b64 v[0:1], v0 offset:96
	s_waitcnt lgkmcnt(0)
	v_mul_f64 v[26:27], v[28:29], v[0:1]
.LBB12_302:
	s_or_b64 exec, exec, s[24:25]
	v_pk_mov_b32 v[58:59], v[32:33], v[32:33] op_sel:[0,1]
	v_pk_mov_b32 v[56:57], v[30:31], v[30:31] op_sel:[0,1]
	;; [unrolled: 1-line block ×16, first 2 shown]
.LBB12_303:
	global_store_dwordx2 v[60:61], v[28:29], off
	global_store_dwordx2 v[62:63], v[30:31], off
	;; [unrolled: 1-line block ×13, first 2 shown]
.LBB12_304:
	s_endpgm
	.section	.rodata,"a",@progbits
	.p2align	6, 0x0
	.amdhsa_kernel _ZN9rocsolver6v33100L18trti2_kernel_smallILi13EdPdEEv13rocblas_fill_17rocblas_diagonal_T1_iil
		.amdhsa_group_segment_fixed_size 216
		.amdhsa_private_segment_fixed_size 0
		.amdhsa_kernarg_size 32
		.amdhsa_user_sgpr_count 6
		.amdhsa_user_sgpr_private_segment_buffer 1
		.amdhsa_user_sgpr_dispatch_ptr 0
		.amdhsa_user_sgpr_queue_ptr 0
		.amdhsa_user_sgpr_kernarg_segment_ptr 1
		.amdhsa_user_sgpr_dispatch_id 0
		.amdhsa_user_sgpr_flat_scratch_init 0
		.amdhsa_user_sgpr_kernarg_preload_length 0
		.amdhsa_user_sgpr_kernarg_preload_offset 0
		.amdhsa_user_sgpr_private_segment_size 0
		.amdhsa_uses_dynamic_stack 0
		.amdhsa_system_sgpr_private_segment_wavefront_offset 0
		.amdhsa_system_sgpr_workgroup_id_x 1
		.amdhsa_system_sgpr_workgroup_id_y 0
		.amdhsa_system_sgpr_workgroup_id_z 0
		.amdhsa_system_sgpr_workgroup_info 0
		.amdhsa_system_vgpr_workitem_id 0
		.amdhsa_next_free_vgpr 114
		.amdhsa_next_free_sgpr 44
		.amdhsa_accum_offset 116
		.amdhsa_reserve_vcc 1
		.amdhsa_reserve_flat_scratch 0
		.amdhsa_float_round_mode_32 0
		.amdhsa_float_round_mode_16_64 0
		.amdhsa_float_denorm_mode_32 3
		.amdhsa_float_denorm_mode_16_64 3
		.amdhsa_dx10_clamp 1
		.amdhsa_ieee_mode 1
		.amdhsa_fp16_overflow 0
		.amdhsa_tg_split 0
		.amdhsa_exception_fp_ieee_invalid_op 0
		.amdhsa_exception_fp_denorm_src 0
		.amdhsa_exception_fp_ieee_div_zero 0
		.amdhsa_exception_fp_ieee_overflow 0
		.amdhsa_exception_fp_ieee_underflow 0
		.amdhsa_exception_fp_ieee_inexact 0
		.amdhsa_exception_int_div_zero 0
	.end_amdhsa_kernel
	.section	.text._ZN9rocsolver6v33100L18trti2_kernel_smallILi13EdPdEEv13rocblas_fill_17rocblas_diagonal_T1_iil,"axG",@progbits,_ZN9rocsolver6v33100L18trti2_kernel_smallILi13EdPdEEv13rocblas_fill_17rocblas_diagonal_T1_iil,comdat
.Lfunc_end12:
	.size	_ZN9rocsolver6v33100L18trti2_kernel_smallILi13EdPdEEv13rocblas_fill_17rocblas_diagonal_T1_iil, .Lfunc_end12-_ZN9rocsolver6v33100L18trti2_kernel_smallILi13EdPdEEv13rocblas_fill_17rocblas_diagonal_T1_iil
                                        ; -- End function
	.section	.AMDGPU.csdata,"",@progbits
; Kernel info:
; codeLenInByte = 24296
; NumSgprs: 48
; NumVgprs: 114
; NumAgprs: 0
; TotalNumVgprs: 114
; ScratchSize: 0
; MemoryBound: 0
; FloatMode: 240
; IeeeMode: 1
; LDSByteSize: 216 bytes/workgroup (compile time only)
; SGPRBlocks: 5
; VGPRBlocks: 14
; NumSGPRsForWavesPerEU: 48
; NumVGPRsForWavesPerEU: 114
; AccumOffset: 116
; Occupancy: 4
; WaveLimiterHint : 0
; COMPUTE_PGM_RSRC2:SCRATCH_EN: 0
; COMPUTE_PGM_RSRC2:USER_SGPR: 6
; COMPUTE_PGM_RSRC2:TRAP_HANDLER: 0
; COMPUTE_PGM_RSRC2:TGID_X_EN: 1
; COMPUTE_PGM_RSRC2:TGID_Y_EN: 0
; COMPUTE_PGM_RSRC2:TGID_Z_EN: 0
; COMPUTE_PGM_RSRC2:TIDIG_COMP_CNT: 0
; COMPUTE_PGM_RSRC3_GFX90A:ACCUM_OFFSET: 28
; COMPUTE_PGM_RSRC3_GFX90A:TG_SPLIT: 0
	.section	.text._ZN9rocsolver6v33100L18trti2_kernel_smallILi14EdPdEEv13rocblas_fill_17rocblas_diagonal_T1_iil,"axG",@progbits,_ZN9rocsolver6v33100L18trti2_kernel_smallILi14EdPdEEv13rocblas_fill_17rocblas_diagonal_T1_iil,comdat
	.globl	_ZN9rocsolver6v33100L18trti2_kernel_smallILi14EdPdEEv13rocblas_fill_17rocblas_diagonal_T1_iil ; -- Begin function _ZN9rocsolver6v33100L18trti2_kernel_smallILi14EdPdEEv13rocblas_fill_17rocblas_diagonal_T1_iil
	.p2align	8
	.type	_ZN9rocsolver6v33100L18trti2_kernel_smallILi14EdPdEEv13rocblas_fill_17rocblas_diagonal_T1_iil,@function
_ZN9rocsolver6v33100L18trti2_kernel_smallILi14EdPdEEv13rocblas_fill_17rocblas_diagonal_T1_iil: ; @_ZN9rocsolver6v33100L18trti2_kernel_smallILi14EdPdEEv13rocblas_fill_17rocblas_diagonal_T1_iil
; %bb.0:
	v_cmp_gt_u32_e32 vcc, 14, v0
	s_and_saveexec_b64 s[0:1], vcc
	s_cbranch_execz .LBB13_330
; %bb.1:
	s_load_dwordx8 s[36:43], s[4:5], 0x0
	s_ashr_i32 s2, s6, 31
	v_lshlrev_b32_e32 v32, 3, v0
	v_mov_b32_e32 v30, 0
	v_mov_b32_e32 v31, 0xbff00000
	s_waitcnt lgkmcnt(0)
	s_mul_i32 s3, s6, s43
	s_mul_hi_u32 s4, s6, s42
	s_add_i32 s3, s4, s3
	s_mul_i32 s2, s2, s42
	s_add_i32 s3, s3, s2
	s_mul_i32 s2, s6, s42
	s_ashr_i32 s1, s40, 31
	s_lshl_b64 s[2:3], s[2:3], 3
	s_mov_b32 s0, s40
	s_add_u32 s2, s38, s2
	s_addc_u32 s3, s39, s3
	s_lshl_b64 s[0:1], s[0:1], 3
	s_add_u32 s0, s2, s0
	s_addc_u32 s1, s3, s1
	v_mov_b32_e32 v1, s1
	v_add_co_u32_e32 v62, vcc, s0, v32
	s_ashr_i32 s3, s41, 31
	s_mov_b32 s2, s41
	v_addc_co_u32_e32 v63, vcc, 0, v1, vcc
	s_lshl_b64 s[2:3], s[2:3], 3
	v_add_co_u32_e32 v64, vcc, s2, v62
	s_add_i32 s2, s41, s41
	v_add_u32_e32 v2, s2, v0
	v_mov_b32_e32 v1, s3
	v_ashrrev_i32_e32 v3, 31, v2
	v_addc_co_u32_e32 v65, vcc, v63, v1, vcc
	v_lshlrev_b64 v[4:5], 3, v[2:3]
	v_add_u32_e32 v2, s41, v2
	v_mov_b32_e32 v1, s1
	v_add_co_u32_e32 v66, vcc, s0, v4
	v_ashrrev_i32_e32 v3, 31, v2
	v_addc_co_u32_e32 v67, vcc, v1, v5, vcc
	v_lshlrev_b64 v[4:5], 3, v[2:3]
	v_add_u32_e32 v2, s41, v2
	v_add_co_u32_e32 v68, vcc, s0, v4
	v_ashrrev_i32_e32 v3, 31, v2
	v_addc_co_u32_e32 v69, vcc, v1, v5, vcc
	v_lshlrev_b64 v[4:5], 3, v[2:3]
	v_add_u32_e32 v2, s41, v2
	;; [unrolled: 5-line block ×10, first 2 shown]
	v_add_co_u32_e32 v86, vcc, s0, v4
	v_ashrrev_i32_e32 v3, 31, v2
	v_addc_co_u32_e32 v87, vcc, v1, v5, vcc
	v_lshlrev_b64 v[2:3], 3, v[2:3]
	v_add_co_u32_e32 v88, vcc, s0, v2
	v_addc_co_u32_e32 v89, vcc, v1, v3, vcc
	global_load_dwordx2 v[4:5], v[64:65], off
	global_load_dwordx2 v[6:7], v[66:67], off
	;; [unrolled: 1-line block ×12, first 2 shown]
	global_load_dwordx2 v[2:3], v32, s[0:1]
	global_load_dwordx2 v[28:29], v[88:89], off
	s_cmpk_lg_i32 s37, 0x84
	v_mov_b32_e32 v1, 0
	s_cselect_b64 s[28:29], -1, 0
	s_cmpk_eq_i32 s37, 0x84
	v_cmp_eq_u32_e64 s[0:1], 0, v0
	s_cbranch_scc1 .LBB13_3
; %bb.2:
	v_cmp_eq_u32_e64 s[2:3], 1, v0
	s_waitcnt vmcnt(1)
	v_cndmask_b32_e64 v30, v3, v5, s[2:3]
	v_cmp_eq_u32_e64 s[4:5], 2, v0
	v_cndmask_b32_e64 v30, v30, v7, s[4:5]
	v_cmp_eq_u32_e64 s[6:7], 3, v0
	;; [unrolled: 2-line block ×12, first 2 shown]
	s_waitcnt vmcnt(0)
	v_cndmask_b32_e64 v31, v30, v29, s[26:27]
	v_cndmask_b32_e64 v30, v2, v4, s[2:3]
	;; [unrolled: 1-line block ×14, first 2 shown]
	v_div_scale_f64 v[34:35], s[30:31], v[30:31], v[30:31], 1.0
	v_rcp_f64_e32 v[36:37], v[34:35]
	v_fma_f64 v[38:39], -v[34:35], v[36:37], 1.0
	v_fmac_f64_e32 v[36:37], v[36:37], v[38:39]
	v_fma_f64 v[38:39], -v[34:35], v[36:37], 1.0
	v_fmac_f64_e32 v[36:37], v[36:37], v[38:39]
	v_div_scale_f64 v[38:39], vcc, 1.0, v[30:31], 1.0
	v_mul_f64 v[40:41], v[38:39], v[36:37]
	v_fma_f64 v[34:35], -v[34:35], v[40:41], v[38:39]
	s_nop 1
	v_div_fmas_f64 v[34:35], v[34:35], v[36:37], v[40:41]
	v_div_fixup_f64 v[30:31], v[34:35], v[30:31], 1.0
	v_cndmask_b32_e64 v29, v29, v31, s[26:27]
	v_cndmask_b32_e64 v28, v28, v30, s[26:27]
	;; [unrolled: 1-line block ×28, first 2 shown]
	v_xor_b32_e32 v31, 0x80000000, v31
.LBB13_3:
	s_cmpk_eq_i32 s36, 0x79
	v_add_u32_e32 v93, 0x70, v32
	ds_write_b64 v32, v[30:31]
	s_cbranch_scc1 .LBB13_7
; %bb.4:
	s_waitcnt vmcnt(0)
	v_pk_mov_b32 v[60:61], v[32:33], v[32:33] op_sel:[0,1]
	v_cmp_eq_u32_e64 s[0:1], 13, v0
	v_pk_mov_b32 v[58:59], v[30:31], v[30:31] op_sel:[0,1]
	v_pk_mov_b32 v[56:57], v[28:29], v[28:29] op_sel:[0,1]
	;; [unrolled: 1-line block ×15, first 2 shown]
	ds_write_b64 v93, v[26:27]
	s_waitcnt lgkmcnt(0)
	; wave barrier
	s_waitcnt lgkmcnt(0)
	s_and_saveexec_b64 s[26:27], s[0:1]
	s_cbranch_execz .LBB13_11
; %bb.5:
	s_and_b64 vcc, exec, s[28:29]
	s_cbranch_vccz .LBB13_8
; %bb.6:
	v_cmp_eq_u32_e32 vcc, 1, v0
	v_cndmask_b32_e32 v30, v3, v5, vcc
	v_cmp_eq_u32_e64 s[2:3], 2, v0
	v_cndmask_b32_e64 v30, v30, v7, s[2:3]
	v_cmp_eq_u32_e64 s[4:5], 3, v0
	v_cndmask_b32_e64 v30, v30, v9, s[4:5]
	;; [unrolled: 2-line block ×12, first 2 shown]
	v_cndmask_b32_e32 v30, v2, v4, vcc
	v_cndmask_b32_e64 v30, v30, v6, s[2:3]
	v_cndmask_b32_e64 v30, v30, v8, s[4:5]
	;; [unrolled: 1-line block ×8, first 2 shown]
	ds_read_b64 v[32:33], v93
	v_cndmask_b32_e64 v30, v30, v22, s[18:19]
	v_cndmask_b32_e64 v30, v30, v24, s[20:21]
	;; [unrolled: 1-line block ×4, first 2 shown]
	s_waitcnt lgkmcnt(0)
	v_mul_f64 v[34:35], v[30:31], v[32:33]
	s_cbranch_execz .LBB13_9
	s_branch .LBB13_10
.LBB13_7:
                                        ; implicit-def: $vgpr30_vgpr31_vgpr32_vgpr33_vgpr34_vgpr35_vgpr36_vgpr37_vgpr38_vgpr39_vgpr40_vgpr41_vgpr42_vgpr43_vgpr44_vgpr45_vgpr46_vgpr47_vgpr48_vgpr49_vgpr50_vgpr51_vgpr52_vgpr53_vgpr54_vgpr55_vgpr56_vgpr57_vgpr58_vgpr59_vgpr60_vgpr61
	s_cbranch_execnz .LBB13_194
	s_branch .LBB13_329
.LBB13_8:
                                        ; implicit-def: $vgpr34_vgpr35
.LBB13_9:
	ds_read_b64 v[34:35], v93
.LBB13_10:
	v_mov_b32_e32 v30, 0
	ds_read_b64 v[36:37], v30 offset:96
	v_mov_b32_e32 v30, v2
	v_mov_b32_e32 v31, v3
	;; [unrolled: 1-line block ×4, first 2 shown]
	s_waitcnt lgkmcnt(0)
	v_mul_f64 v[54:55], v[34:35], v[36:37]
	v_mov_b32_e32 v34, v6
	v_mov_b32_e32 v35, v7
	v_mov_b32_e32 v36, v8
	v_mov_b32_e32 v37, v9
	v_mov_b32_e32 v38, v10
	v_mov_b32_e32 v39, v11
	v_mov_b32_e32 v40, v12
	v_mov_b32_e32 v41, v13
	v_mov_b32_e32 v42, v14
	v_mov_b32_e32 v43, v15
	v_mov_b32_e32 v44, v16
	v_mov_b32_e32 v45, v17
	v_mov_b32_e32 v46, v18
	v_mov_b32_e32 v47, v19
	v_mov_b32_e32 v48, v20
	v_mov_b32_e32 v49, v21
	v_mov_b32_e32 v50, v22
	v_mov_b32_e32 v51, v23
	v_mov_b32_e32 v52, v24
	v_mov_b32_e32 v53, v25
	v_mov_b32_e32 v56, v28
	v_mov_b32_e32 v57, v29
.LBB13_11:
	s_or_b64 exec, exec, s[26:27]
	v_cmp_lt_u32_e64 s[2:3], 11, v0
	ds_write_b64 v93, v[52:53]
	s_waitcnt lgkmcnt(0)
	; wave barrier
	s_waitcnt lgkmcnt(0)
	s_and_saveexec_b64 s[30:31], s[2:3]
	s_cbranch_execz .LBB13_17
; %bb.12:
	s_andn2_b64 vcc, exec, s[28:29]
	s_cbranch_vccnz .LBB13_14
; %bb.13:
	v_cmp_eq_u32_e32 vcc, 1, v0
	v_cndmask_b32_e32 v58, v31, v33, vcc
	v_cmp_eq_u32_e64 s[4:5], 2, v0
	v_cndmask_b32_e64 v58, v58, v35, s[4:5]
	v_cmp_eq_u32_e64 s[6:7], 3, v0
	v_cndmask_b32_e64 v58, v58, v37, s[6:7]
	;; [unrolled: 2-line block ×10, first 2 shown]
	v_cndmask_b32_e32 v58, v30, v32, vcc
	v_cndmask_b32_e64 v58, v58, v34, s[4:5]
	v_cndmask_b32_e64 v58, v58, v36, s[6:7]
	;; [unrolled: 1-line block ×8, first 2 shown]
	ds_read_b64 v[58:59], v93
	v_cndmask_b32_e64 v60, v60, v50, s[20:21]
	v_cmp_eq_u32_e64 s[24:25], 12, v0
	v_cndmask_b32_e64 v52, v60, v52, s[22:23]
	v_cndmask_b32_e64 v53, v53, v55, s[24:25]
	v_cmp_eq_u32_e64 s[26:27], 13, v0
	v_cndmask_b32_e64 v52, v52, v54, s[24:25]
	v_cndmask_b32_e64 v53, v53, v57, s[26:27]
	;; [unrolled: 1-line block ×3, first 2 shown]
	s_waitcnt lgkmcnt(0)
	v_mul_f64 v[52:53], v[52:53], v[58:59]
	s_cbranch_execz .LBB13_15
	s_branch .LBB13_16
.LBB13_14:
                                        ; implicit-def: $vgpr52_vgpr53
.LBB13_15:
	ds_read_b64 v[52:53], v93
.LBB13_16:
	v_mov_b32_e32 v58, 0
	ds_read2_b64 v[58:61], v58 offset0:11 offset1:26
	s_waitcnt lgkmcnt(0)
	v_fma_f64 v[60:61], v[54:55], v[60:61], v[52:53]
	v_cndmask_b32_e64 v53, v53, v61, s[0:1]
	v_cndmask_b32_e64 v52, v52, v60, s[0:1]
	v_mul_f64 v[52:53], v[52:53], v[58:59]
.LBB13_17:
	s_or_b64 exec, exec, s[30:31]
	v_cmp_lt_u32_e64 s[0:1], 10, v0
	ds_write_b64 v93, v[50:51]
	s_waitcnt lgkmcnt(0)
	; wave barrier
	s_waitcnt lgkmcnt(0)
	s_and_saveexec_b64 s[30:31], s[0:1]
	s_cbranch_execz .LBB13_33
; %bb.18:
	s_andn2_b64 vcc, exec, s[28:29]
	s_cbranch_vccnz .LBB13_20
; %bb.19:
	v_cmp_eq_u32_e32 vcc, 1, v0
	v_cndmask_b32_e32 v90, v31, v33, vcc
	v_cmp_eq_u32_e64 s[4:5], 2, v0
	v_cndmask_b32_e64 v90, v90, v35, s[4:5]
	v_cmp_eq_u32_e64 s[6:7], 3, v0
	v_cndmask_b32_e64 v90, v90, v37, s[6:7]
	v_cmp_eq_u32_e64 s[8:9], 4, v0
	v_cndmask_b32_e64 v90, v90, v39, s[8:9]
	v_cmp_eq_u32_e64 s[10:11], 5, v0
	v_cndmask_b32_e64 v90, v90, v41, s[10:11]
	v_cmp_eq_u32_e64 s[12:13], 6, v0
	v_cndmask_b32_e64 v90, v90, v43, s[12:13]
	v_cmp_eq_u32_e64 s[14:15], 7, v0
	v_cndmask_b32_e64 v90, v90, v45, s[14:15]
	v_cmp_eq_u32_e64 s[16:17], 8, v0
	v_cndmask_b32_e64 v90, v90, v47, s[16:17]
	v_cmp_eq_u32_e64 s[18:19], 9, v0
	v_cndmask_b32_e64 v90, v90, v49, s[18:19]
	v_cmp_eq_u32_e64 s[20:21], 10, v0
	v_cndmask_b32_e64 v90, v90, v51, s[20:21]
	v_cmp_eq_u32_e64 s[22:23], 11, v0
	v_cndmask_b32_e64 v90, v90, v53, s[22:23]
	v_cmp_eq_u32_e64 s[24:25], 12, v0
	v_cndmask_b32_e64 v90, v90, v55, s[24:25]
	v_cmp_eq_u32_e64 s[26:27], 13, v0
	v_cndmask_b32_e64 v91, v90, v57, s[26:27]
	v_cndmask_b32_e32 v90, v30, v32, vcc
	v_cndmask_b32_e64 v90, v90, v34, s[4:5]
	v_cndmask_b32_e64 v90, v90, v36, s[6:7]
	;; [unrolled: 1-line block ×8, first 2 shown]
	ds_read_b64 v[94:95], v93
	v_cndmask_b32_e64 v90, v90, v50, s[20:21]
	v_cndmask_b32_e64 v90, v90, v52, s[22:23]
	;; [unrolled: 1-line block ×4, first 2 shown]
	s_waitcnt lgkmcnt(0)
	v_mul_f64 v[90:91], v[90:91], v[94:95]
	s_cbranch_execz .LBB13_21
	s_branch .LBB13_22
.LBB13_20:
                                        ; implicit-def: $vgpr90_vgpr91
.LBB13_21:
	ds_read_b64 v[90:91], v93
.LBB13_22:
	s_and_saveexec_b64 s[6:7], s[2:3]
	s_cbranch_execz .LBB13_32
; %bb.23:
	v_add_u32_e32 v92, -12, v0
	v_add_u32_e32 v95, -11, v0
	v_cmp_lt_u32_e32 vcc, 6, v92
	v_mov_b32_e32 v92, 11
	s_and_saveexec_b64 s[2:3], vcc
	s_cbranch_execz .LBB13_27
; %bb.24:
	v_and_b32_e32 v92, -8, v95
	v_sub_u32_e32 v94, 0, v92
	s_mov_b64 s[4:5], 18
	s_movk_i32 s10, 0xc8
	s_mov_b64 s[8:9], 0
.LBB13_25:                              ; =>This Inner Loop Header: Depth=1
	s_lshl_b32 s11, s4, 1
	s_add_i32 s12, s11, -13
	v_mov_b32_e32 v110, s10
	s_add_i32 s13, s11, -14
	s_set_gpr_idx_on s12, gpr_idx(SRC0)
	v_mov_b32_e32 v105, v30
	s_set_gpr_idx_off
	s_add_i32 s14, s11, -11
	s_set_gpr_idx_on s13, gpr_idx(SRC0)
	v_mov_b32_e32 v104, v30
	s_set_gpr_idx_off
	ds_read2_b64 v[96:99], v110 offset1:1
	s_add_i32 s15, s11, -12
	s_set_gpr_idx_on s14, gpr_idx(SRC0)
	v_mov_b32_e32 v107, v30
	s_set_gpr_idx_off
	s_add_i32 s16, s11, -9
	s_set_gpr_idx_on s15, gpr_idx(SRC0)
	v_mov_b32_e32 v106, v30
	s_set_gpr_idx_off
	;; [unrolled: 4-line block ×4, first 2 shown]
	ds_read2_b64 v[100:103], v110 offset0:2 offset1:3
	s_add_i32 s19, s11, -8
	s_waitcnt lgkmcnt(1)
	v_fmac_f64_e32 v[90:91], v[104:105], v[96:97]
	s_set_gpr_idx_on s18, gpr_idx(SRC0)
	v_mov_b32_e32 v105, v30
	s_set_gpr_idx_off
	s_add_i32 s20, s11, -5
	v_fmac_f64_e32 v[90:91], v[106:107], v[98:99]
	s_set_gpr_idx_on s19, gpr_idx(SRC0)
	v_mov_b32_e32 v104, v30
	s_set_gpr_idx_off
	s_add_i32 s21, s11, -6
	s_set_gpr_idx_on s20, gpr_idx(SRC0)
	v_mov_b32_e32 v107, v30
	s_set_gpr_idx_off
	s_add_i32 s22, s11, -3
	;; [unrolled: 4-line block ×3, first 2 shown]
	ds_read2_b64 v[96:99], v110 offset0:4 offset1:5
	s_waitcnt lgkmcnt(1)
	v_fmac_f64_e32 v[90:91], v[108:109], v[100:101]
	s_set_gpr_idx_on s22, gpr_idx(SRC0)
	v_mov_b32_e32 v109, v30
	s_set_gpr_idx_off
	s_add_i32 s24, s11, -1
	v_fmac_f64_e32 v[90:91], v[104:105], v[102:103]
	s_set_gpr_idx_on s23, gpr_idx(SRC0)
	v_mov_b32_e32 v108, v30
	s_set_gpr_idx_off
	s_add_i32 s25, s11, -2
	s_set_gpr_idx_on s24, gpr_idx(SRC0)
	v_mov_b32_e32 v105, v30
	s_set_gpr_idx_off
	s_set_gpr_idx_on s25, gpr_idx(SRC0)
	v_mov_b32_e32 v104, v30
	s_set_gpr_idx_off
	ds_read2_b64 v[100:103], v110 offset0:6 offset1:7
	s_add_u32 s4, s4, 8
	s_waitcnt lgkmcnt(1)
	v_fmac_f64_e32 v[90:91], v[106:107], v[96:97]
	s_set_gpr_idx_on s11, gpr_idx(SRC0)
	v_mov_b32_e32 v97, v31
	s_set_gpr_idx_off
	v_add_u32_e32 v92, s4, v94
	v_fmac_f64_e32 v[90:91], v[108:109], v[98:99]
	s_set_gpr_idx_on s11, gpr_idx(SRC0)
	v_mov_b32_e32 v96, v30
	s_set_gpr_idx_off
	s_addc_u32 s5, s5, 0
	s_add_i32 s10, s10, 64
	s_add_i32 s12, s4, -7
	v_cmp_eq_u32_e32 vcc, 18, v92
	s_waitcnt lgkmcnt(0)
	v_fmac_f64_e32 v[90:91], v[104:105], v[100:101]
	v_mov_b32_e32 v92, s12
	s_or_b64 s[8:9], vcc, s[8:9]
	v_fmac_f64_e32 v[90:91], v[96:97], v[102:103]
	s_andn2_b64 exec, exec, s[8:9]
	s_cbranch_execnz .LBB13_25
; %bb.26:
	s_or_b64 exec, exec, s[8:9]
.LBB13_27:
	s_or_b64 exec, exec, s[2:3]
	v_and_b32_e32 v58, 7, v95
	v_cmp_ne_u32_e32 vcc, 0, v58
	s_and_saveexec_b64 s[8:9], vcc
	s_cbranch_execz .LBB13_31
; %bb.28:
	v_mov_b32_e32 v59, 0x70
	v_lshl_add_u32 v60, v92, 3, v59
	v_mov_b32_e32 v59, 0
	s_mov_b64 s[10:11], 0
.LBB13_29:                              ; =>This Inner Loop Header: Depth=1
	v_cmp_eq_u32_e32 vcc, 1, v92
	v_cndmask_b32_e32 v61, v31, v33, vcc
	v_add_u32_e32 v58, -1, v58
	v_cmp_eq_u32_e64 s[2:3], 2, v92
	v_cndmask_b32_e64 v61, v61, v35, s[2:3]
	v_cndmask_b32_e32 v96, v30, v32, vcc
	v_cmp_eq_u32_e32 vcc, 0, v58
	v_cmp_eq_u32_e64 s[4:5], 3, v92
	v_cndmask_b32_e64 v61, v61, v37, s[4:5]
	v_cndmask_b32_e64 v96, v96, v34, s[2:3]
	s_or_b64 s[10:11], vcc, s[10:11]
	v_cmp_eq_u32_e32 vcc, 4, v92
	v_cndmask_b32_e32 v61, v61, v39, vcc
	v_cndmask_b32_e64 v96, v96, v36, s[4:5]
	v_cmp_eq_u32_e64 s[2:3], 5, v92
	v_cndmask_b32_e64 v61, v61, v41, s[2:3]
	v_cndmask_b32_e32 v96, v96, v38, vcc
	v_cmp_eq_u32_e32 vcc, 6, v92
	v_cndmask_b32_e32 v61, v61, v43, vcc
	v_cndmask_b32_e64 v96, v96, v40, s[2:3]
	v_cmp_eq_u32_e64 s[2:3], 7, v92
	v_cndmask_b32_e64 v61, v61, v45, s[2:3]
	v_cndmask_b32_e32 v96, v96, v42, vcc
	;; [unrolled: 6-line block ×3, first 2 shown]
	v_cmp_eq_u32_e32 vcc, 10, v92
	ds_read_b64 v[94:95], v60
	v_cndmask_b32_e32 v61, v61, v51, vcc
	v_cndmask_b32_e64 v96, v96, v48, s[2:3]
	v_cmp_eq_u32_e64 s[2:3], 11, v92
	v_cndmask_b32_e64 v61, v61, v53, s[2:3]
	v_cndmask_b32_e32 v96, v96, v50, vcc
	v_cmp_eq_u32_e32 vcc, 12, v92
	v_cndmask_b32_e32 v61, v61, v55, vcc
	v_cmp_eq_u32_e64 s[4:5], 13, v92
	v_cndmask_b32_e64 v96, v96, v52, s[2:3]
	v_cndmask_b32_e64 v97, v61, v57, s[4:5]
	v_cndmask_b32_e32 v61, v96, v54, vcc
	v_add_co_u32_e64 v92, s[2:3], 1, v92
	v_cndmask_b32_e64 v96, v61, v56, s[4:5]
	v_add_u32_e32 v60, 8, v60
	v_addc_co_u32_e64 v59, s[2:3], 0, v59, s[2:3]
	s_waitcnt lgkmcnt(0)
	v_fmac_f64_e32 v[90:91], v[96:97], v[94:95]
	s_andn2_b64 exec, exec, s[10:11]
	s_cbranch_execnz .LBB13_29
; %bb.30:
	s_or_b64 exec, exec, s[10:11]
.LBB13_31:
	s_or_b64 exec, exec, s[8:9]
.LBB13_32:
	s_or_b64 exec, exec, s[6:7]
	v_mov_b32_e32 v50, 0
	ds_read_b64 v[50:51], v50 offset:80
	s_waitcnt lgkmcnt(0)
	v_mul_f64 v[50:51], v[90:91], v[50:51]
.LBB13_33:
	s_or_b64 exec, exec, s[30:31]
	v_cmp_lt_u32_e64 s[2:3], 9, v0
	ds_write_b64 v93, v[48:49]
	s_waitcnt lgkmcnt(0)
	; wave barrier
	s_waitcnt lgkmcnt(0)
	s_and_saveexec_b64 s[30:31], s[2:3]
	s_cbranch_execz .LBB13_49
; %bb.34:
	s_andn2_b64 vcc, exec, s[28:29]
	s_cbranch_vccnz .LBB13_36
; %bb.35:
	v_cmp_eq_u32_e32 vcc, 1, v0
	v_cndmask_b32_e32 v90, v31, v33, vcc
	v_cmp_eq_u32_e64 s[4:5], 2, v0
	v_cndmask_b32_e64 v90, v90, v35, s[4:5]
	v_cmp_eq_u32_e64 s[6:7], 3, v0
	v_cndmask_b32_e64 v90, v90, v37, s[6:7]
	;; [unrolled: 2-line block ×12, first 2 shown]
	v_cndmask_b32_e32 v90, v30, v32, vcc
	v_cndmask_b32_e64 v90, v90, v34, s[4:5]
	v_cndmask_b32_e64 v90, v90, v36, s[6:7]
	v_cndmask_b32_e64 v90, v90, v38, s[8:9]
	v_cndmask_b32_e64 v90, v90, v40, s[10:11]
	v_cndmask_b32_e64 v90, v90, v42, s[12:13]
	v_cndmask_b32_e64 v90, v90, v44, s[14:15]
	v_cndmask_b32_e64 v90, v90, v46, s[16:17]
	v_cndmask_b32_e64 v90, v90, v48, s[18:19]
	ds_read_b64 v[94:95], v93
	v_cndmask_b32_e64 v90, v90, v50, s[20:21]
	v_cndmask_b32_e64 v90, v90, v52, s[22:23]
	;; [unrolled: 1-line block ×4, first 2 shown]
	s_waitcnt lgkmcnt(0)
	v_mul_f64 v[90:91], v[90:91], v[94:95]
	s_cbranch_execz .LBB13_37
	s_branch .LBB13_38
.LBB13_36:
                                        ; implicit-def: $vgpr90_vgpr91
.LBB13_37:
	ds_read_b64 v[90:91], v93
.LBB13_38:
	s_and_saveexec_b64 s[6:7], s[0:1]
	s_cbranch_execz .LBB13_48
; %bb.39:
	v_add_u32_e32 v92, -11, v0
	v_add_u32_e32 v95, -10, v0
	v_cmp_lt_u32_e32 vcc, 6, v92
	v_mov_b32_e32 v92, 10
	s_and_saveexec_b64 s[0:1], vcc
	s_cbranch_execz .LBB13_43
; %bb.40:
	v_and_b32_e32 v92, -8, v95
	v_sub_u32_e32 v94, 0, v92
	s_mov_b64 s[4:5], 17
	s_movk_i32 s10, 0xc0
	s_mov_b64 s[8:9], 0
.LBB13_41:                              ; =>This Inner Loop Header: Depth=1
	s_lshl_b32 s11, s4, 1
	s_add_i32 s12, s11, -13
	s_add_i32 s13, s11, -14
	s_set_gpr_idx_on s12, gpr_idx(SRC0)
	v_mov_b32_e32 v113, v30
	s_set_gpr_idx_off
	v_mov_b32_e32 v92, s10
	s_add_i32 s14, s11, -11
	s_set_gpr_idx_on s13, gpr_idx(SRC0)
	v_mov_b32_e32 v112, v30
	s_set_gpr_idx_off
	s_add_i32 s15, s11, -12
	ds_read_b128 v[96:99], v92
	ds_read_b128 v[100:103], v92 offset:16
	ds_read_b128 v[104:107], v92 offset:32
	;; [unrolled: 1-line block ×3, first 2 shown]
	s_set_gpr_idx_on s14, gpr_idx(SRC0)
	v_mov_b32_e32 v115, v30
	s_set_gpr_idx_off
	s_add_i32 s16, s11, -9
	s_set_gpr_idx_on s15, gpr_idx(SRC0)
	v_mov_b32_e32 v114, v30
	s_set_gpr_idx_off
	s_add_i32 s17, s11, -10
	;; [unrolled: 4-line block ×4, first 2 shown]
	s_waitcnt lgkmcnt(3)
	v_fmac_f64_e32 v[90:91], v[112:113], v[96:97]
	s_set_gpr_idx_on s18, gpr_idx(SRC0)
	v_mov_b32_e32 v97, v30
	s_set_gpr_idx_off
	s_add_i32 s20, s11, -5
	v_fmac_f64_e32 v[90:91], v[114:115], v[98:99]
	s_set_gpr_idx_on s19, gpr_idx(SRC0)
	v_mov_b32_e32 v96, v30
	s_set_gpr_idx_off
	s_add_i32 s21, s11, -6
	s_waitcnt lgkmcnt(2)
	v_fmac_f64_e32 v[90:91], v[116:117], v[100:101]
	s_set_gpr_idx_on s20, gpr_idx(SRC0)
	v_mov_b32_e32 v99, v30
	s_set_gpr_idx_off
	s_add_i32 s22, s11, -3
	v_fmac_f64_e32 v[90:91], v[96:97], v[102:103]
	s_set_gpr_idx_on s21, gpr_idx(SRC0)
	v_mov_b32_e32 v98, v30
	s_set_gpr_idx_off
	s_add_i32 s23, s11, -4
	s_waitcnt lgkmcnt(1)
	v_fmac_f64_e32 v[90:91], v[98:99], v[104:105]
	s_set_gpr_idx_on s22, gpr_idx(SRC0)
	v_mov_b32_e32 v97, v30
	s_set_gpr_idx_off
	s_add_i32 s24, s11, -1
	s_set_gpr_idx_on s23, gpr_idx(SRC0)
	v_mov_b32_e32 v96, v30
	s_set_gpr_idx_off
	s_add_i32 s25, s11, -2
	v_fmac_f64_e32 v[90:91], v[96:97], v[106:107]
	s_set_gpr_idx_on s24, gpr_idx(SRC0)
	v_mov_b32_e32 v97, v30
	s_set_gpr_idx_off
	s_add_u32 s4, s4, 8
	s_set_gpr_idx_on s25, gpr_idx(SRC0)
	v_mov_b32_e32 v96, v30
	s_set_gpr_idx_off
	v_add_u32_e32 v92, s4, v94
	s_waitcnt lgkmcnt(0)
	v_fmac_f64_e32 v[90:91], v[96:97], v[108:109]
	s_set_gpr_idx_on s11, gpr_idx(SRC0)
	v_mov_b32_e32 v97, v31
	s_set_gpr_idx_off
	s_addc_u32 s5, s5, 0
	s_add_i32 s10, s10, 64
	s_add_i32 s12, s4, -7
	v_cmp_eq_u32_e32 vcc, 17, v92
	s_set_gpr_idx_on s11, gpr_idx(SRC0)
	v_mov_b32_e32 v96, v30
	s_set_gpr_idx_off
	v_mov_b32_e32 v92, s12
	s_or_b64 s[8:9], vcc, s[8:9]
	v_fmac_f64_e32 v[90:91], v[96:97], v[110:111]
	s_andn2_b64 exec, exec, s[8:9]
	s_cbranch_execnz .LBB13_41
; %bb.42:
	s_or_b64 exec, exec, s[8:9]
.LBB13_43:
	s_or_b64 exec, exec, s[0:1]
	v_and_b32_e32 v58, 7, v95
	v_cmp_ne_u32_e32 vcc, 0, v58
	s_and_saveexec_b64 s[8:9], vcc
	s_cbranch_execz .LBB13_47
; %bb.44:
	v_mov_b32_e32 v59, 0x70
	v_lshl_add_u32 v60, v92, 3, v59
	v_mov_b32_e32 v59, 0
	s_mov_b64 s[10:11], 0
.LBB13_45:                              ; =>This Inner Loop Header: Depth=1
	v_cmp_eq_u32_e32 vcc, 1, v92
	v_cndmask_b32_e32 v61, v31, v33, vcc
	v_add_u32_e32 v58, -1, v58
	v_cmp_eq_u32_e64 s[0:1], 2, v92
	v_cndmask_b32_e64 v61, v61, v35, s[0:1]
	v_cndmask_b32_e32 v96, v30, v32, vcc
	v_cmp_eq_u32_e32 vcc, 0, v58
	v_cmp_eq_u32_e64 s[4:5], 3, v92
	v_cndmask_b32_e64 v61, v61, v37, s[4:5]
	v_cndmask_b32_e64 v96, v96, v34, s[0:1]
	s_or_b64 s[10:11], vcc, s[10:11]
	v_cmp_eq_u32_e32 vcc, 4, v92
	v_cndmask_b32_e32 v61, v61, v39, vcc
	v_cndmask_b32_e64 v96, v96, v36, s[4:5]
	v_cmp_eq_u32_e64 s[0:1], 5, v92
	v_cndmask_b32_e64 v61, v61, v41, s[0:1]
	v_cndmask_b32_e32 v96, v96, v38, vcc
	v_cmp_eq_u32_e32 vcc, 6, v92
	v_cndmask_b32_e32 v61, v61, v43, vcc
	v_cndmask_b32_e64 v96, v96, v40, s[0:1]
	v_cmp_eq_u32_e64 s[0:1], 7, v92
	v_cndmask_b32_e64 v61, v61, v45, s[0:1]
	v_cndmask_b32_e32 v96, v96, v42, vcc
	;; [unrolled: 6-line block ×3, first 2 shown]
	v_cmp_eq_u32_e32 vcc, 10, v92
	ds_read_b64 v[94:95], v60
	v_cndmask_b32_e32 v61, v61, v51, vcc
	v_cndmask_b32_e64 v96, v96, v48, s[0:1]
	v_cmp_eq_u32_e64 s[0:1], 11, v92
	v_cndmask_b32_e64 v61, v61, v53, s[0:1]
	v_cndmask_b32_e32 v96, v96, v50, vcc
	v_cmp_eq_u32_e32 vcc, 12, v92
	v_cndmask_b32_e32 v61, v61, v55, vcc
	v_cmp_eq_u32_e64 s[4:5], 13, v92
	v_cndmask_b32_e64 v96, v96, v52, s[0:1]
	v_cndmask_b32_e64 v97, v61, v57, s[4:5]
	v_cndmask_b32_e32 v61, v96, v54, vcc
	v_add_co_u32_e64 v92, s[0:1], 1, v92
	v_cndmask_b32_e64 v96, v61, v56, s[4:5]
	v_add_u32_e32 v60, 8, v60
	v_addc_co_u32_e64 v59, s[0:1], 0, v59, s[0:1]
	s_waitcnt lgkmcnt(0)
	v_fmac_f64_e32 v[90:91], v[96:97], v[94:95]
	s_andn2_b64 exec, exec, s[10:11]
	s_cbranch_execnz .LBB13_45
; %bb.46:
	s_or_b64 exec, exec, s[10:11]
.LBB13_47:
	s_or_b64 exec, exec, s[8:9]
.LBB13_48:
	s_or_b64 exec, exec, s[6:7]
	v_mov_b32_e32 v48, 0
	ds_read_b64 v[48:49], v48 offset:72
	s_waitcnt lgkmcnt(0)
	v_mul_f64 v[48:49], v[90:91], v[48:49]
.LBB13_49:
	s_or_b64 exec, exec, s[30:31]
	v_cmp_lt_u32_e64 s[0:1], 8, v0
	ds_write_b64 v93, v[46:47]
	s_waitcnt lgkmcnt(0)
	; wave barrier
	s_waitcnt lgkmcnt(0)
	s_and_saveexec_b64 s[30:31], s[0:1]
	s_cbranch_execz .LBB13_65
; %bb.50:
	s_andn2_b64 vcc, exec, s[28:29]
	s_cbranch_vccnz .LBB13_52
; %bb.51:
	v_cmp_eq_u32_e32 vcc, 1, v0
	v_cndmask_b32_e32 v90, v31, v33, vcc
	v_cmp_eq_u32_e64 s[4:5], 2, v0
	v_cndmask_b32_e64 v90, v90, v35, s[4:5]
	v_cmp_eq_u32_e64 s[6:7], 3, v0
	v_cndmask_b32_e64 v90, v90, v37, s[6:7]
	;; [unrolled: 2-line block ×12, first 2 shown]
	v_cndmask_b32_e32 v90, v30, v32, vcc
	v_cndmask_b32_e64 v90, v90, v34, s[4:5]
	v_cndmask_b32_e64 v90, v90, v36, s[6:7]
	;; [unrolled: 1-line block ×8, first 2 shown]
	ds_read_b64 v[94:95], v93
	v_cndmask_b32_e64 v90, v90, v50, s[20:21]
	v_cndmask_b32_e64 v90, v90, v52, s[22:23]
	;; [unrolled: 1-line block ×4, first 2 shown]
	s_waitcnt lgkmcnt(0)
	v_mul_f64 v[90:91], v[90:91], v[94:95]
	s_cbranch_execz .LBB13_53
	s_branch .LBB13_54
.LBB13_52:
                                        ; implicit-def: $vgpr90_vgpr91
.LBB13_53:
	ds_read_b64 v[90:91], v93
.LBB13_54:
	s_and_saveexec_b64 s[6:7], s[2:3]
	s_cbranch_execz .LBB13_64
; %bb.55:
	v_add_u32_e32 v92, -10, v0
	v_add_u32_e32 v95, -9, v0
	v_cmp_lt_u32_e32 vcc, 6, v92
	v_mov_b32_e32 v92, 9
	s_and_saveexec_b64 s[2:3], vcc
	s_cbranch_execz .LBB13_59
; %bb.56:
	v_and_b32_e32 v92, -8, v95
	v_sub_u32_e32 v94, 0, v92
	s_mov_b64 s[4:5], 16
	s_movk_i32 s10, 0xb8
	s_mov_b64 s[8:9], 0
.LBB13_57:                              ; =>This Inner Loop Header: Depth=1
	s_lshl_b32 s11, s4, 1
	s_add_i32 s12, s11, -13
	v_mov_b32_e32 v110, s10
	s_add_i32 s13, s11, -14
	s_set_gpr_idx_on s12, gpr_idx(SRC0)
	v_mov_b32_e32 v105, v30
	s_set_gpr_idx_off
	s_add_i32 s14, s11, -11
	s_set_gpr_idx_on s13, gpr_idx(SRC0)
	v_mov_b32_e32 v104, v30
	s_set_gpr_idx_off
	ds_read2_b64 v[96:99], v110 offset1:1
	s_add_i32 s15, s11, -12
	s_set_gpr_idx_on s14, gpr_idx(SRC0)
	v_mov_b32_e32 v107, v30
	s_set_gpr_idx_off
	s_add_i32 s16, s11, -9
	s_set_gpr_idx_on s15, gpr_idx(SRC0)
	v_mov_b32_e32 v106, v30
	s_set_gpr_idx_off
	;; [unrolled: 4-line block ×4, first 2 shown]
	ds_read2_b64 v[100:103], v110 offset0:2 offset1:3
	s_add_i32 s19, s11, -8
	s_waitcnt lgkmcnt(1)
	v_fmac_f64_e32 v[90:91], v[104:105], v[96:97]
	s_set_gpr_idx_on s18, gpr_idx(SRC0)
	v_mov_b32_e32 v105, v30
	s_set_gpr_idx_off
	s_add_i32 s20, s11, -5
	v_fmac_f64_e32 v[90:91], v[106:107], v[98:99]
	s_set_gpr_idx_on s19, gpr_idx(SRC0)
	v_mov_b32_e32 v104, v30
	s_set_gpr_idx_off
	s_add_i32 s21, s11, -6
	s_set_gpr_idx_on s20, gpr_idx(SRC0)
	v_mov_b32_e32 v107, v30
	s_set_gpr_idx_off
	s_add_i32 s22, s11, -3
	;; [unrolled: 4-line block ×3, first 2 shown]
	ds_read2_b64 v[96:99], v110 offset0:4 offset1:5
	s_waitcnt lgkmcnt(1)
	v_fmac_f64_e32 v[90:91], v[108:109], v[100:101]
	s_set_gpr_idx_on s22, gpr_idx(SRC0)
	v_mov_b32_e32 v109, v30
	s_set_gpr_idx_off
	s_add_i32 s24, s11, -1
	v_fmac_f64_e32 v[90:91], v[104:105], v[102:103]
	s_set_gpr_idx_on s23, gpr_idx(SRC0)
	v_mov_b32_e32 v108, v30
	s_set_gpr_idx_off
	s_add_i32 s25, s11, -2
	s_set_gpr_idx_on s24, gpr_idx(SRC0)
	v_mov_b32_e32 v105, v30
	s_set_gpr_idx_off
	s_set_gpr_idx_on s25, gpr_idx(SRC0)
	v_mov_b32_e32 v104, v30
	s_set_gpr_idx_off
	ds_read2_b64 v[100:103], v110 offset0:6 offset1:7
	s_add_u32 s4, s4, 8
	s_waitcnt lgkmcnt(1)
	v_fmac_f64_e32 v[90:91], v[106:107], v[96:97]
	s_set_gpr_idx_on s11, gpr_idx(SRC0)
	v_mov_b32_e32 v97, v31
	s_set_gpr_idx_off
	v_add_u32_e32 v92, s4, v94
	v_fmac_f64_e32 v[90:91], v[108:109], v[98:99]
	s_set_gpr_idx_on s11, gpr_idx(SRC0)
	v_mov_b32_e32 v96, v30
	s_set_gpr_idx_off
	s_addc_u32 s5, s5, 0
	s_add_i32 s10, s10, 64
	s_add_i32 s12, s4, -7
	v_cmp_eq_u32_e32 vcc, 16, v92
	s_waitcnt lgkmcnt(0)
	v_fmac_f64_e32 v[90:91], v[104:105], v[100:101]
	v_mov_b32_e32 v92, s12
	s_or_b64 s[8:9], vcc, s[8:9]
	v_fmac_f64_e32 v[90:91], v[96:97], v[102:103]
	s_andn2_b64 exec, exec, s[8:9]
	s_cbranch_execnz .LBB13_57
; %bb.58:
	s_or_b64 exec, exec, s[8:9]
.LBB13_59:
	s_or_b64 exec, exec, s[2:3]
	v_and_b32_e32 v58, 7, v95
	v_cmp_ne_u32_e32 vcc, 0, v58
	s_and_saveexec_b64 s[8:9], vcc
	s_cbranch_execz .LBB13_63
; %bb.60:
	v_mov_b32_e32 v59, 0x70
	v_lshl_add_u32 v60, v92, 3, v59
	v_mov_b32_e32 v59, 0
	s_mov_b64 s[10:11], 0
.LBB13_61:                              ; =>This Inner Loop Header: Depth=1
	v_cmp_eq_u32_e32 vcc, 1, v92
	v_cndmask_b32_e32 v61, v31, v33, vcc
	v_add_u32_e32 v58, -1, v58
	v_cmp_eq_u32_e64 s[2:3], 2, v92
	v_cndmask_b32_e64 v61, v61, v35, s[2:3]
	v_cndmask_b32_e32 v96, v30, v32, vcc
	v_cmp_eq_u32_e32 vcc, 0, v58
	v_cmp_eq_u32_e64 s[4:5], 3, v92
	v_cndmask_b32_e64 v61, v61, v37, s[4:5]
	v_cndmask_b32_e64 v96, v96, v34, s[2:3]
	s_or_b64 s[10:11], vcc, s[10:11]
	v_cmp_eq_u32_e32 vcc, 4, v92
	v_cndmask_b32_e32 v61, v61, v39, vcc
	v_cndmask_b32_e64 v96, v96, v36, s[4:5]
	v_cmp_eq_u32_e64 s[2:3], 5, v92
	v_cndmask_b32_e64 v61, v61, v41, s[2:3]
	v_cndmask_b32_e32 v96, v96, v38, vcc
	v_cmp_eq_u32_e32 vcc, 6, v92
	v_cndmask_b32_e32 v61, v61, v43, vcc
	v_cndmask_b32_e64 v96, v96, v40, s[2:3]
	v_cmp_eq_u32_e64 s[2:3], 7, v92
	v_cndmask_b32_e64 v61, v61, v45, s[2:3]
	v_cndmask_b32_e32 v96, v96, v42, vcc
	;; [unrolled: 6-line block ×3, first 2 shown]
	v_cmp_eq_u32_e32 vcc, 10, v92
	ds_read_b64 v[94:95], v60
	v_cndmask_b32_e32 v61, v61, v51, vcc
	v_cndmask_b32_e64 v96, v96, v48, s[2:3]
	v_cmp_eq_u32_e64 s[2:3], 11, v92
	v_cndmask_b32_e64 v61, v61, v53, s[2:3]
	v_cndmask_b32_e32 v96, v96, v50, vcc
	v_cmp_eq_u32_e32 vcc, 12, v92
	v_cndmask_b32_e32 v61, v61, v55, vcc
	v_cmp_eq_u32_e64 s[4:5], 13, v92
	v_cndmask_b32_e64 v96, v96, v52, s[2:3]
	v_cndmask_b32_e64 v97, v61, v57, s[4:5]
	v_cndmask_b32_e32 v61, v96, v54, vcc
	v_add_co_u32_e64 v92, s[2:3], 1, v92
	v_cndmask_b32_e64 v96, v61, v56, s[4:5]
	v_add_u32_e32 v60, 8, v60
	v_addc_co_u32_e64 v59, s[2:3], 0, v59, s[2:3]
	s_waitcnt lgkmcnt(0)
	v_fmac_f64_e32 v[90:91], v[96:97], v[94:95]
	s_andn2_b64 exec, exec, s[10:11]
	s_cbranch_execnz .LBB13_61
; %bb.62:
	s_or_b64 exec, exec, s[10:11]
.LBB13_63:
	s_or_b64 exec, exec, s[8:9]
.LBB13_64:
	s_or_b64 exec, exec, s[6:7]
	v_mov_b32_e32 v46, 0
	ds_read_b64 v[46:47], v46 offset:64
	s_waitcnt lgkmcnt(0)
	v_mul_f64 v[46:47], v[90:91], v[46:47]
.LBB13_65:
	s_or_b64 exec, exec, s[30:31]
	v_cmp_lt_u32_e64 s[2:3], 7, v0
	ds_write_b64 v93, v[44:45]
	s_waitcnt lgkmcnt(0)
	; wave barrier
	s_waitcnt lgkmcnt(0)
	s_and_saveexec_b64 s[30:31], s[2:3]
	s_cbranch_execz .LBB13_81
; %bb.66:
	s_andn2_b64 vcc, exec, s[28:29]
	s_cbranch_vccnz .LBB13_68
; %bb.67:
	v_cmp_eq_u32_e32 vcc, 1, v0
	v_cndmask_b32_e32 v90, v31, v33, vcc
	v_cmp_eq_u32_e64 s[4:5], 2, v0
	v_cndmask_b32_e64 v90, v90, v35, s[4:5]
	v_cmp_eq_u32_e64 s[6:7], 3, v0
	v_cndmask_b32_e64 v90, v90, v37, s[6:7]
	;; [unrolled: 2-line block ×12, first 2 shown]
	v_cndmask_b32_e32 v90, v30, v32, vcc
	v_cndmask_b32_e64 v90, v90, v34, s[4:5]
	v_cndmask_b32_e64 v90, v90, v36, s[6:7]
	;; [unrolled: 1-line block ×8, first 2 shown]
	ds_read_b64 v[94:95], v93
	v_cndmask_b32_e64 v90, v90, v50, s[20:21]
	v_cndmask_b32_e64 v90, v90, v52, s[22:23]
	;; [unrolled: 1-line block ×4, first 2 shown]
	s_waitcnt lgkmcnt(0)
	v_mul_f64 v[90:91], v[90:91], v[94:95]
	s_cbranch_execz .LBB13_69
	s_branch .LBB13_70
.LBB13_68:
                                        ; implicit-def: $vgpr90_vgpr91
.LBB13_69:
	ds_read_b64 v[90:91], v93
.LBB13_70:
	s_and_saveexec_b64 s[6:7], s[0:1]
	s_cbranch_execz .LBB13_80
; %bb.71:
	v_add_u32_e32 v92, -9, v0
	v_cmp_lt_u32_e32 vcc, 6, v92
	v_mov_b32_e32 v92, 8
	s_and_saveexec_b64 s[0:1], vcc
	s_cbranch_execz .LBB13_75
; %bb.72:
	v_and_b32_e32 v92, 8, v0
	v_sub_u32_e32 v94, 0, v92
	s_mov_b64 s[4:5], 15
	s_movk_i32 s10, 0xb0
	s_mov_b64 s[8:9], 0
.LBB13_73:                              ; =>This Inner Loop Header: Depth=1
	s_lshl_b32 s11, s4, 1
	s_add_i32 s12, s11, -13
	s_add_i32 s13, s11, -14
	s_set_gpr_idx_on s12, gpr_idx(SRC0)
	v_mov_b32_e32 v113, v30
	s_set_gpr_idx_off
	v_mov_b32_e32 v92, s10
	s_add_i32 s14, s11, -11
	s_set_gpr_idx_on s13, gpr_idx(SRC0)
	v_mov_b32_e32 v112, v30
	s_set_gpr_idx_off
	s_add_i32 s15, s11, -12
	ds_read_b128 v[96:99], v92
	ds_read_b128 v[100:103], v92 offset:16
	ds_read_b128 v[104:107], v92 offset:32
	;; [unrolled: 1-line block ×3, first 2 shown]
	s_set_gpr_idx_on s14, gpr_idx(SRC0)
	v_mov_b32_e32 v115, v30
	s_set_gpr_idx_off
	s_add_i32 s16, s11, -9
	s_set_gpr_idx_on s15, gpr_idx(SRC0)
	v_mov_b32_e32 v114, v30
	s_set_gpr_idx_off
	s_add_i32 s17, s11, -10
	;; [unrolled: 4-line block ×4, first 2 shown]
	s_waitcnt lgkmcnt(3)
	v_fmac_f64_e32 v[90:91], v[112:113], v[96:97]
	s_set_gpr_idx_on s18, gpr_idx(SRC0)
	v_mov_b32_e32 v97, v30
	s_set_gpr_idx_off
	s_add_i32 s20, s11, -5
	v_fmac_f64_e32 v[90:91], v[114:115], v[98:99]
	s_set_gpr_idx_on s19, gpr_idx(SRC0)
	v_mov_b32_e32 v96, v30
	s_set_gpr_idx_off
	s_add_i32 s21, s11, -6
	s_waitcnt lgkmcnt(2)
	v_fmac_f64_e32 v[90:91], v[116:117], v[100:101]
	s_set_gpr_idx_on s20, gpr_idx(SRC0)
	v_mov_b32_e32 v99, v30
	s_set_gpr_idx_off
	s_add_i32 s22, s11, -3
	v_fmac_f64_e32 v[90:91], v[96:97], v[102:103]
	s_set_gpr_idx_on s21, gpr_idx(SRC0)
	v_mov_b32_e32 v98, v30
	s_set_gpr_idx_off
	s_add_i32 s23, s11, -4
	s_waitcnt lgkmcnt(1)
	v_fmac_f64_e32 v[90:91], v[98:99], v[104:105]
	s_set_gpr_idx_on s22, gpr_idx(SRC0)
	v_mov_b32_e32 v97, v30
	s_set_gpr_idx_off
	s_add_i32 s24, s11, -1
	s_set_gpr_idx_on s23, gpr_idx(SRC0)
	v_mov_b32_e32 v96, v30
	s_set_gpr_idx_off
	s_add_i32 s25, s11, -2
	v_fmac_f64_e32 v[90:91], v[96:97], v[106:107]
	s_set_gpr_idx_on s24, gpr_idx(SRC0)
	v_mov_b32_e32 v97, v30
	s_set_gpr_idx_off
	s_add_u32 s4, s4, 8
	s_set_gpr_idx_on s25, gpr_idx(SRC0)
	v_mov_b32_e32 v96, v30
	s_set_gpr_idx_off
	v_add_u32_e32 v92, s4, v94
	s_waitcnt lgkmcnt(0)
	v_fmac_f64_e32 v[90:91], v[96:97], v[108:109]
	s_set_gpr_idx_on s11, gpr_idx(SRC0)
	v_mov_b32_e32 v97, v31
	s_set_gpr_idx_off
	s_addc_u32 s5, s5, 0
	s_add_i32 s10, s10, 64
	s_add_i32 s12, s4, -7
	v_cmp_eq_u32_e32 vcc, 7, v92
	s_set_gpr_idx_on s11, gpr_idx(SRC0)
	v_mov_b32_e32 v96, v30
	s_set_gpr_idx_off
	v_mov_b32_e32 v92, s12
	s_or_b64 s[8:9], vcc, s[8:9]
	v_fmac_f64_e32 v[90:91], v[96:97], v[110:111]
	s_andn2_b64 exec, exec, s[8:9]
	s_cbranch_execnz .LBB13_73
; %bb.74:
	s_or_b64 exec, exec, s[8:9]
.LBB13_75:
	s_or_b64 exec, exec, s[0:1]
	v_and_b32_e32 v58, 7, v0
	v_cmp_ne_u32_e32 vcc, 0, v58
	s_and_saveexec_b64 s[8:9], vcc
	s_cbranch_execz .LBB13_79
; %bb.76:
	v_mov_b32_e32 v59, 0x70
	v_lshl_add_u32 v60, v92, 3, v59
	v_mov_b32_e32 v59, 0
	s_mov_b64 s[10:11], 0
.LBB13_77:                              ; =>This Inner Loop Header: Depth=1
	v_cmp_eq_u32_e32 vcc, 1, v92
	v_cndmask_b32_e32 v61, v31, v33, vcc
	v_add_u32_e32 v58, -1, v58
	v_cmp_eq_u32_e64 s[0:1], 2, v92
	v_cndmask_b32_e64 v61, v61, v35, s[0:1]
	v_cndmask_b32_e32 v96, v30, v32, vcc
	v_cmp_eq_u32_e32 vcc, 0, v58
	v_cmp_eq_u32_e64 s[4:5], 3, v92
	v_cndmask_b32_e64 v61, v61, v37, s[4:5]
	v_cndmask_b32_e64 v96, v96, v34, s[0:1]
	s_or_b64 s[10:11], vcc, s[10:11]
	v_cmp_eq_u32_e32 vcc, 4, v92
	v_cndmask_b32_e32 v61, v61, v39, vcc
	v_cndmask_b32_e64 v96, v96, v36, s[4:5]
	v_cmp_eq_u32_e64 s[0:1], 5, v92
	v_cndmask_b32_e64 v61, v61, v41, s[0:1]
	v_cndmask_b32_e32 v96, v96, v38, vcc
	v_cmp_eq_u32_e32 vcc, 6, v92
	v_cndmask_b32_e32 v61, v61, v43, vcc
	v_cndmask_b32_e64 v96, v96, v40, s[0:1]
	v_cmp_eq_u32_e64 s[0:1], 7, v92
	v_cndmask_b32_e64 v61, v61, v45, s[0:1]
	v_cndmask_b32_e32 v96, v96, v42, vcc
	;; [unrolled: 6-line block ×3, first 2 shown]
	v_cmp_eq_u32_e32 vcc, 10, v92
	ds_read_b64 v[94:95], v60
	v_cndmask_b32_e32 v61, v61, v51, vcc
	v_cndmask_b32_e64 v96, v96, v48, s[0:1]
	v_cmp_eq_u32_e64 s[0:1], 11, v92
	v_cndmask_b32_e64 v61, v61, v53, s[0:1]
	v_cndmask_b32_e32 v96, v96, v50, vcc
	v_cmp_eq_u32_e32 vcc, 12, v92
	v_cndmask_b32_e32 v61, v61, v55, vcc
	v_cmp_eq_u32_e64 s[4:5], 13, v92
	v_cndmask_b32_e64 v96, v96, v52, s[0:1]
	v_cndmask_b32_e64 v97, v61, v57, s[4:5]
	v_cndmask_b32_e32 v61, v96, v54, vcc
	v_add_co_u32_e64 v92, s[0:1], 1, v92
	v_cndmask_b32_e64 v96, v61, v56, s[4:5]
	v_add_u32_e32 v60, 8, v60
	v_addc_co_u32_e64 v59, s[0:1], 0, v59, s[0:1]
	s_waitcnt lgkmcnt(0)
	v_fmac_f64_e32 v[90:91], v[96:97], v[94:95]
	s_andn2_b64 exec, exec, s[10:11]
	s_cbranch_execnz .LBB13_77
; %bb.78:
	s_or_b64 exec, exec, s[10:11]
.LBB13_79:
	s_or_b64 exec, exec, s[8:9]
.LBB13_80:
	s_or_b64 exec, exec, s[6:7]
	v_mov_b32_e32 v44, 0
	ds_read_b64 v[44:45], v44 offset:56
	s_waitcnt lgkmcnt(0)
	v_mul_f64 v[44:45], v[90:91], v[44:45]
.LBB13_81:
	s_or_b64 exec, exec, s[30:31]
	v_cmp_lt_u32_e64 s[0:1], 6, v0
	ds_write_b64 v93, v[42:43]
	s_waitcnt lgkmcnt(0)
	; wave barrier
	s_waitcnt lgkmcnt(0)
	s_and_saveexec_b64 s[30:31], s[0:1]
	s_cbranch_execz .LBB13_97
; %bb.82:
	s_andn2_b64 vcc, exec, s[28:29]
	s_cbranch_vccnz .LBB13_84
; %bb.83:
	v_cmp_eq_u32_e32 vcc, 1, v0
	v_cndmask_b32_e32 v90, v31, v33, vcc
	v_cmp_eq_u32_e64 s[4:5], 2, v0
	v_cndmask_b32_e64 v90, v90, v35, s[4:5]
	v_cmp_eq_u32_e64 s[6:7], 3, v0
	v_cndmask_b32_e64 v90, v90, v37, s[6:7]
	;; [unrolled: 2-line block ×12, first 2 shown]
	v_cndmask_b32_e32 v90, v30, v32, vcc
	v_cndmask_b32_e64 v90, v90, v34, s[4:5]
	v_cndmask_b32_e64 v90, v90, v36, s[6:7]
	;; [unrolled: 1-line block ×8, first 2 shown]
	ds_read_b64 v[94:95], v93
	v_cndmask_b32_e64 v90, v90, v50, s[20:21]
	v_cndmask_b32_e64 v90, v90, v52, s[22:23]
	;; [unrolled: 1-line block ×4, first 2 shown]
	s_waitcnt lgkmcnt(0)
	v_mul_f64 v[90:91], v[90:91], v[94:95]
	s_cbranch_execz .LBB13_85
	s_branch .LBB13_86
.LBB13_84:
                                        ; implicit-def: $vgpr90_vgpr91
.LBB13_85:
	ds_read_b64 v[90:91], v93
.LBB13_86:
	s_and_saveexec_b64 s[6:7], s[2:3]
	s_cbranch_execz .LBB13_96
; %bb.87:
	v_add_u32_e32 v92, -8, v0
	v_add_u32_e32 v95, -7, v0
	v_cmp_lt_u32_e32 vcc, 6, v92
	v_mov_b32_e32 v92, 7
	s_and_saveexec_b64 s[2:3], vcc
	s_cbranch_execz .LBB13_91
; %bb.88:
	v_and_b32_e32 v92, -8, v95
	v_sub_u32_e32 v94, 0, v92
	s_mov_b64 s[4:5], 14
	s_movk_i32 s10, 0xa8
	s_mov_b64 s[8:9], 0
.LBB13_89:                              ; =>This Inner Loop Header: Depth=1
	s_lshl_b32 s11, s4, 1
	s_add_i32 s12, s11, -13
	v_mov_b32_e32 v110, s10
	s_add_i32 s13, s11, -14
	s_set_gpr_idx_on s12, gpr_idx(SRC0)
	v_mov_b32_e32 v105, v30
	s_set_gpr_idx_off
	s_add_i32 s14, s11, -11
	s_set_gpr_idx_on s13, gpr_idx(SRC0)
	v_mov_b32_e32 v104, v30
	s_set_gpr_idx_off
	ds_read2_b64 v[96:99], v110 offset1:1
	s_add_i32 s15, s11, -12
	s_set_gpr_idx_on s14, gpr_idx(SRC0)
	v_mov_b32_e32 v107, v30
	s_set_gpr_idx_off
	s_add_i32 s16, s11, -9
	s_set_gpr_idx_on s15, gpr_idx(SRC0)
	v_mov_b32_e32 v106, v30
	s_set_gpr_idx_off
	;; [unrolled: 4-line block ×4, first 2 shown]
	ds_read2_b64 v[100:103], v110 offset0:2 offset1:3
	s_add_i32 s19, s11, -8
	s_waitcnt lgkmcnt(1)
	v_fmac_f64_e32 v[90:91], v[104:105], v[96:97]
	s_set_gpr_idx_on s18, gpr_idx(SRC0)
	v_mov_b32_e32 v105, v30
	s_set_gpr_idx_off
	s_add_i32 s20, s11, -5
	v_fmac_f64_e32 v[90:91], v[106:107], v[98:99]
	s_set_gpr_idx_on s19, gpr_idx(SRC0)
	v_mov_b32_e32 v104, v30
	s_set_gpr_idx_off
	s_add_i32 s21, s11, -6
	s_set_gpr_idx_on s20, gpr_idx(SRC0)
	v_mov_b32_e32 v107, v30
	s_set_gpr_idx_off
	s_add_i32 s22, s11, -3
	;; [unrolled: 4-line block ×3, first 2 shown]
	ds_read2_b64 v[96:99], v110 offset0:4 offset1:5
	s_waitcnt lgkmcnt(1)
	v_fmac_f64_e32 v[90:91], v[108:109], v[100:101]
	s_set_gpr_idx_on s22, gpr_idx(SRC0)
	v_mov_b32_e32 v109, v30
	s_set_gpr_idx_off
	s_add_i32 s24, s11, -1
	v_fmac_f64_e32 v[90:91], v[104:105], v[102:103]
	s_set_gpr_idx_on s23, gpr_idx(SRC0)
	v_mov_b32_e32 v108, v30
	s_set_gpr_idx_off
	s_add_i32 s25, s11, -2
	s_set_gpr_idx_on s24, gpr_idx(SRC0)
	v_mov_b32_e32 v105, v30
	s_set_gpr_idx_off
	s_set_gpr_idx_on s25, gpr_idx(SRC0)
	v_mov_b32_e32 v104, v30
	s_set_gpr_idx_off
	ds_read2_b64 v[100:103], v110 offset0:6 offset1:7
	s_add_u32 s4, s4, 8
	s_waitcnt lgkmcnt(1)
	v_fmac_f64_e32 v[90:91], v[106:107], v[96:97]
	s_set_gpr_idx_on s11, gpr_idx(SRC0)
	v_mov_b32_e32 v97, v31
	s_set_gpr_idx_off
	v_add_u32_e32 v92, s4, v94
	v_fmac_f64_e32 v[90:91], v[108:109], v[98:99]
	s_set_gpr_idx_on s11, gpr_idx(SRC0)
	v_mov_b32_e32 v96, v30
	s_set_gpr_idx_off
	s_addc_u32 s5, s5, 0
	s_add_i32 s10, s10, 64
	s_add_i32 s12, s4, -7
	v_cmp_eq_u32_e32 vcc, 14, v92
	s_waitcnt lgkmcnt(0)
	v_fmac_f64_e32 v[90:91], v[104:105], v[100:101]
	v_mov_b32_e32 v92, s12
	s_or_b64 s[8:9], vcc, s[8:9]
	v_fmac_f64_e32 v[90:91], v[96:97], v[102:103]
	s_andn2_b64 exec, exec, s[8:9]
	s_cbranch_execnz .LBB13_89
; %bb.90:
	s_or_b64 exec, exec, s[8:9]
.LBB13_91:
	s_or_b64 exec, exec, s[2:3]
	v_and_b32_e32 v58, 7, v95
	v_cmp_ne_u32_e32 vcc, 0, v58
	s_and_saveexec_b64 s[8:9], vcc
	s_cbranch_execz .LBB13_95
; %bb.92:
	v_mov_b32_e32 v59, 0x70
	v_lshl_add_u32 v60, v92, 3, v59
	v_mov_b32_e32 v59, 0
	s_mov_b64 s[10:11], 0
.LBB13_93:                              ; =>This Inner Loop Header: Depth=1
	v_cmp_eq_u32_e32 vcc, 1, v92
	v_cndmask_b32_e32 v61, v31, v33, vcc
	v_add_u32_e32 v58, -1, v58
	v_cmp_eq_u32_e64 s[2:3], 2, v92
	v_cndmask_b32_e64 v61, v61, v35, s[2:3]
	v_cndmask_b32_e32 v96, v30, v32, vcc
	v_cmp_eq_u32_e32 vcc, 0, v58
	v_cmp_eq_u32_e64 s[4:5], 3, v92
	v_cndmask_b32_e64 v61, v61, v37, s[4:5]
	v_cndmask_b32_e64 v96, v96, v34, s[2:3]
	s_or_b64 s[10:11], vcc, s[10:11]
	v_cmp_eq_u32_e32 vcc, 4, v92
	v_cndmask_b32_e32 v61, v61, v39, vcc
	v_cndmask_b32_e64 v96, v96, v36, s[4:5]
	v_cmp_eq_u32_e64 s[2:3], 5, v92
	v_cndmask_b32_e64 v61, v61, v41, s[2:3]
	v_cndmask_b32_e32 v96, v96, v38, vcc
	v_cmp_eq_u32_e32 vcc, 6, v92
	v_cndmask_b32_e32 v61, v61, v43, vcc
	v_cndmask_b32_e64 v96, v96, v40, s[2:3]
	v_cmp_eq_u32_e64 s[2:3], 7, v92
	v_cndmask_b32_e64 v61, v61, v45, s[2:3]
	v_cndmask_b32_e32 v96, v96, v42, vcc
	;; [unrolled: 6-line block ×3, first 2 shown]
	v_cmp_eq_u32_e32 vcc, 10, v92
	ds_read_b64 v[94:95], v60
	v_cndmask_b32_e32 v61, v61, v51, vcc
	v_cndmask_b32_e64 v96, v96, v48, s[2:3]
	v_cmp_eq_u32_e64 s[2:3], 11, v92
	v_cndmask_b32_e64 v61, v61, v53, s[2:3]
	v_cndmask_b32_e32 v96, v96, v50, vcc
	v_cmp_eq_u32_e32 vcc, 12, v92
	v_cndmask_b32_e32 v61, v61, v55, vcc
	v_cmp_eq_u32_e64 s[4:5], 13, v92
	v_cndmask_b32_e64 v96, v96, v52, s[2:3]
	v_cndmask_b32_e64 v97, v61, v57, s[4:5]
	v_cndmask_b32_e32 v61, v96, v54, vcc
	v_add_co_u32_e64 v92, s[2:3], 1, v92
	v_cndmask_b32_e64 v96, v61, v56, s[4:5]
	v_add_u32_e32 v60, 8, v60
	v_addc_co_u32_e64 v59, s[2:3], 0, v59, s[2:3]
	s_waitcnt lgkmcnt(0)
	v_fmac_f64_e32 v[90:91], v[96:97], v[94:95]
	s_andn2_b64 exec, exec, s[10:11]
	s_cbranch_execnz .LBB13_93
; %bb.94:
	s_or_b64 exec, exec, s[10:11]
.LBB13_95:
	s_or_b64 exec, exec, s[8:9]
.LBB13_96:
	s_or_b64 exec, exec, s[6:7]
	v_mov_b32_e32 v42, 0
	ds_read_b64 v[42:43], v42 offset:48
	s_waitcnt lgkmcnt(0)
	v_mul_f64 v[42:43], v[90:91], v[42:43]
.LBB13_97:
	s_or_b64 exec, exec, s[30:31]
	v_cmp_lt_u32_e64 s[2:3], 5, v0
	ds_write_b64 v93, v[40:41]
	s_waitcnt lgkmcnt(0)
	; wave barrier
	s_waitcnt lgkmcnt(0)
	s_and_saveexec_b64 s[30:31], s[2:3]
	s_cbranch_execz .LBB13_113
; %bb.98:
	s_andn2_b64 vcc, exec, s[28:29]
	s_cbranch_vccnz .LBB13_100
; %bb.99:
	v_cmp_eq_u32_e32 vcc, 1, v0
	v_cndmask_b32_e32 v90, v31, v33, vcc
	v_cmp_eq_u32_e64 s[4:5], 2, v0
	v_cndmask_b32_e64 v90, v90, v35, s[4:5]
	v_cmp_eq_u32_e64 s[6:7], 3, v0
	v_cndmask_b32_e64 v90, v90, v37, s[6:7]
	;; [unrolled: 2-line block ×12, first 2 shown]
	v_cndmask_b32_e32 v90, v30, v32, vcc
	v_cndmask_b32_e64 v90, v90, v34, s[4:5]
	v_cndmask_b32_e64 v90, v90, v36, s[6:7]
	;; [unrolled: 1-line block ×8, first 2 shown]
	ds_read_b64 v[94:95], v93
	v_cndmask_b32_e64 v90, v90, v50, s[20:21]
	v_cndmask_b32_e64 v90, v90, v52, s[22:23]
	;; [unrolled: 1-line block ×4, first 2 shown]
	s_waitcnt lgkmcnt(0)
	v_mul_f64 v[90:91], v[90:91], v[94:95]
	s_cbranch_execz .LBB13_101
	s_branch .LBB13_102
.LBB13_100:
                                        ; implicit-def: $vgpr90_vgpr91
.LBB13_101:
	ds_read_b64 v[90:91], v93
.LBB13_102:
	s_and_saveexec_b64 s[6:7], s[0:1]
	s_cbranch_execz .LBB13_112
; %bb.103:
	v_add_u32_e32 v92, -7, v0
	v_add_u32_e32 v95, -6, v0
	v_cmp_lt_u32_e32 vcc, 6, v92
	v_mov_b32_e32 v92, 6
	s_and_saveexec_b64 s[0:1], vcc
	s_cbranch_execz .LBB13_107
; %bb.104:
	v_and_b32_e32 v92, -8, v95
	v_sub_u32_e32 v94, 0, v92
	s_mov_b64 s[4:5], 13
	s_movk_i32 s10, 0xa0
	s_mov_b64 s[8:9], 0
.LBB13_105:                             ; =>This Inner Loop Header: Depth=1
	s_lshl_b32 s11, s4, 1
	s_add_i32 s12, s11, -13
	s_add_i32 s13, s11, -14
	s_set_gpr_idx_on s12, gpr_idx(SRC0)
	v_mov_b32_e32 v113, v30
	s_set_gpr_idx_off
	v_mov_b32_e32 v92, s10
	s_add_i32 s14, s11, -11
	s_set_gpr_idx_on s13, gpr_idx(SRC0)
	v_mov_b32_e32 v112, v30
	s_set_gpr_idx_off
	s_add_i32 s15, s11, -12
	ds_read_b128 v[96:99], v92
	ds_read_b128 v[100:103], v92 offset:16
	ds_read_b128 v[104:107], v92 offset:32
	;; [unrolled: 1-line block ×3, first 2 shown]
	s_set_gpr_idx_on s14, gpr_idx(SRC0)
	v_mov_b32_e32 v115, v30
	s_set_gpr_idx_off
	s_add_i32 s16, s11, -9
	s_set_gpr_idx_on s15, gpr_idx(SRC0)
	v_mov_b32_e32 v114, v30
	s_set_gpr_idx_off
	s_add_i32 s17, s11, -10
	;; [unrolled: 4-line block ×4, first 2 shown]
	s_waitcnt lgkmcnt(3)
	v_fmac_f64_e32 v[90:91], v[112:113], v[96:97]
	s_set_gpr_idx_on s18, gpr_idx(SRC0)
	v_mov_b32_e32 v97, v30
	s_set_gpr_idx_off
	s_add_i32 s20, s11, -5
	v_fmac_f64_e32 v[90:91], v[114:115], v[98:99]
	s_set_gpr_idx_on s19, gpr_idx(SRC0)
	v_mov_b32_e32 v96, v30
	s_set_gpr_idx_off
	s_add_i32 s21, s11, -6
	s_waitcnt lgkmcnt(2)
	v_fmac_f64_e32 v[90:91], v[116:117], v[100:101]
	s_set_gpr_idx_on s20, gpr_idx(SRC0)
	v_mov_b32_e32 v99, v30
	s_set_gpr_idx_off
	s_add_i32 s22, s11, -3
	v_fmac_f64_e32 v[90:91], v[96:97], v[102:103]
	s_set_gpr_idx_on s21, gpr_idx(SRC0)
	v_mov_b32_e32 v98, v30
	s_set_gpr_idx_off
	s_add_i32 s23, s11, -4
	s_waitcnt lgkmcnt(1)
	v_fmac_f64_e32 v[90:91], v[98:99], v[104:105]
	s_set_gpr_idx_on s22, gpr_idx(SRC0)
	v_mov_b32_e32 v97, v30
	s_set_gpr_idx_off
	s_add_i32 s24, s11, -1
	s_set_gpr_idx_on s23, gpr_idx(SRC0)
	v_mov_b32_e32 v96, v30
	s_set_gpr_idx_off
	s_add_i32 s25, s11, -2
	v_fmac_f64_e32 v[90:91], v[96:97], v[106:107]
	s_set_gpr_idx_on s24, gpr_idx(SRC0)
	v_mov_b32_e32 v97, v30
	s_set_gpr_idx_off
	s_add_u32 s4, s4, 8
	s_set_gpr_idx_on s25, gpr_idx(SRC0)
	v_mov_b32_e32 v96, v30
	s_set_gpr_idx_off
	v_add_u32_e32 v92, s4, v94
	s_waitcnt lgkmcnt(0)
	v_fmac_f64_e32 v[90:91], v[96:97], v[108:109]
	s_set_gpr_idx_on s11, gpr_idx(SRC0)
	v_mov_b32_e32 v97, v31
	s_set_gpr_idx_off
	s_addc_u32 s5, s5, 0
	s_add_i32 s10, s10, 64
	s_add_i32 s12, s4, -7
	v_cmp_eq_u32_e32 vcc, 13, v92
	s_set_gpr_idx_on s11, gpr_idx(SRC0)
	v_mov_b32_e32 v96, v30
	s_set_gpr_idx_off
	v_mov_b32_e32 v92, s12
	s_or_b64 s[8:9], vcc, s[8:9]
	v_fmac_f64_e32 v[90:91], v[96:97], v[110:111]
	s_andn2_b64 exec, exec, s[8:9]
	s_cbranch_execnz .LBB13_105
; %bb.106:
	s_or_b64 exec, exec, s[8:9]
.LBB13_107:
	s_or_b64 exec, exec, s[0:1]
	v_and_b32_e32 v58, 7, v95
	v_cmp_ne_u32_e32 vcc, 0, v58
	s_and_saveexec_b64 s[8:9], vcc
	s_cbranch_execz .LBB13_111
; %bb.108:
	v_mov_b32_e32 v59, 0x70
	v_lshl_add_u32 v60, v92, 3, v59
	v_mov_b32_e32 v59, 0
	s_mov_b64 s[10:11], 0
.LBB13_109:                             ; =>This Inner Loop Header: Depth=1
	v_cmp_eq_u32_e32 vcc, 1, v92
	v_cndmask_b32_e32 v61, v31, v33, vcc
	v_add_u32_e32 v58, -1, v58
	v_cmp_eq_u32_e64 s[0:1], 2, v92
	v_cndmask_b32_e64 v61, v61, v35, s[0:1]
	v_cndmask_b32_e32 v96, v30, v32, vcc
	v_cmp_eq_u32_e32 vcc, 0, v58
	v_cmp_eq_u32_e64 s[4:5], 3, v92
	v_cndmask_b32_e64 v61, v61, v37, s[4:5]
	v_cndmask_b32_e64 v96, v96, v34, s[0:1]
	s_or_b64 s[10:11], vcc, s[10:11]
	v_cmp_eq_u32_e32 vcc, 4, v92
	v_cndmask_b32_e32 v61, v61, v39, vcc
	v_cndmask_b32_e64 v96, v96, v36, s[4:5]
	v_cmp_eq_u32_e64 s[0:1], 5, v92
	v_cndmask_b32_e64 v61, v61, v41, s[0:1]
	v_cndmask_b32_e32 v96, v96, v38, vcc
	v_cmp_eq_u32_e32 vcc, 6, v92
	v_cndmask_b32_e32 v61, v61, v43, vcc
	v_cndmask_b32_e64 v96, v96, v40, s[0:1]
	v_cmp_eq_u32_e64 s[0:1], 7, v92
	v_cndmask_b32_e64 v61, v61, v45, s[0:1]
	v_cndmask_b32_e32 v96, v96, v42, vcc
	;; [unrolled: 6-line block ×3, first 2 shown]
	v_cmp_eq_u32_e32 vcc, 10, v92
	ds_read_b64 v[94:95], v60
	v_cndmask_b32_e32 v61, v61, v51, vcc
	v_cndmask_b32_e64 v96, v96, v48, s[0:1]
	v_cmp_eq_u32_e64 s[0:1], 11, v92
	v_cndmask_b32_e64 v61, v61, v53, s[0:1]
	v_cndmask_b32_e32 v96, v96, v50, vcc
	v_cmp_eq_u32_e32 vcc, 12, v92
	v_cndmask_b32_e32 v61, v61, v55, vcc
	v_cmp_eq_u32_e64 s[4:5], 13, v92
	v_cndmask_b32_e64 v96, v96, v52, s[0:1]
	v_cndmask_b32_e64 v97, v61, v57, s[4:5]
	v_cndmask_b32_e32 v61, v96, v54, vcc
	v_add_co_u32_e64 v92, s[0:1], 1, v92
	v_cndmask_b32_e64 v96, v61, v56, s[4:5]
	v_add_u32_e32 v60, 8, v60
	v_addc_co_u32_e64 v59, s[0:1], 0, v59, s[0:1]
	s_waitcnt lgkmcnt(0)
	v_fmac_f64_e32 v[90:91], v[96:97], v[94:95]
	s_andn2_b64 exec, exec, s[10:11]
	s_cbranch_execnz .LBB13_109
; %bb.110:
	s_or_b64 exec, exec, s[10:11]
.LBB13_111:
	s_or_b64 exec, exec, s[8:9]
.LBB13_112:
	s_or_b64 exec, exec, s[6:7]
	v_mov_b32_e32 v40, 0
	ds_read_b64 v[40:41], v40 offset:40
	s_waitcnt lgkmcnt(0)
	v_mul_f64 v[40:41], v[90:91], v[40:41]
.LBB13_113:
	s_or_b64 exec, exec, s[30:31]
	v_cmp_lt_u32_e64 s[0:1], 4, v0
	ds_write_b64 v93, v[38:39]
	s_waitcnt lgkmcnt(0)
	; wave barrier
	s_waitcnt lgkmcnt(0)
	s_and_saveexec_b64 s[30:31], s[0:1]
	s_cbranch_execz .LBB13_129
; %bb.114:
	s_andn2_b64 vcc, exec, s[28:29]
	s_cbranch_vccnz .LBB13_116
; %bb.115:
	v_cmp_eq_u32_e32 vcc, 1, v0
	v_cndmask_b32_e32 v90, v31, v33, vcc
	v_cmp_eq_u32_e64 s[4:5], 2, v0
	v_cndmask_b32_e64 v90, v90, v35, s[4:5]
	v_cmp_eq_u32_e64 s[6:7], 3, v0
	v_cndmask_b32_e64 v90, v90, v37, s[6:7]
	;; [unrolled: 2-line block ×12, first 2 shown]
	v_cndmask_b32_e32 v90, v30, v32, vcc
	v_cndmask_b32_e64 v90, v90, v34, s[4:5]
	v_cndmask_b32_e64 v90, v90, v36, s[6:7]
	;; [unrolled: 1-line block ×8, first 2 shown]
	ds_read_b64 v[94:95], v93
	v_cndmask_b32_e64 v90, v90, v50, s[20:21]
	v_cndmask_b32_e64 v90, v90, v52, s[22:23]
	;; [unrolled: 1-line block ×4, first 2 shown]
	s_waitcnt lgkmcnt(0)
	v_mul_f64 v[90:91], v[90:91], v[94:95]
	s_cbranch_execz .LBB13_117
	s_branch .LBB13_118
.LBB13_116:
                                        ; implicit-def: $vgpr90_vgpr91
.LBB13_117:
	ds_read_b64 v[90:91], v93
.LBB13_118:
	s_and_saveexec_b64 s[6:7], s[2:3]
	s_cbranch_execz .LBB13_128
; %bb.119:
	v_add_u32_e32 v92, -6, v0
	v_add_u32_e32 v95, -5, v0
	v_cmp_lt_u32_e32 vcc, 6, v92
	v_mov_b32_e32 v92, 5
	s_and_saveexec_b64 s[2:3], vcc
	s_cbranch_execz .LBB13_123
; %bb.120:
	v_and_b32_e32 v92, -8, v95
	v_sub_u32_e32 v94, 0, v92
	s_mov_b64 s[4:5], 12
	s_movk_i32 s10, 0x98
	s_mov_b64 s[8:9], 0
.LBB13_121:                             ; =>This Inner Loop Header: Depth=1
	s_lshl_b32 s11, s4, 1
	s_add_i32 s12, s11, -13
	v_mov_b32_e32 v110, s10
	s_add_i32 s13, s11, -14
	s_set_gpr_idx_on s12, gpr_idx(SRC0)
	v_mov_b32_e32 v105, v30
	s_set_gpr_idx_off
	s_add_i32 s14, s11, -11
	s_set_gpr_idx_on s13, gpr_idx(SRC0)
	v_mov_b32_e32 v104, v30
	s_set_gpr_idx_off
	ds_read2_b64 v[96:99], v110 offset1:1
	s_add_i32 s15, s11, -12
	s_set_gpr_idx_on s14, gpr_idx(SRC0)
	v_mov_b32_e32 v107, v30
	s_set_gpr_idx_off
	s_add_i32 s16, s11, -9
	s_set_gpr_idx_on s15, gpr_idx(SRC0)
	v_mov_b32_e32 v106, v30
	s_set_gpr_idx_off
	;; [unrolled: 4-line block ×4, first 2 shown]
	ds_read2_b64 v[100:103], v110 offset0:2 offset1:3
	s_add_i32 s19, s11, -8
	s_waitcnt lgkmcnt(1)
	v_fmac_f64_e32 v[90:91], v[104:105], v[96:97]
	s_set_gpr_idx_on s18, gpr_idx(SRC0)
	v_mov_b32_e32 v105, v30
	s_set_gpr_idx_off
	s_add_i32 s20, s11, -5
	v_fmac_f64_e32 v[90:91], v[106:107], v[98:99]
	s_set_gpr_idx_on s19, gpr_idx(SRC0)
	v_mov_b32_e32 v104, v30
	s_set_gpr_idx_off
	s_add_i32 s21, s11, -6
	s_set_gpr_idx_on s20, gpr_idx(SRC0)
	v_mov_b32_e32 v107, v30
	s_set_gpr_idx_off
	s_add_i32 s22, s11, -3
	;; [unrolled: 4-line block ×3, first 2 shown]
	ds_read2_b64 v[96:99], v110 offset0:4 offset1:5
	s_waitcnt lgkmcnt(1)
	v_fmac_f64_e32 v[90:91], v[108:109], v[100:101]
	s_set_gpr_idx_on s22, gpr_idx(SRC0)
	v_mov_b32_e32 v109, v30
	s_set_gpr_idx_off
	s_add_i32 s24, s11, -1
	v_fmac_f64_e32 v[90:91], v[104:105], v[102:103]
	s_set_gpr_idx_on s23, gpr_idx(SRC0)
	v_mov_b32_e32 v108, v30
	s_set_gpr_idx_off
	s_add_i32 s25, s11, -2
	s_set_gpr_idx_on s24, gpr_idx(SRC0)
	v_mov_b32_e32 v105, v30
	s_set_gpr_idx_off
	s_set_gpr_idx_on s25, gpr_idx(SRC0)
	v_mov_b32_e32 v104, v30
	s_set_gpr_idx_off
	ds_read2_b64 v[100:103], v110 offset0:6 offset1:7
	s_add_u32 s4, s4, 8
	s_waitcnt lgkmcnt(1)
	v_fmac_f64_e32 v[90:91], v[106:107], v[96:97]
	s_set_gpr_idx_on s11, gpr_idx(SRC0)
	v_mov_b32_e32 v97, v31
	s_set_gpr_idx_off
	v_add_u32_e32 v92, s4, v94
	v_fmac_f64_e32 v[90:91], v[108:109], v[98:99]
	s_set_gpr_idx_on s11, gpr_idx(SRC0)
	v_mov_b32_e32 v96, v30
	s_set_gpr_idx_off
	s_addc_u32 s5, s5, 0
	s_add_i32 s10, s10, 64
	s_add_i32 s12, s4, -7
	v_cmp_eq_u32_e32 vcc, 12, v92
	s_waitcnt lgkmcnt(0)
	v_fmac_f64_e32 v[90:91], v[104:105], v[100:101]
	v_mov_b32_e32 v92, s12
	s_or_b64 s[8:9], vcc, s[8:9]
	v_fmac_f64_e32 v[90:91], v[96:97], v[102:103]
	s_andn2_b64 exec, exec, s[8:9]
	s_cbranch_execnz .LBB13_121
; %bb.122:
	s_or_b64 exec, exec, s[8:9]
.LBB13_123:
	s_or_b64 exec, exec, s[2:3]
	v_and_b32_e32 v58, 7, v95
	v_cmp_ne_u32_e32 vcc, 0, v58
	s_and_saveexec_b64 s[8:9], vcc
	s_cbranch_execz .LBB13_127
; %bb.124:
	v_mov_b32_e32 v59, 0x70
	v_lshl_add_u32 v60, v92, 3, v59
	v_mov_b32_e32 v59, 0
	s_mov_b64 s[10:11], 0
.LBB13_125:                             ; =>This Inner Loop Header: Depth=1
	v_cmp_eq_u32_e32 vcc, 1, v92
	v_cndmask_b32_e32 v61, v31, v33, vcc
	v_add_u32_e32 v58, -1, v58
	v_cmp_eq_u32_e64 s[2:3], 2, v92
	v_cndmask_b32_e64 v61, v61, v35, s[2:3]
	v_cndmask_b32_e32 v96, v30, v32, vcc
	v_cmp_eq_u32_e32 vcc, 0, v58
	v_cmp_eq_u32_e64 s[4:5], 3, v92
	v_cndmask_b32_e64 v61, v61, v37, s[4:5]
	v_cndmask_b32_e64 v96, v96, v34, s[2:3]
	s_or_b64 s[10:11], vcc, s[10:11]
	v_cmp_eq_u32_e32 vcc, 4, v92
	v_cndmask_b32_e32 v61, v61, v39, vcc
	v_cndmask_b32_e64 v96, v96, v36, s[4:5]
	v_cmp_eq_u32_e64 s[2:3], 5, v92
	v_cndmask_b32_e64 v61, v61, v41, s[2:3]
	v_cndmask_b32_e32 v96, v96, v38, vcc
	v_cmp_eq_u32_e32 vcc, 6, v92
	v_cndmask_b32_e32 v61, v61, v43, vcc
	v_cndmask_b32_e64 v96, v96, v40, s[2:3]
	v_cmp_eq_u32_e64 s[2:3], 7, v92
	v_cndmask_b32_e64 v61, v61, v45, s[2:3]
	v_cndmask_b32_e32 v96, v96, v42, vcc
	;; [unrolled: 6-line block ×3, first 2 shown]
	v_cmp_eq_u32_e32 vcc, 10, v92
	ds_read_b64 v[94:95], v60
	v_cndmask_b32_e32 v61, v61, v51, vcc
	v_cndmask_b32_e64 v96, v96, v48, s[2:3]
	v_cmp_eq_u32_e64 s[2:3], 11, v92
	v_cndmask_b32_e64 v61, v61, v53, s[2:3]
	v_cndmask_b32_e32 v96, v96, v50, vcc
	v_cmp_eq_u32_e32 vcc, 12, v92
	v_cndmask_b32_e32 v61, v61, v55, vcc
	v_cmp_eq_u32_e64 s[4:5], 13, v92
	v_cndmask_b32_e64 v96, v96, v52, s[2:3]
	v_cndmask_b32_e64 v97, v61, v57, s[4:5]
	v_cndmask_b32_e32 v61, v96, v54, vcc
	v_add_co_u32_e64 v92, s[2:3], 1, v92
	v_cndmask_b32_e64 v96, v61, v56, s[4:5]
	v_add_u32_e32 v60, 8, v60
	v_addc_co_u32_e64 v59, s[2:3], 0, v59, s[2:3]
	s_waitcnt lgkmcnt(0)
	v_fmac_f64_e32 v[90:91], v[96:97], v[94:95]
	s_andn2_b64 exec, exec, s[10:11]
	s_cbranch_execnz .LBB13_125
; %bb.126:
	s_or_b64 exec, exec, s[10:11]
.LBB13_127:
	s_or_b64 exec, exec, s[8:9]
.LBB13_128:
	s_or_b64 exec, exec, s[6:7]
	v_mov_b32_e32 v38, 0
	ds_read_b64 v[38:39], v38 offset:32
	s_waitcnt lgkmcnt(0)
	v_mul_f64 v[38:39], v[90:91], v[38:39]
.LBB13_129:
	s_or_b64 exec, exec, s[30:31]
	v_cmp_lt_u32_e64 s[2:3], 3, v0
	ds_write_b64 v93, v[36:37]
	s_waitcnt lgkmcnt(0)
	; wave barrier
	s_waitcnt lgkmcnt(0)
	s_and_saveexec_b64 s[30:31], s[2:3]
	s_cbranch_execz .LBB13_145
; %bb.130:
	s_andn2_b64 vcc, exec, s[28:29]
	s_cbranch_vccnz .LBB13_132
; %bb.131:
	v_cmp_eq_u32_e32 vcc, 1, v0
	v_cndmask_b32_e32 v90, v31, v33, vcc
	v_cmp_eq_u32_e64 s[4:5], 2, v0
	v_cndmask_b32_e64 v90, v90, v35, s[4:5]
	v_cmp_eq_u32_e64 s[6:7], 3, v0
	v_cndmask_b32_e64 v90, v90, v37, s[6:7]
	;; [unrolled: 2-line block ×12, first 2 shown]
	v_cndmask_b32_e32 v90, v30, v32, vcc
	v_cndmask_b32_e64 v90, v90, v34, s[4:5]
	v_cndmask_b32_e64 v90, v90, v36, s[6:7]
	v_cndmask_b32_e64 v90, v90, v38, s[8:9]
	v_cndmask_b32_e64 v90, v90, v40, s[10:11]
	v_cndmask_b32_e64 v90, v90, v42, s[12:13]
	v_cndmask_b32_e64 v90, v90, v44, s[14:15]
	v_cndmask_b32_e64 v90, v90, v46, s[16:17]
	v_cndmask_b32_e64 v90, v90, v48, s[18:19]
	ds_read_b64 v[94:95], v93
	v_cndmask_b32_e64 v90, v90, v50, s[20:21]
	v_cndmask_b32_e64 v90, v90, v52, s[22:23]
	;; [unrolled: 1-line block ×4, first 2 shown]
	s_waitcnt lgkmcnt(0)
	v_mul_f64 v[90:91], v[90:91], v[94:95]
	s_cbranch_execz .LBB13_133
	s_branch .LBB13_134
.LBB13_132:
                                        ; implicit-def: $vgpr90_vgpr91
.LBB13_133:
	ds_read_b64 v[90:91], v93
.LBB13_134:
	s_and_saveexec_b64 s[6:7], s[0:1]
	s_cbranch_execz .LBB13_144
; %bb.135:
	v_add_u32_e32 v92, -5, v0
	v_add_u32_e32 v95, -4, v0
	v_cmp_lt_u32_e32 vcc, 6, v92
	v_mov_b32_e32 v92, 4
	s_and_saveexec_b64 s[0:1], vcc
	s_cbranch_execz .LBB13_139
; %bb.136:
	v_and_b32_e32 v92, -8, v95
	v_sub_u32_e32 v94, 0, v92
	s_mov_b64 s[4:5], 5
	s_movk_i32 s10, 0x90
	s_mov_b64 s[8:9], 0
.LBB13_137:                             ; =>This Inner Loop Header: Depth=1
	s_lshl_b32 s11, s4, 1
	s_add_i32 s12, s11, -1
	s_add_i32 s13, s11, -2
	s_set_gpr_idx_on s12, gpr_idx(SRC0)
	v_mov_b32_e32 v113, v30
	s_set_gpr_idx_off
	v_mov_b32_e32 v92, s10
	s_set_gpr_idx_on s13, gpr_idx(SRC0)
	v_mov_b32_e32 v112, v30
	s_set_gpr_idx_off
	ds_read_b128 v[96:99], v92
	ds_read_b128 v[100:103], v92 offset:16
	ds_read_b128 v[104:107], v92 offset:32
	;; [unrolled: 1-line block ×3, first 2 shown]
	s_set_gpr_idx_on s11, gpr_idx(SRC0)
	v_mov_b32_e32 v115, v31
	s_add_i32 s14, s11, 3
	v_mov_b32_e32 v114, v30
	s_set_gpr_idx_off
	s_add_i32 s15, s11, 2
	s_set_gpr_idx_on s14, gpr_idx(SRC0)
	v_mov_b32_e32 v117, v30
	s_set_gpr_idx_off
	s_add_i32 s16, s11, 5
	s_set_gpr_idx_on s15, gpr_idx(SRC0)
	v_mov_b32_e32 v116, v30
	s_set_gpr_idx_off
	s_add_i32 s17, s11, 4
	s_waitcnt lgkmcnt(3)
	v_fmac_f64_e32 v[90:91], v[112:113], v[96:97]
	s_set_gpr_idx_on s16, gpr_idx(SRC0)
	v_mov_b32_e32 v97, v30
	s_set_gpr_idx_off
	s_add_i32 s18, s11, 7
	v_fmac_f64_e32 v[90:91], v[114:115], v[98:99]
	s_set_gpr_idx_on s17, gpr_idx(SRC0)
	v_mov_b32_e32 v96, v30
	s_set_gpr_idx_off
	s_add_i32 s19, s11, 6
	s_waitcnt lgkmcnt(2)
	v_fmac_f64_e32 v[90:91], v[116:117], v[100:101]
	s_set_gpr_idx_on s18, gpr_idx(SRC0)
	v_mov_b32_e32 v99, v30
	s_set_gpr_idx_off
	s_add_i32 s20, s11, 9
	v_fmac_f64_e32 v[90:91], v[96:97], v[102:103]
	s_set_gpr_idx_on s19, gpr_idx(SRC0)
	v_mov_b32_e32 v98, v30
	s_set_gpr_idx_off
	s_add_i32 s21, s11, 8
	s_waitcnt lgkmcnt(1)
	v_fmac_f64_e32 v[90:91], v[98:99], v[104:105]
	s_set_gpr_idx_on s20, gpr_idx(SRC0)
	v_mov_b32_e32 v97, v30
	s_set_gpr_idx_off
	s_add_i32 s22, s11, 11
	s_set_gpr_idx_on s21, gpr_idx(SRC0)
	v_mov_b32_e32 v96, v30
	s_set_gpr_idx_off
	s_add_i32 s23, s11, 10
	s_add_i32 s24, s11, 13
	;; [unrolled: 1-line block ×3, first 2 shown]
	v_fmac_f64_e32 v[90:91], v[96:97], v[106:107]
	s_set_gpr_idx_on s22, gpr_idx(SRC0)
	v_mov_b32_e32 v97, v30
	s_set_gpr_idx_off
	s_add_u32 s4, s4, 8
	s_set_gpr_idx_on s23, gpr_idx(SRC0)
	v_mov_b32_e32 v96, v30
	s_set_gpr_idx_off
	v_add_u32_e32 v92, s4, v94
	s_waitcnt lgkmcnt(0)
	v_fmac_f64_e32 v[90:91], v[96:97], v[108:109]
	s_set_gpr_idx_on s24, gpr_idx(SRC0)
	v_mov_b32_e32 v97, v30
	s_set_gpr_idx_off
	s_addc_u32 s5, s5, 0
	s_add_i32 s10, s10, 64
	s_add_i32 s12, s4, -1
	v_cmp_eq_u32_e32 vcc, 5, v92
	s_set_gpr_idx_on s25, gpr_idx(SRC0)
	v_mov_b32_e32 v96, v30
	s_set_gpr_idx_off
	v_mov_b32_e32 v92, s12
	s_or_b64 s[8:9], vcc, s[8:9]
	v_fmac_f64_e32 v[90:91], v[96:97], v[110:111]
	s_andn2_b64 exec, exec, s[8:9]
	s_cbranch_execnz .LBB13_137
; %bb.138:
	s_or_b64 exec, exec, s[8:9]
.LBB13_139:
	s_or_b64 exec, exec, s[0:1]
	v_and_b32_e32 v58, 7, v95
	v_cmp_ne_u32_e32 vcc, 0, v58
	s_and_saveexec_b64 s[8:9], vcc
	s_cbranch_execz .LBB13_143
; %bb.140:
	v_mov_b32_e32 v59, 0x70
	v_lshl_add_u32 v60, v92, 3, v59
	v_mov_b32_e32 v59, 0
	s_mov_b64 s[10:11], 0
.LBB13_141:                             ; =>This Inner Loop Header: Depth=1
	v_cmp_eq_u32_e32 vcc, 1, v92
	v_cndmask_b32_e32 v61, v31, v33, vcc
	v_add_u32_e32 v58, -1, v58
	v_cmp_eq_u32_e64 s[0:1], 2, v92
	v_cndmask_b32_e64 v61, v61, v35, s[0:1]
	v_cndmask_b32_e32 v96, v30, v32, vcc
	v_cmp_eq_u32_e32 vcc, 0, v58
	v_cmp_eq_u32_e64 s[4:5], 3, v92
	v_cndmask_b32_e64 v61, v61, v37, s[4:5]
	v_cndmask_b32_e64 v96, v96, v34, s[0:1]
	s_or_b64 s[10:11], vcc, s[10:11]
	v_cmp_eq_u32_e32 vcc, 4, v92
	v_cndmask_b32_e32 v61, v61, v39, vcc
	v_cndmask_b32_e64 v96, v96, v36, s[4:5]
	v_cmp_eq_u32_e64 s[0:1], 5, v92
	v_cndmask_b32_e64 v61, v61, v41, s[0:1]
	v_cndmask_b32_e32 v96, v96, v38, vcc
	v_cmp_eq_u32_e32 vcc, 6, v92
	v_cndmask_b32_e32 v61, v61, v43, vcc
	v_cndmask_b32_e64 v96, v96, v40, s[0:1]
	v_cmp_eq_u32_e64 s[0:1], 7, v92
	v_cndmask_b32_e64 v61, v61, v45, s[0:1]
	v_cndmask_b32_e32 v96, v96, v42, vcc
	v_cmp_eq_u32_e32 vcc, 8, v92
	v_cndmask_b32_e32 v61, v61, v47, vcc
	v_cndmask_b32_e64 v96, v96, v44, s[0:1]
	v_cmp_eq_u32_e64 s[0:1], 9, v92
	v_cndmask_b32_e64 v61, v61, v49, s[0:1]
	v_cndmask_b32_e32 v96, v96, v46, vcc
	v_cmp_eq_u32_e32 vcc, 10, v92
	ds_read_b64 v[94:95], v60
	v_cndmask_b32_e32 v61, v61, v51, vcc
	v_cndmask_b32_e64 v96, v96, v48, s[0:1]
	v_cmp_eq_u32_e64 s[0:1], 11, v92
	v_cndmask_b32_e64 v61, v61, v53, s[0:1]
	v_cndmask_b32_e32 v96, v96, v50, vcc
	v_cmp_eq_u32_e32 vcc, 12, v92
	v_cndmask_b32_e32 v61, v61, v55, vcc
	v_cmp_eq_u32_e64 s[4:5], 13, v92
	v_cndmask_b32_e64 v96, v96, v52, s[0:1]
	v_cndmask_b32_e64 v97, v61, v57, s[4:5]
	v_cndmask_b32_e32 v61, v96, v54, vcc
	v_add_co_u32_e64 v92, s[0:1], 1, v92
	v_cndmask_b32_e64 v96, v61, v56, s[4:5]
	v_add_u32_e32 v60, 8, v60
	v_addc_co_u32_e64 v59, s[0:1], 0, v59, s[0:1]
	s_waitcnt lgkmcnt(0)
	v_fmac_f64_e32 v[90:91], v[96:97], v[94:95]
	s_andn2_b64 exec, exec, s[10:11]
	s_cbranch_execnz .LBB13_141
; %bb.142:
	s_or_b64 exec, exec, s[10:11]
.LBB13_143:
	s_or_b64 exec, exec, s[8:9]
.LBB13_144:
	s_or_b64 exec, exec, s[6:7]
	v_mov_b32_e32 v36, 0
	ds_read_b64 v[36:37], v36 offset:24
	s_waitcnt lgkmcnt(0)
	v_mul_f64 v[36:37], v[90:91], v[36:37]
.LBB13_145:
	s_or_b64 exec, exec, s[30:31]
	v_cmp_lt_u32_e64 s[0:1], 2, v0
	ds_write_b64 v93, v[34:35]
	s_waitcnt lgkmcnt(0)
	; wave barrier
	s_waitcnt lgkmcnt(0)
	s_and_saveexec_b64 s[30:31], s[0:1]
	s_cbranch_execz .LBB13_161
; %bb.146:
	s_andn2_b64 vcc, exec, s[28:29]
	s_cbranch_vccnz .LBB13_148
; %bb.147:
	v_cmp_eq_u32_e32 vcc, 1, v0
	v_cndmask_b32_e32 v90, v31, v33, vcc
	v_cmp_eq_u32_e64 s[4:5], 2, v0
	v_cndmask_b32_e64 v90, v90, v35, s[4:5]
	v_cmp_eq_u32_e64 s[6:7], 3, v0
	v_cndmask_b32_e64 v90, v90, v37, s[6:7]
	;; [unrolled: 2-line block ×12, first 2 shown]
	v_cndmask_b32_e32 v90, v30, v32, vcc
	v_cndmask_b32_e64 v90, v90, v34, s[4:5]
	v_cndmask_b32_e64 v90, v90, v36, s[6:7]
	;; [unrolled: 1-line block ×8, first 2 shown]
	ds_read_b64 v[94:95], v93
	v_cndmask_b32_e64 v90, v90, v50, s[20:21]
	v_cndmask_b32_e64 v90, v90, v52, s[22:23]
	;; [unrolled: 1-line block ×4, first 2 shown]
	s_waitcnt lgkmcnt(0)
	v_mul_f64 v[90:91], v[90:91], v[94:95]
	s_cbranch_execz .LBB13_149
	s_branch .LBB13_150
.LBB13_148:
                                        ; implicit-def: $vgpr90_vgpr91
.LBB13_149:
	ds_read_b64 v[90:91], v93
.LBB13_150:
	s_and_saveexec_b64 s[6:7], s[2:3]
	s_cbranch_execz .LBB13_160
; %bb.151:
	v_add_u32_e32 v92, -4, v0
	v_add_u32_e32 v95, -3, v0
	v_cmp_lt_u32_e32 vcc, 6, v92
	v_mov_b32_e32 v92, 3
	s_and_saveexec_b64 s[2:3], vcc
	s_cbranch_execz .LBB13_155
; %bb.152:
	v_and_b32_e32 v92, -8, v95
	v_sub_u32_e32 v94, 0, v92
	s_mov_b64 s[4:5], 10
	s_movk_i32 s10, 0x88
	s_mov_b64 s[8:9], 0
.LBB13_153:                             ; =>This Inner Loop Header: Depth=1
	s_lshl_b32 s11, s4, 1
	s_add_i32 s12, s11, -13
	v_mov_b32_e32 v110, s10
	s_add_i32 s13, s11, -14
	s_set_gpr_idx_on s12, gpr_idx(SRC0)
	v_mov_b32_e32 v105, v30
	s_set_gpr_idx_off
	s_add_i32 s14, s11, -11
	s_set_gpr_idx_on s13, gpr_idx(SRC0)
	v_mov_b32_e32 v104, v30
	s_set_gpr_idx_off
	ds_read2_b64 v[96:99], v110 offset1:1
	s_add_i32 s15, s11, -12
	s_set_gpr_idx_on s14, gpr_idx(SRC0)
	v_mov_b32_e32 v107, v30
	s_set_gpr_idx_off
	s_add_i32 s16, s11, -9
	s_set_gpr_idx_on s15, gpr_idx(SRC0)
	v_mov_b32_e32 v106, v30
	s_set_gpr_idx_off
	;; [unrolled: 4-line block ×4, first 2 shown]
	ds_read2_b64 v[100:103], v110 offset0:2 offset1:3
	s_add_i32 s19, s11, -8
	s_waitcnt lgkmcnt(1)
	v_fmac_f64_e32 v[90:91], v[104:105], v[96:97]
	s_set_gpr_idx_on s18, gpr_idx(SRC0)
	v_mov_b32_e32 v105, v30
	s_set_gpr_idx_off
	s_add_i32 s20, s11, -5
	v_fmac_f64_e32 v[90:91], v[106:107], v[98:99]
	s_set_gpr_idx_on s19, gpr_idx(SRC0)
	v_mov_b32_e32 v104, v30
	s_set_gpr_idx_off
	s_add_i32 s21, s11, -6
	s_set_gpr_idx_on s20, gpr_idx(SRC0)
	v_mov_b32_e32 v107, v30
	s_set_gpr_idx_off
	s_add_i32 s22, s11, -3
	;; [unrolled: 4-line block ×3, first 2 shown]
	ds_read2_b64 v[96:99], v110 offset0:4 offset1:5
	s_waitcnt lgkmcnt(1)
	v_fmac_f64_e32 v[90:91], v[108:109], v[100:101]
	s_set_gpr_idx_on s22, gpr_idx(SRC0)
	v_mov_b32_e32 v109, v30
	s_set_gpr_idx_off
	s_add_i32 s24, s11, -1
	v_fmac_f64_e32 v[90:91], v[104:105], v[102:103]
	s_set_gpr_idx_on s23, gpr_idx(SRC0)
	v_mov_b32_e32 v108, v30
	s_set_gpr_idx_off
	s_add_i32 s25, s11, -2
	s_set_gpr_idx_on s24, gpr_idx(SRC0)
	v_mov_b32_e32 v105, v30
	s_set_gpr_idx_off
	s_set_gpr_idx_on s25, gpr_idx(SRC0)
	v_mov_b32_e32 v104, v30
	s_set_gpr_idx_off
	ds_read2_b64 v[100:103], v110 offset0:6 offset1:7
	s_add_u32 s4, s4, 8
	s_waitcnt lgkmcnt(1)
	v_fmac_f64_e32 v[90:91], v[106:107], v[96:97]
	s_set_gpr_idx_on s11, gpr_idx(SRC0)
	v_mov_b32_e32 v97, v31
	s_set_gpr_idx_off
	v_add_u32_e32 v92, s4, v94
	v_fmac_f64_e32 v[90:91], v[108:109], v[98:99]
	s_set_gpr_idx_on s11, gpr_idx(SRC0)
	v_mov_b32_e32 v96, v30
	s_set_gpr_idx_off
	s_addc_u32 s5, s5, 0
	s_add_i32 s10, s10, 64
	s_add_i32 s12, s4, -7
	v_cmp_eq_u32_e32 vcc, 10, v92
	s_waitcnt lgkmcnt(0)
	v_fmac_f64_e32 v[90:91], v[104:105], v[100:101]
	v_mov_b32_e32 v92, s12
	s_or_b64 s[8:9], vcc, s[8:9]
	v_fmac_f64_e32 v[90:91], v[96:97], v[102:103]
	s_andn2_b64 exec, exec, s[8:9]
	s_cbranch_execnz .LBB13_153
; %bb.154:
	s_or_b64 exec, exec, s[8:9]
.LBB13_155:
	s_or_b64 exec, exec, s[2:3]
	v_and_b32_e32 v58, 7, v95
	v_cmp_ne_u32_e32 vcc, 0, v58
	s_and_saveexec_b64 s[8:9], vcc
	s_cbranch_execz .LBB13_159
; %bb.156:
	v_mov_b32_e32 v59, 0x70
	v_lshl_add_u32 v60, v92, 3, v59
	v_mov_b32_e32 v59, 0
	s_mov_b64 s[10:11], 0
.LBB13_157:                             ; =>This Inner Loop Header: Depth=1
	v_cmp_eq_u32_e32 vcc, 1, v92
	v_cndmask_b32_e32 v61, v31, v33, vcc
	v_add_u32_e32 v58, -1, v58
	v_cmp_eq_u32_e64 s[2:3], 2, v92
	v_cndmask_b32_e64 v61, v61, v35, s[2:3]
	v_cndmask_b32_e32 v96, v30, v32, vcc
	v_cmp_eq_u32_e32 vcc, 0, v58
	v_cmp_eq_u32_e64 s[4:5], 3, v92
	v_cndmask_b32_e64 v61, v61, v37, s[4:5]
	v_cndmask_b32_e64 v96, v96, v34, s[2:3]
	s_or_b64 s[10:11], vcc, s[10:11]
	v_cmp_eq_u32_e32 vcc, 4, v92
	v_cndmask_b32_e32 v61, v61, v39, vcc
	v_cndmask_b32_e64 v96, v96, v36, s[4:5]
	v_cmp_eq_u32_e64 s[2:3], 5, v92
	v_cndmask_b32_e64 v61, v61, v41, s[2:3]
	v_cndmask_b32_e32 v96, v96, v38, vcc
	v_cmp_eq_u32_e32 vcc, 6, v92
	v_cndmask_b32_e32 v61, v61, v43, vcc
	v_cndmask_b32_e64 v96, v96, v40, s[2:3]
	v_cmp_eq_u32_e64 s[2:3], 7, v92
	v_cndmask_b32_e64 v61, v61, v45, s[2:3]
	v_cndmask_b32_e32 v96, v96, v42, vcc
	;; [unrolled: 6-line block ×3, first 2 shown]
	v_cmp_eq_u32_e32 vcc, 10, v92
	ds_read_b64 v[94:95], v60
	v_cndmask_b32_e32 v61, v61, v51, vcc
	v_cndmask_b32_e64 v96, v96, v48, s[2:3]
	v_cmp_eq_u32_e64 s[2:3], 11, v92
	v_cndmask_b32_e64 v61, v61, v53, s[2:3]
	v_cndmask_b32_e32 v96, v96, v50, vcc
	v_cmp_eq_u32_e32 vcc, 12, v92
	v_cndmask_b32_e32 v61, v61, v55, vcc
	v_cmp_eq_u32_e64 s[4:5], 13, v92
	v_cndmask_b32_e64 v96, v96, v52, s[2:3]
	v_cndmask_b32_e64 v97, v61, v57, s[4:5]
	v_cndmask_b32_e32 v61, v96, v54, vcc
	v_add_co_u32_e64 v92, s[2:3], 1, v92
	v_cndmask_b32_e64 v96, v61, v56, s[4:5]
	v_add_u32_e32 v60, 8, v60
	v_addc_co_u32_e64 v59, s[2:3], 0, v59, s[2:3]
	s_waitcnt lgkmcnt(0)
	v_fmac_f64_e32 v[90:91], v[96:97], v[94:95]
	s_andn2_b64 exec, exec, s[10:11]
	s_cbranch_execnz .LBB13_157
; %bb.158:
	s_or_b64 exec, exec, s[10:11]
.LBB13_159:
	s_or_b64 exec, exec, s[8:9]
.LBB13_160:
	s_or_b64 exec, exec, s[6:7]
	v_mov_b32_e32 v34, 0
	ds_read_b64 v[34:35], v34 offset:16
	s_waitcnt lgkmcnt(0)
	v_mul_f64 v[34:35], v[90:91], v[34:35]
.LBB13_161:
	s_or_b64 exec, exec, s[30:31]
	v_cmp_lt_u32_e64 s[2:3], 1, v0
	ds_write_b64 v93, v[32:33]
	s_waitcnt lgkmcnt(0)
	; wave barrier
	s_waitcnt lgkmcnt(0)
	s_and_saveexec_b64 s[30:31], s[2:3]
	s_cbranch_execz .LBB13_177
; %bb.162:
	s_andn2_b64 vcc, exec, s[28:29]
	s_cbranch_vccnz .LBB13_164
; %bb.163:
	v_cmp_eq_u32_e32 vcc, 1, v0
	v_cndmask_b32_e32 v90, v31, v33, vcc
	v_cmp_eq_u32_e64 s[4:5], 2, v0
	v_cndmask_b32_e64 v90, v90, v35, s[4:5]
	v_cmp_eq_u32_e64 s[6:7], 3, v0
	v_cndmask_b32_e64 v90, v90, v37, s[6:7]
	;; [unrolled: 2-line block ×12, first 2 shown]
	v_cndmask_b32_e32 v90, v30, v32, vcc
	v_cndmask_b32_e64 v90, v90, v34, s[4:5]
	v_cndmask_b32_e64 v90, v90, v36, s[6:7]
	;; [unrolled: 1-line block ×8, first 2 shown]
	ds_read_b64 v[94:95], v93
	v_cndmask_b32_e64 v90, v90, v50, s[20:21]
	v_cndmask_b32_e64 v90, v90, v52, s[22:23]
	v_cndmask_b32_e64 v90, v90, v54, s[24:25]
	v_cndmask_b32_e64 v90, v90, v56, s[26:27]
	s_waitcnt lgkmcnt(0)
	v_mul_f64 v[90:91], v[90:91], v[94:95]
	s_cbranch_execz .LBB13_165
	s_branch .LBB13_166
.LBB13_164:
                                        ; implicit-def: $vgpr90_vgpr91
.LBB13_165:
	ds_read_b64 v[90:91], v93
.LBB13_166:
	s_and_saveexec_b64 s[6:7], s[0:1]
	s_cbranch_execz .LBB13_176
; %bb.167:
	v_add_u32_e32 v92, -3, v0
	v_add_u32_e32 v95, -2, v0
	v_cmp_lt_u32_e32 vcc, 6, v92
	v_mov_b32_e32 v92, 2
	s_and_saveexec_b64 s[0:1], vcc
	s_cbranch_execz .LBB13_171
; %bb.168:
	v_and_b32_e32 v92, -8, v95
	v_sub_u32_e32 v94, 0, v92
	s_mov_b64 s[4:5], 9
	s_movk_i32 s10, 0x80
	s_mov_b64 s[8:9], 0
.LBB13_169:                             ; =>This Inner Loop Header: Depth=1
	s_lshl_b32 s11, s4, 1
	s_add_i32 s12, s11, -13
	s_add_i32 s13, s11, -14
	s_set_gpr_idx_on s12, gpr_idx(SRC0)
	v_mov_b32_e32 v113, v30
	s_set_gpr_idx_off
	v_mov_b32_e32 v92, s10
	s_add_i32 s14, s11, -11
	s_set_gpr_idx_on s13, gpr_idx(SRC0)
	v_mov_b32_e32 v112, v30
	s_set_gpr_idx_off
	s_add_i32 s15, s11, -12
	ds_read_b128 v[96:99], v92
	ds_read_b128 v[100:103], v92 offset:16
	ds_read_b128 v[104:107], v92 offset:32
	;; [unrolled: 1-line block ×3, first 2 shown]
	s_set_gpr_idx_on s14, gpr_idx(SRC0)
	v_mov_b32_e32 v115, v30
	s_set_gpr_idx_off
	s_add_i32 s16, s11, -9
	s_set_gpr_idx_on s15, gpr_idx(SRC0)
	v_mov_b32_e32 v114, v30
	s_set_gpr_idx_off
	s_add_i32 s17, s11, -10
	;; [unrolled: 4-line block ×4, first 2 shown]
	s_waitcnt lgkmcnt(3)
	v_fmac_f64_e32 v[90:91], v[112:113], v[96:97]
	s_set_gpr_idx_on s18, gpr_idx(SRC0)
	v_mov_b32_e32 v97, v30
	s_set_gpr_idx_off
	s_add_i32 s20, s11, -5
	v_fmac_f64_e32 v[90:91], v[114:115], v[98:99]
	s_set_gpr_idx_on s19, gpr_idx(SRC0)
	v_mov_b32_e32 v96, v30
	s_set_gpr_idx_off
	s_add_i32 s21, s11, -6
	s_waitcnt lgkmcnt(2)
	v_fmac_f64_e32 v[90:91], v[116:117], v[100:101]
	s_set_gpr_idx_on s20, gpr_idx(SRC0)
	v_mov_b32_e32 v99, v30
	s_set_gpr_idx_off
	s_add_i32 s22, s11, -3
	v_fmac_f64_e32 v[90:91], v[96:97], v[102:103]
	s_set_gpr_idx_on s21, gpr_idx(SRC0)
	v_mov_b32_e32 v98, v30
	s_set_gpr_idx_off
	s_add_i32 s23, s11, -4
	s_waitcnt lgkmcnt(1)
	v_fmac_f64_e32 v[90:91], v[98:99], v[104:105]
	s_set_gpr_idx_on s22, gpr_idx(SRC0)
	v_mov_b32_e32 v97, v30
	s_set_gpr_idx_off
	s_add_i32 s24, s11, -1
	s_set_gpr_idx_on s23, gpr_idx(SRC0)
	v_mov_b32_e32 v96, v30
	s_set_gpr_idx_off
	s_add_i32 s25, s11, -2
	v_fmac_f64_e32 v[90:91], v[96:97], v[106:107]
	s_set_gpr_idx_on s24, gpr_idx(SRC0)
	v_mov_b32_e32 v97, v30
	s_set_gpr_idx_off
	s_add_u32 s4, s4, 8
	s_set_gpr_idx_on s25, gpr_idx(SRC0)
	v_mov_b32_e32 v96, v30
	s_set_gpr_idx_off
	v_add_u32_e32 v92, s4, v94
	s_waitcnt lgkmcnt(0)
	v_fmac_f64_e32 v[90:91], v[96:97], v[108:109]
	s_set_gpr_idx_on s11, gpr_idx(SRC0)
	v_mov_b32_e32 v97, v31
	s_set_gpr_idx_off
	s_addc_u32 s5, s5, 0
	s_add_i32 s10, s10, 64
	s_add_i32 s12, s4, -7
	v_cmp_eq_u32_e32 vcc, 9, v92
	s_set_gpr_idx_on s11, gpr_idx(SRC0)
	v_mov_b32_e32 v96, v30
	s_set_gpr_idx_off
	v_mov_b32_e32 v92, s12
	s_or_b64 s[8:9], vcc, s[8:9]
	v_fmac_f64_e32 v[90:91], v[96:97], v[110:111]
	s_andn2_b64 exec, exec, s[8:9]
	s_cbranch_execnz .LBB13_169
; %bb.170:
	s_or_b64 exec, exec, s[8:9]
.LBB13_171:
	s_or_b64 exec, exec, s[0:1]
	v_and_b32_e32 v58, 7, v95
	v_cmp_ne_u32_e32 vcc, 0, v58
	s_and_saveexec_b64 s[8:9], vcc
	s_cbranch_execz .LBB13_175
; %bb.172:
	v_mov_b32_e32 v59, 0x70
	v_lshl_add_u32 v60, v92, 3, v59
	v_mov_b32_e32 v59, 0
	s_mov_b64 s[10:11], 0
.LBB13_173:                             ; =>This Inner Loop Header: Depth=1
	v_cmp_eq_u32_e32 vcc, 1, v92
	v_cndmask_b32_e32 v61, v31, v33, vcc
	v_add_u32_e32 v58, -1, v58
	v_cmp_eq_u32_e64 s[0:1], 2, v92
	v_cndmask_b32_e64 v61, v61, v35, s[0:1]
	v_cndmask_b32_e32 v96, v30, v32, vcc
	v_cmp_eq_u32_e32 vcc, 0, v58
	v_cmp_eq_u32_e64 s[4:5], 3, v92
	v_cndmask_b32_e64 v61, v61, v37, s[4:5]
	v_cndmask_b32_e64 v96, v96, v34, s[0:1]
	s_or_b64 s[10:11], vcc, s[10:11]
	v_cmp_eq_u32_e32 vcc, 4, v92
	v_cndmask_b32_e32 v61, v61, v39, vcc
	v_cndmask_b32_e64 v96, v96, v36, s[4:5]
	v_cmp_eq_u32_e64 s[0:1], 5, v92
	v_cndmask_b32_e64 v61, v61, v41, s[0:1]
	v_cndmask_b32_e32 v96, v96, v38, vcc
	v_cmp_eq_u32_e32 vcc, 6, v92
	v_cndmask_b32_e32 v61, v61, v43, vcc
	v_cndmask_b32_e64 v96, v96, v40, s[0:1]
	v_cmp_eq_u32_e64 s[0:1], 7, v92
	v_cndmask_b32_e64 v61, v61, v45, s[0:1]
	v_cndmask_b32_e32 v96, v96, v42, vcc
	;; [unrolled: 6-line block ×3, first 2 shown]
	v_cmp_eq_u32_e32 vcc, 10, v92
	ds_read_b64 v[94:95], v60
	v_cndmask_b32_e32 v61, v61, v51, vcc
	v_cndmask_b32_e64 v96, v96, v48, s[0:1]
	v_cmp_eq_u32_e64 s[0:1], 11, v92
	v_cndmask_b32_e64 v61, v61, v53, s[0:1]
	v_cndmask_b32_e32 v96, v96, v50, vcc
	v_cmp_eq_u32_e32 vcc, 12, v92
	v_cndmask_b32_e32 v61, v61, v55, vcc
	v_cmp_eq_u32_e64 s[4:5], 13, v92
	v_cndmask_b32_e64 v96, v96, v52, s[0:1]
	v_cndmask_b32_e64 v97, v61, v57, s[4:5]
	v_cndmask_b32_e32 v61, v96, v54, vcc
	v_add_co_u32_e64 v92, s[0:1], 1, v92
	v_cndmask_b32_e64 v96, v61, v56, s[4:5]
	v_add_u32_e32 v60, 8, v60
	v_addc_co_u32_e64 v59, s[0:1], 0, v59, s[0:1]
	s_waitcnt lgkmcnt(0)
	v_fmac_f64_e32 v[90:91], v[96:97], v[94:95]
	s_andn2_b64 exec, exec, s[10:11]
	s_cbranch_execnz .LBB13_173
; %bb.174:
	s_or_b64 exec, exec, s[10:11]
.LBB13_175:
	s_or_b64 exec, exec, s[8:9]
.LBB13_176:
	s_or_b64 exec, exec, s[6:7]
	v_mov_b32_e32 v32, 0
	ds_read_b64 v[32:33], v32 offset:8
	s_waitcnt lgkmcnt(0)
	v_mul_f64 v[32:33], v[90:91], v[32:33]
.LBB13_177:
	s_or_b64 exec, exec, s[30:31]
	v_cmp_ne_u32_e32 vcc, 0, v0
	ds_write_b64 v93, v[30:31]
	s_waitcnt lgkmcnt(0)
	; wave barrier
	s_waitcnt lgkmcnt(0)
	s_and_saveexec_b64 s[26:27], vcc
	s_cbranch_execz .LBB13_193
; %bb.178:
	s_andn2_b64 vcc, exec, s[28:29]
	s_cbranch_vccnz .LBB13_180
; %bb.179:
	v_cmp_eq_u32_e32 vcc, 1, v0
	v_cndmask_b32_e32 v90, v31, v33, vcc
	v_cmp_eq_u32_e64 s[0:1], 2, v0
	v_cndmask_b32_e64 v90, v90, v35, s[0:1]
	v_cmp_eq_u32_e64 s[4:5], 3, v0
	v_cndmask_b32_e64 v90, v90, v37, s[4:5]
	;; [unrolled: 2-line block ×12, first 2 shown]
	v_cndmask_b32_e32 v90, v30, v32, vcc
	v_cndmask_b32_e64 v90, v90, v34, s[0:1]
	v_cndmask_b32_e64 v90, v90, v36, s[4:5]
	;; [unrolled: 1-line block ×8, first 2 shown]
	ds_read_b64 v[94:95], v93
	v_cndmask_b32_e64 v90, v90, v50, s[18:19]
	v_cndmask_b32_e64 v90, v90, v52, s[20:21]
	;; [unrolled: 1-line block ×4, first 2 shown]
	s_waitcnt lgkmcnt(0)
	v_mul_f64 v[90:91], v[90:91], v[94:95]
	s_cbranch_execz .LBB13_181
	s_branch .LBB13_182
.LBB13_180:
                                        ; implicit-def: $vgpr90_vgpr91
.LBB13_181:
	ds_read_b64 v[90:91], v93
.LBB13_182:
	s_and_saveexec_b64 s[4:5], s[2:3]
	s_cbranch_execz .LBB13_192
; %bb.183:
	v_add_u32_e32 v92, -2, v0
	v_add_u32_e32 v95, -1, v0
	v_cmp_lt_u32_e32 vcc, 6, v92
	v_mov_b32_e32 v92, 1
	s_and_saveexec_b64 s[0:1], vcc
	s_cbranch_execz .LBB13_187
; %bb.184:
	v_and_b32_e32 v92, -8, v95
	v_sub_u32_e32 v94, 0, v92
	s_mov_b64 s[2:3], 8
	s_movk_i32 s8, 0x78
	s_mov_b64 s[6:7], 0
.LBB13_185:                             ; =>This Inner Loop Header: Depth=1
	s_lshl_b32 s9, s2, 1
	s_add_i32 s10, s9, -13
	v_mov_b32_e32 v110, s8
	s_add_i32 s11, s9, -14
	s_set_gpr_idx_on s10, gpr_idx(SRC0)
	v_mov_b32_e32 v105, v30
	s_set_gpr_idx_off
	s_add_i32 s12, s9, -11
	s_set_gpr_idx_on s11, gpr_idx(SRC0)
	v_mov_b32_e32 v104, v30
	s_set_gpr_idx_off
	ds_read2_b64 v[96:99], v110 offset1:1
	s_add_i32 s13, s9, -12
	s_set_gpr_idx_on s12, gpr_idx(SRC0)
	v_mov_b32_e32 v107, v30
	s_set_gpr_idx_off
	s_add_i32 s14, s9, -9
	s_set_gpr_idx_on s13, gpr_idx(SRC0)
	v_mov_b32_e32 v106, v30
	s_set_gpr_idx_off
	;; [unrolled: 4-line block ×4, first 2 shown]
	ds_read2_b64 v[100:103], v110 offset0:2 offset1:3
	s_add_i32 s17, s9, -8
	s_waitcnt lgkmcnt(1)
	v_fmac_f64_e32 v[90:91], v[104:105], v[96:97]
	s_set_gpr_idx_on s16, gpr_idx(SRC0)
	v_mov_b32_e32 v105, v30
	s_set_gpr_idx_off
	s_add_i32 s18, s9, -5
	v_fmac_f64_e32 v[90:91], v[106:107], v[98:99]
	s_set_gpr_idx_on s17, gpr_idx(SRC0)
	v_mov_b32_e32 v104, v30
	s_set_gpr_idx_off
	s_add_i32 s19, s9, -6
	s_set_gpr_idx_on s18, gpr_idx(SRC0)
	v_mov_b32_e32 v107, v30
	s_set_gpr_idx_off
	s_add_i32 s20, s9, -3
	s_set_gpr_idx_on s19, gpr_idx(SRC0)
	v_mov_b32_e32 v106, v30
	s_set_gpr_idx_off
	s_add_i32 s21, s9, -4
	ds_read2_b64 v[96:99], v110 offset0:4 offset1:5
	s_waitcnt lgkmcnt(1)
	v_fmac_f64_e32 v[90:91], v[108:109], v[100:101]
	s_set_gpr_idx_on s20, gpr_idx(SRC0)
	v_mov_b32_e32 v109, v30
	s_set_gpr_idx_off
	s_add_i32 s22, s9, -1
	v_fmac_f64_e32 v[90:91], v[104:105], v[102:103]
	s_set_gpr_idx_on s21, gpr_idx(SRC0)
	v_mov_b32_e32 v108, v30
	s_set_gpr_idx_off
	s_add_i32 s23, s9, -2
	s_set_gpr_idx_on s22, gpr_idx(SRC0)
	v_mov_b32_e32 v105, v30
	s_set_gpr_idx_off
	s_set_gpr_idx_on s23, gpr_idx(SRC0)
	v_mov_b32_e32 v104, v30
	s_set_gpr_idx_off
	ds_read2_b64 v[100:103], v110 offset0:6 offset1:7
	s_add_u32 s2, s2, 8
	s_waitcnt lgkmcnt(1)
	v_fmac_f64_e32 v[90:91], v[106:107], v[96:97]
	s_set_gpr_idx_on s9, gpr_idx(SRC0)
	v_mov_b32_e32 v97, v31
	s_set_gpr_idx_off
	v_add_u32_e32 v92, s2, v94
	v_fmac_f64_e32 v[90:91], v[108:109], v[98:99]
	s_set_gpr_idx_on s9, gpr_idx(SRC0)
	v_mov_b32_e32 v96, v30
	s_set_gpr_idx_off
	s_addc_u32 s3, s3, 0
	s_add_i32 s8, s8, 64
	s_add_i32 s10, s2, -7
	v_cmp_eq_u32_e32 vcc, 8, v92
	s_waitcnt lgkmcnt(0)
	v_fmac_f64_e32 v[90:91], v[104:105], v[100:101]
	v_mov_b32_e32 v92, s10
	s_or_b64 s[6:7], vcc, s[6:7]
	v_fmac_f64_e32 v[90:91], v[96:97], v[102:103]
	s_andn2_b64 exec, exec, s[6:7]
	s_cbranch_execnz .LBB13_185
; %bb.186:
	s_or_b64 exec, exec, s[6:7]
.LBB13_187:
	s_or_b64 exec, exec, s[0:1]
	v_and_b32_e32 v58, 7, v95
	v_cmp_ne_u32_e32 vcc, 0, v58
	s_and_saveexec_b64 s[6:7], vcc
	s_cbranch_execz .LBB13_191
; %bb.188:
	v_mov_b32_e32 v59, 0x70
	v_lshl_add_u32 v60, v92, 3, v59
	v_mov_b32_e32 v59, 0
	s_mov_b64 s[8:9], 0
.LBB13_189:                             ; =>This Inner Loop Header: Depth=1
	v_cmp_eq_u32_e32 vcc, 1, v92
	v_cndmask_b32_e32 v61, v31, v33, vcc
	v_add_u32_e32 v58, -1, v58
	v_cmp_eq_u32_e64 s[0:1], 2, v92
	v_cndmask_b32_e64 v61, v61, v35, s[0:1]
	v_cndmask_b32_e32 v96, v30, v32, vcc
	v_cmp_eq_u32_e32 vcc, 0, v58
	v_cmp_eq_u32_e64 s[2:3], 3, v92
	v_cndmask_b32_e64 v61, v61, v37, s[2:3]
	v_cndmask_b32_e64 v96, v96, v34, s[0:1]
	s_or_b64 s[8:9], vcc, s[8:9]
	v_cmp_eq_u32_e32 vcc, 4, v92
	v_cndmask_b32_e32 v61, v61, v39, vcc
	v_cndmask_b32_e64 v96, v96, v36, s[2:3]
	v_cmp_eq_u32_e64 s[0:1], 5, v92
	v_cndmask_b32_e64 v61, v61, v41, s[0:1]
	v_cndmask_b32_e32 v96, v96, v38, vcc
	v_cmp_eq_u32_e32 vcc, 6, v92
	v_cndmask_b32_e32 v61, v61, v43, vcc
	v_cndmask_b32_e64 v96, v96, v40, s[0:1]
	v_cmp_eq_u32_e64 s[0:1], 7, v92
	v_cndmask_b32_e64 v61, v61, v45, s[0:1]
	v_cndmask_b32_e32 v96, v96, v42, vcc
	;; [unrolled: 6-line block ×3, first 2 shown]
	v_cmp_eq_u32_e32 vcc, 10, v92
	ds_read_b64 v[94:95], v60
	v_cndmask_b32_e32 v61, v61, v51, vcc
	v_cndmask_b32_e64 v96, v96, v48, s[0:1]
	v_cmp_eq_u32_e64 s[0:1], 11, v92
	v_cndmask_b32_e64 v61, v61, v53, s[0:1]
	v_cndmask_b32_e32 v96, v96, v50, vcc
	v_cmp_eq_u32_e32 vcc, 12, v92
	v_cndmask_b32_e32 v61, v61, v55, vcc
	v_cmp_eq_u32_e64 s[2:3], 13, v92
	v_cndmask_b32_e64 v96, v96, v52, s[0:1]
	v_cndmask_b32_e64 v97, v61, v57, s[2:3]
	v_cndmask_b32_e32 v61, v96, v54, vcc
	v_add_co_u32_e64 v92, s[0:1], 1, v92
	v_cndmask_b32_e64 v96, v61, v56, s[2:3]
	v_add_u32_e32 v60, 8, v60
	v_addc_co_u32_e64 v59, s[0:1], 0, v59, s[0:1]
	s_waitcnt lgkmcnt(0)
	v_fmac_f64_e32 v[90:91], v[96:97], v[94:95]
	s_andn2_b64 exec, exec, s[8:9]
	s_cbranch_execnz .LBB13_189
; %bb.190:
	s_or_b64 exec, exec, s[8:9]
.LBB13_191:
	s_or_b64 exec, exec, s[6:7]
.LBB13_192:
	s_or_b64 exec, exec, s[4:5]
	v_mov_b32_e32 v30, 0
	ds_read_b64 v[30:31], v30
	s_waitcnt lgkmcnt(0)
	v_mul_f64 v[30:31], v[90:91], v[30:31]
.LBB13_193:
	s_or_b64 exec, exec, s[26:27]
	s_branch .LBB13_329
.LBB13_194:
	v_cmp_eq_u32_e64 s[2:3], 0, v0
	s_waitcnt vmcnt(13)
	ds_write_b64 v93, v[4:5]
	s_waitcnt lgkmcnt(0)
	; wave barrier
	s_waitcnt lgkmcnt(0)
	s_and_saveexec_b64 s[26:27], s[2:3]
	s_cbranch_execz .LBB13_200
; %bb.195:
	s_and_b64 vcc, exec, s[28:29]
	s_cbranch_vccz .LBB13_197
; %bb.196:
	v_cmp_eq_u32_e32 vcc, 1, v0
	s_waitcnt vmcnt(1)
	v_cndmask_b32_e32 v5, v3, v5, vcc
	v_cmp_eq_u32_e64 s[0:1], 2, v0
	v_cndmask_b32_e32 v4, v2, v4, vcc
	v_cndmask_b32_e64 v5, v5, v7, s[0:1]
	v_cmp_eq_u32_e64 s[4:5], 3, v0
	v_cndmask_b32_e64 v4, v4, v6, s[0:1]
	v_cndmask_b32_e64 v5, v5, v9, s[4:5]
	v_cmp_eq_u32_e64 s[6:7], 4, v0
	v_cndmask_b32_e64 v4, v4, v8, s[4:5]
	;; [unrolled: 3-line block ×8, first 2 shown]
	ds_read_b64 v[30:31], v93
	v_cndmask_b32_e64 v5, v5, v23, s[18:19]
	v_cmp_eq_u32_e64 s[20:21], 11, v0
	v_cndmask_b32_e64 v4, v4, v22, s[18:19]
	v_cndmask_b32_e64 v5, v5, v25, s[20:21]
	v_cmp_eq_u32_e64 s[22:23], 12, v0
	v_cndmask_b32_e64 v4, v4, v24, s[20:21]
	;; [unrolled: 3-line block ×3, first 2 shown]
	s_waitcnt vmcnt(0)
	v_cndmask_b32_e64 v5, v5, v29, s[24:25]
	v_cndmask_b32_e64 v4, v4, v28, s[24:25]
	s_waitcnt lgkmcnt(0)
	v_mul_f64 v[4:5], v[4:5], v[30:31]
	s_cbranch_execz .LBB13_198
	s_branch .LBB13_199
.LBB13_197:
                                        ; implicit-def: $vgpr4_vgpr5
.LBB13_198:
	ds_read_b64 v[4:5], v93
.LBB13_199:
	v_mov_b32_e32 v30, 0
	ds_read_b64 v[30:31], v30 offset:8
	s_waitcnt lgkmcnt(0)
	v_mul_f64 v[4:5], v[4:5], v[30:31]
.LBB13_200:
	s_or_b64 exec, exec, s[26:27]
	v_cndmask_b32_e64 v30, 0, 1, s[28:29]
	v_add_u32_e32 v34, 1, v0
	v_cmp_gt_u32_e32 vcc, 2, v0
	v_cmp_ne_u32_e64 s[0:1], 1, v30
	s_waitcnt vmcnt(12)
	ds_write_b64 v93, v[6:7]
	s_waitcnt lgkmcnt(0)
	; wave barrier
	s_waitcnt lgkmcnt(0)
	s_and_saveexec_b64 s[28:29], vcc
	s_cbranch_execz .LBB13_208
; %bb.201:
	s_and_b64 vcc, exec, s[0:1]
	s_cbranch_vccnz .LBB13_203
; %bb.202:
	v_cmp_eq_u32_e32 vcc, 1, v0
	s_waitcnt vmcnt(1)
	v_cndmask_b32_e32 v30, v3, v5, vcc
	v_cmp_eq_u32_e64 s[4:5], 2, v0
	v_cndmask_b32_e64 v30, v30, v7, s[4:5]
	v_cmp_eq_u32_e64 s[6:7], 3, v0
	v_cndmask_b32_e64 v30, v30, v9, s[6:7]
	;; [unrolled: 2-line block ×11, first 2 shown]
	v_cmp_eq_u32_e64 s[26:27], 13, v0
	s_waitcnt vmcnt(0)
	v_cndmask_b32_e64 v31, v30, v29, s[26:27]
	v_cndmask_b32_e32 v30, v2, v4, vcc
	v_cndmask_b32_e64 v30, v30, v6, s[4:5]
	v_cndmask_b32_e64 v30, v30, v8, s[6:7]
	;; [unrolled: 1-line block ×8, first 2 shown]
	ds_read_b64 v[32:33], v93
	v_cndmask_b32_e64 v30, v30, v22, s[20:21]
	v_cndmask_b32_e64 v30, v30, v24, s[22:23]
	;; [unrolled: 1-line block ×4, first 2 shown]
	s_waitcnt lgkmcnt(0)
	v_mul_f64 v[30:31], v[30:31], v[32:33]
	s_cbranch_execz .LBB13_204
	s_branch .LBB13_205
.LBB13_203:
                                        ; implicit-def: $vgpr30_vgpr31
.LBB13_204:
	ds_read_b64 v[30:31], v93
.LBB13_205:
	s_and_saveexec_b64 s[30:31], s[2:3]
	s_cbranch_execz .LBB13_207
; %bb.206:
	v_cmp_eq_u32_e32 vcc, 1, v34
	s_waitcnt vmcnt(1)
	v_cndmask_b32_e32 v32, v3, v5, vcc
	v_cmp_eq_u32_e64 s[4:5], 2, v34
	v_cndmask_b32_e64 v7, v32, v7, s[4:5]
	v_cndmask_b32_e32 v32, v2, v4, vcc
	v_cmp_eq_u32_e64 s[6:7], 3, v34
	v_cndmask_b32_e64 v6, v32, v6, s[4:5]
	v_cndmask_b32_e64 v7, v7, v9, s[6:7]
	v_cmp_eq_u32_e64 s[8:9], 4, v34
	v_cndmask_b32_e64 v6, v6, v8, s[6:7]
	v_cndmask_b32_e64 v7, v7, v11, s[8:9]
	v_cmp_eq_u32_e64 s[10:11], 5, v34
	v_cndmask_b32_e64 v6, v6, v10, s[8:9]
	v_cndmask_b32_e64 v7, v7, v13, s[10:11]
	v_cmp_eq_u32_e64 s[12:13], 6, v34
	v_cndmask_b32_e64 v6, v6, v12, s[10:11]
	v_cndmask_b32_e64 v7, v7, v15, s[12:13]
	v_cmp_eq_u32_e64 s[14:15], 7, v34
	v_cndmask_b32_e64 v6, v6, v14, s[12:13]
	v_cndmask_b32_e64 v7, v7, v17, s[14:15]
	v_cmp_eq_u32_e64 s[16:17], 8, v34
	v_cndmask_b32_e64 v6, v6, v16, s[14:15]
	v_cndmask_b32_e64 v7, v7, v19, s[16:17]
	v_cmp_eq_u32_e64 s[18:19], 9, v34
	v_cndmask_b32_e64 v6, v6, v18, s[16:17]
	v_cndmask_b32_e64 v7, v7, v21, s[18:19]
	v_cmp_eq_u32_e64 s[20:21], 10, v34
	v_cndmask_b32_e64 v6, v6, v20, s[18:19]
	ds_read_b64 v[32:33], v93 offset:8
	v_cndmask_b32_e64 v7, v7, v23, s[20:21]
	v_cmp_eq_u32_e64 s[22:23], 11, v34
	v_cndmask_b32_e64 v6, v6, v22, s[20:21]
	v_cndmask_b32_e64 v7, v7, v25, s[22:23]
	v_cmp_eq_u32_e64 s[24:25], 12, v34
	v_cndmask_b32_e64 v6, v6, v24, s[22:23]
	;; [unrolled: 3-line block ×3, first 2 shown]
	s_waitcnt vmcnt(0)
	v_cndmask_b32_e64 v7, v7, v29, s[26:27]
	v_cndmask_b32_e64 v6, v6, v28, s[26:27]
	s_waitcnt lgkmcnt(0)
	v_fmac_f64_e32 v[30:31], v[6:7], v[32:33]
.LBB13_207:
	s_or_b64 exec, exec, s[30:31]
	v_mov_b32_e32 v6, 0
	ds_read_b64 v[6:7], v6 offset:16
	s_waitcnt lgkmcnt(0)
	v_mul_f64 v[6:7], v[30:31], v[6:7]
.LBB13_208:
	s_or_b64 exec, exec, s[28:29]
	v_cmp_gt_u32_e64 s[4:5], 3, v0
	s_waitcnt vmcnt(11)
	ds_write_b64 v93, v[8:9]
	s_waitcnt lgkmcnt(0)
	; wave barrier
	s_waitcnt lgkmcnt(0)
	s_and_saveexec_b64 s[30:31], s[4:5]
	s_cbranch_execz .LBB13_216
; %bb.209:
	s_and_b64 vcc, exec, s[0:1]
	s_cbranch_vccnz .LBB13_211
; %bb.210:
	v_cmp_eq_u32_e32 vcc, 1, v0
	s_waitcnt vmcnt(1)
	v_cndmask_b32_e32 v30, v3, v5, vcc
	v_cmp_eq_u32_e64 s[6:7], 2, v0
	v_cndmask_b32_e64 v30, v30, v7, s[6:7]
	v_cmp_eq_u32_e64 s[8:9], 3, v0
	v_cndmask_b32_e64 v30, v30, v9, s[8:9]
	;; [unrolled: 2-line block ×11, first 2 shown]
	v_cmp_eq_u32_e64 s[28:29], 13, v0
	s_waitcnt vmcnt(0)
	v_cndmask_b32_e64 v31, v30, v29, s[28:29]
	v_cndmask_b32_e32 v30, v2, v4, vcc
	v_cndmask_b32_e64 v30, v30, v6, s[6:7]
	v_cndmask_b32_e64 v30, v30, v8, s[8:9]
	;; [unrolled: 1-line block ×8, first 2 shown]
	ds_read_b64 v[32:33], v93
	v_cndmask_b32_e64 v30, v30, v22, s[22:23]
	v_cndmask_b32_e64 v30, v30, v24, s[24:25]
	;; [unrolled: 1-line block ×4, first 2 shown]
	s_waitcnt lgkmcnt(0)
	v_mul_f64 v[30:31], v[30:31], v[32:33]
	s_cbranch_execz .LBB13_212
	s_branch .LBB13_213
.LBB13_211:
                                        ; implicit-def: $vgpr30_vgpr31
.LBB13_212:
	ds_read_b64 v[30:31], v93
.LBB13_213:
	v_cmp_ne_u32_e32 vcc, 2, v0
	s_and_saveexec_b64 s[34:35], vcc
	s_cbranch_execz .LBB13_215
; %bb.214:
	v_cmp_eq_u32_e32 vcc, 1, v34
	s_waitcnt vmcnt(1)
	v_cndmask_b32_e32 v32, v3, v5, vcc
	v_cmp_eq_u32_e64 s[6:7], 2, v34
	v_cndmask_b32_e64 v32, v32, v7, s[6:7]
	v_cmp_eq_u32_e64 s[8:9], 3, v34
	v_cndmask_b32_e64 v9, v32, v9, s[8:9]
	v_cndmask_b32_e32 v32, v2, v4, vcc
	v_cndmask_b32_e64 v32, v32, v6, s[6:7]
	v_cmp_eq_u32_e64 s[10:11], 4, v34
	v_cndmask_b32_e64 v8, v32, v8, s[8:9]
	v_cndmask_b32_e64 v9, v9, v11, s[10:11]
	v_cmp_eq_u32_e64 s[12:13], 5, v34
	v_cndmask_b32_e64 v8, v8, v10, s[10:11]
	;; [unrolled: 3-line block ×8, first 2 shown]
	v_mov_b32_e32 v35, 0
	ds_read_b64 v[32:33], v93 offset:8
	ds_read_b64 v[36:37], v35 offset:128
	v_cndmask_b32_e64 v9, v9, v25, s[24:25]
	v_cmp_eq_u32_e64 s[26:27], 12, v34
	v_cndmask_b32_e64 v8, v8, v24, s[24:25]
	v_cndmask_b32_e64 v9, v9, v27, s[26:27]
	v_cmp_eq_u32_e64 s[28:29], 13, v34
	v_cndmask_b32_e64 v8, v8, v26, s[26:27]
	s_waitcnt vmcnt(0)
	v_cndmask_b32_e64 v9, v9, v29, s[28:29]
	v_cndmask_b32_e64 v8, v8, v28, s[28:29]
	s_waitcnt lgkmcnt(1)
	v_fmac_f64_e32 v[30:31], v[8:9], v[32:33]
	s_waitcnt lgkmcnt(0)
	v_fma_f64 v[8:9], v[6:7], v[36:37], v[30:31]
	v_cndmask_b32_e64 v31, v31, v9, s[2:3]
	v_cndmask_b32_e64 v30, v30, v8, s[2:3]
.LBB13_215:
	s_or_b64 exec, exec, s[34:35]
	v_mov_b32_e32 v8, 0
	ds_read_b64 v[8:9], v8 offset:24
	s_waitcnt lgkmcnt(0)
	v_mul_f64 v[8:9], v[30:31], v[8:9]
.LBB13_216:
	s_or_b64 exec, exec, s[30:31]
	v_cmp_gt_u32_e32 vcc, 4, v0
	s_waitcnt vmcnt(10)
	ds_write_b64 v93, v[10:11]
	s_waitcnt lgkmcnt(0)
	; wave barrier
	s_waitcnt lgkmcnt(0)
	s_and_saveexec_b64 s[30:31], vcc
	s_cbranch_execz .LBB13_226
; %bb.217:
	s_and_b64 vcc, exec, s[0:1]
	s_cbranch_vccnz .LBB13_219
; %bb.218:
	v_cmp_eq_u32_e32 vcc, 1, v0
	s_waitcnt vmcnt(1)
	v_cndmask_b32_e32 v30, v3, v5, vcc
	v_cmp_eq_u32_e64 s[6:7], 2, v0
	v_cndmask_b32_e64 v30, v30, v7, s[6:7]
	v_cmp_eq_u32_e64 s[8:9], 3, v0
	v_cndmask_b32_e64 v30, v30, v9, s[8:9]
	;; [unrolled: 2-line block ×11, first 2 shown]
	v_cmp_eq_u32_e64 s[28:29], 13, v0
	s_waitcnt vmcnt(0)
	v_cndmask_b32_e64 v31, v30, v29, s[28:29]
	v_cndmask_b32_e32 v30, v2, v4, vcc
	v_cndmask_b32_e64 v30, v30, v6, s[6:7]
	v_cndmask_b32_e64 v30, v30, v8, s[8:9]
	;; [unrolled: 1-line block ×8, first 2 shown]
	ds_read_b64 v[32:33], v93
	v_cndmask_b32_e64 v30, v30, v22, s[22:23]
	v_cndmask_b32_e64 v30, v30, v24, s[24:25]
	;; [unrolled: 1-line block ×4, first 2 shown]
	s_waitcnt lgkmcnt(0)
	v_mul_f64 v[30:31], v[30:31], v[32:33]
	s_cbranch_execz .LBB13_220
	s_branch .LBB13_221
.LBB13_219:
                                        ; implicit-def: $vgpr30_vgpr31
.LBB13_220:
	ds_read_b64 v[30:31], v93
.LBB13_221:
	v_cmp_ne_u32_e32 vcc, 3, v0
	s_and_saveexec_b64 s[10:11], vcc
	s_cbranch_execz .LBB13_225
; %bb.222:
	v_mov_b32_e32 v32, 0x78
	v_lshl_add_u32 v35, v0, 3, v32
	s_mov_b64 s[12:13], 0
	v_pk_mov_b32 v[32:33], v[0:1], v[0:1] op_sel:[0,1]
.LBB13_223:                             ; =>This Inner Loop Header: Depth=1
	v_add_co_u32_e32 v32, vcc, 1, v32
	v_addc_co_u32_e32 v33, vcc, 0, v33, vcc
	v_cmp_eq_u32_e32 vcc, 1, v32
	s_waitcnt vmcnt(1)
	v_cndmask_b32_e32 v38, v3, v5, vcc
	v_cmp_eq_u32_e64 s[8:9], 2, v32
	v_cmp_lt_u32_e64 s[6:7], 2, v32
	v_cndmask_b32_e64 v38, v38, v7, s[8:9]
	v_cndmask_b32_e32 v39, v2, v4, vcc
	v_cmp_eq_u32_e32 vcc, 3, v32
	s_or_b64 s[12:13], s[6:7], s[12:13]
	v_cndmask_b32_e32 v38, v38, v9, vcc
	v_cndmask_b32_e64 v39, v39, v6, s[8:9]
	v_cmp_eq_u32_e64 s[6:7], 4, v32
	v_cndmask_b32_e64 v38, v38, v11, s[6:7]
	v_cndmask_b32_e32 v39, v39, v8, vcc
	v_cmp_eq_u32_e32 vcc, 5, v32
	v_cndmask_b32_e32 v38, v38, v13, vcc
	v_cndmask_b32_e64 v39, v39, v10, s[6:7]
	v_cmp_eq_u32_e64 s[6:7], 6, v32
	v_cndmask_b32_e64 v38, v38, v15, s[6:7]
	v_cndmask_b32_e32 v39, v39, v12, vcc
	v_cmp_eq_u32_e32 vcc, 7, v32
	;; [unrolled: 6-line block ×3, first 2 shown]
	v_cndmask_b32_e32 v38, v38, v21, vcc
	v_cndmask_b32_e64 v39, v39, v18, s[6:7]
	v_cmp_eq_u32_e64 s[6:7], 10, v32
	ds_read_b64 v[36:37], v35
	v_cndmask_b32_e64 v38, v38, v23, s[6:7]
	v_cndmask_b32_e32 v39, v39, v20, vcc
	v_cmp_eq_u32_e32 vcc, 11, v32
	v_cndmask_b32_e32 v38, v38, v25, vcc
	v_cndmask_b32_e64 v39, v39, v22, s[6:7]
	v_cmp_eq_u32_e64 s[6:7], 12, v32
	v_cndmask_b32_e64 v38, v38, v27, s[6:7]
	v_cndmask_b32_e32 v40, v39, v24, vcc
	v_cmp_eq_u32_e32 vcc, 13, v32
	s_waitcnt vmcnt(0)
	v_cndmask_b32_e32 v39, v38, v29, vcc
	v_cndmask_b32_e64 v38, v40, v26, s[6:7]
	v_cndmask_b32_e32 v38, v38, v28, vcc
	v_add_u32_e32 v35, 8, v35
	s_waitcnt lgkmcnt(0)
	v_fmac_f64_e32 v[30:31], v[38:39], v[36:37]
	s_andn2_b64 exec, exec, s[12:13]
	s_cbranch_execnz .LBB13_223
; %bb.224:
	s_or_b64 exec, exec, s[12:13]
.LBB13_225:
	s_or_b64 exec, exec, s[10:11]
	v_mov_b32_e32 v10, 0
	ds_read_b64 v[10:11], v10 offset:32
	s_waitcnt lgkmcnt(0)
	v_mul_f64 v[10:11], v[30:31], v[10:11]
.LBB13_226:
	s_or_b64 exec, exec, s[30:31]
	v_cmp_gt_u32_e64 s[6:7], 5, v0
	s_waitcnt vmcnt(9)
	ds_write_b64 v93, v[12:13]
	s_waitcnt lgkmcnt(0)
	; wave barrier
	s_waitcnt lgkmcnt(0)
	s_and_saveexec_b64 s[34:35], s[6:7]
	s_cbranch_execz .LBB13_236
; %bb.227:
	s_and_b64 vcc, exec, s[0:1]
	s_cbranch_vccnz .LBB13_229
; %bb.228:
	v_cmp_eq_u32_e32 vcc, 1, v0
	s_waitcnt vmcnt(1)
	v_cndmask_b32_e32 v30, v3, v5, vcc
	v_cmp_eq_u32_e64 s[8:9], 2, v0
	v_cndmask_b32_e64 v30, v30, v7, s[8:9]
	v_cmp_eq_u32_e64 s[10:11], 3, v0
	v_cndmask_b32_e64 v30, v30, v9, s[10:11]
	;; [unrolled: 2-line block ×11, first 2 shown]
	v_cmp_eq_u32_e64 s[30:31], 13, v0
	s_waitcnt vmcnt(0)
	v_cndmask_b32_e64 v31, v30, v29, s[30:31]
	v_cndmask_b32_e32 v30, v2, v4, vcc
	v_cndmask_b32_e64 v30, v30, v6, s[8:9]
	v_cndmask_b32_e64 v30, v30, v8, s[10:11]
	;; [unrolled: 1-line block ×8, first 2 shown]
	ds_read_b64 v[32:33], v93
	v_cndmask_b32_e64 v30, v30, v22, s[24:25]
	v_cndmask_b32_e64 v30, v30, v24, s[26:27]
	v_cndmask_b32_e64 v30, v30, v26, s[28:29]
	v_cndmask_b32_e64 v30, v30, v28, s[30:31]
	s_waitcnt lgkmcnt(0)
	v_mul_f64 v[30:31], v[30:31], v[32:33]
	s_cbranch_execz .LBB13_230
	s_branch .LBB13_231
.LBB13_229:
                                        ; implicit-def: $vgpr30_vgpr31
.LBB13_230:
	ds_read_b64 v[30:31], v93
.LBB13_231:
	v_cmp_ne_u32_e32 vcc, 4, v0
	s_and_saveexec_b64 s[12:13], vcc
	s_cbranch_execz .LBB13_235
; %bb.232:
	v_mov_b32_e32 v32, 0x78
	v_lshl_add_u32 v35, v0, 3, v32
	s_mov_b64 s[14:15], 0
	v_pk_mov_b32 v[32:33], v[0:1], v[0:1] op_sel:[0,1]
.LBB13_233:                             ; =>This Inner Loop Header: Depth=1
	v_add_co_u32_e32 v32, vcc, 1, v32
	v_addc_co_u32_e32 v33, vcc, 0, v33, vcc
	v_cmp_eq_u32_e32 vcc, 1, v32
	s_waitcnt vmcnt(1)
	v_cndmask_b32_e32 v38, v3, v5, vcc
	v_cmp_eq_u32_e64 s[10:11], 2, v32
	v_cmp_lt_u32_e64 s[8:9], 3, v32
	v_cndmask_b32_e64 v38, v38, v7, s[10:11]
	v_cndmask_b32_e32 v39, v2, v4, vcc
	v_cmp_eq_u32_e32 vcc, 3, v32
	s_or_b64 s[14:15], s[8:9], s[14:15]
	v_cndmask_b32_e32 v38, v38, v9, vcc
	v_cndmask_b32_e64 v39, v39, v6, s[10:11]
	v_cmp_eq_u32_e64 s[8:9], 4, v32
	v_cndmask_b32_e64 v38, v38, v11, s[8:9]
	v_cndmask_b32_e32 v39, v39, v8, vcc
	v_cmp_eq_u32_e32 vcc, 5, v32
	v_cndmask_b32_e32 v38, v38, v13, vcc
	v_cndmask_b32_e64 v39, v39, v10, s[8:9]
	v_cmp_eq_u32_e64 s[8:9], 6, v32
	v_cndmask_b32_e64 v38, v38, v15, s[8:9]
	v_cndmask_b32_e32 v39, v39, v12, vcc
	v_cmp_eq_u32_e32 vcc, 7, v32
	v_cndmask_b32_e32 v38, v38, v17, vcc
	v_cndmask_b32_e64 v39, v39, v14, s[8:9]
	v_cmp_eq_u32_e64 s[8:9], 8, v32
	v_cndmask_b32_e64 v38, v38, v19, s[8:9]
	v_cndmask_b32_e32 v39, v39, v16, vcc
	v_cmp_eq_u32_e32 vcc, 9, v32
	v_cndmask_b32_e32 v38, v38, v21, vcc
	v_cndmask_b32_e64 v39, v39, v18, s[8:9]
	v_cmp_eq_u32_e64 s[8:9], 10, v32
	ds_read_b64 v[36:37], v35
	v_cndmask_b32_e64 v38, v38, v23, s[8:9]
	v_cndmask_b32_e32 v39, v39, v20, vcc
	v_cmp_eq_u32_e32 vcc, 11, v32
	v_cndmask_b32_e32 v38, v38, v25, vcc
	v_cndmask_b32_e64 v39, v39, v22, s[8:9]
	v_cmp_eq_u32_e64 s[8:9], 12, v32
	v_cndmask_b32_e64 v38, v38, v27, s[8:9]
	v_cndmask_b32_e32 v40, v39, v24, vcc
	v_cmp_eq_u32_e32 vcc, 13, v32
	s_waitcnt vmcnt(0)
	v_cndmask_b32_e32 v39, v38, v29, vcc
	v_cndmask_b32_e64 v38, v40, v26, s[8:9]
	v_cndmask_b32_e32 v38, v38, v28, vcc
	v_add_u32_e32 v35, 8, v35
	s_waitcnt lgkmcnt(0)
	v_fmac_f64_e32 v[30:31], v[38:39], v[36:37]
	s_andn2_b64 exec, exec, s[14:15]
	s_cbranch_execnz .LBB13_233
; %bb.234:
	s_or_b64 exec, exec, s[14:15]
.LBB13_235:
	s_or_b64 exec, exec, s[12:13]
	v_mov_b32_e32 v12, 0
	ds_read_b64 v[12:13], v12 offset:40
	s_waitcnt lgkmcnt(0)
	v_mul_f64 v[12:13], v[30:31], v[12:13]
.LBB13_236:
	s_or_b64 exec, exec, s[34:35]
	v_cmp_gt_u32_e32 vcc, 6, v0
	s_waitcnt vmcnt(8)
	ds_write_b64 v93, v[14:15]
	s_waitcnt lgkmcnt(0)
	; wave barrier
	s_waitcnt lgkmcnt(0)
	s_and_saveexec_b64 s[34:35], vcc
	s_cbranch_execz .LBB13_246
; %bb.237:
	s_and_b64 vcc, exec, s[0:1]
	s_cbranch_vccnz .LBB13_239
; %bb.238:
	v_cmp_eq_u32_e32 vcc, 1, v0
	s_waitcnt vmcnt(1)
	v_cndmask_b32_e32 v30, v3, v5, vcc
	v_cmp_eq_u32_e64 s[8:9], 2, v0
	v_cndmask_b32_e64 v30, v30, v7, s[8:9]
	v_cmp_eq_u32_e64 s[10:11], 3, v0
	v_cndmask_b32_e64 v30, v30, v9, s[10:11]
	v_cmp_eq_u32_e64 s[12:13], 4, v0
	v_cndmask_b32_e64 v30, v30, v11, s[12:13]
	v_cmp_eq_u32_e64 s[14:15], 5, v0
	v_cndmask_b32_e64 v30, v30, v13, s[14:15]
	v_cmp_eq_u32_e64 s[16:17], 6, v0
	v_cndmask_b32_e64 v30, v30, v15, s[16:17]
	v_cmp_eq_u32_e64 s[18:19], 7, v0
	v_cndmask_b32_e64 v30, v30, v17, s[18:19]
	v_cmp_eq_u32_e64 s[20:21], 8, v0
	v_cndmask_b32_e64 v30, v30, v19, s[20:21]
	v_cmp_eq_u32_e64 s[22:23], 9, v0
	v_cndmask_b32_e64 v30, v30, v21, s[22:23]
	v_cmp_eq_u32_e64 s[24:25], 10, v0
	v_cndmask_b32_e64 v30, v30, v23, s[24:25]
	v_cmp_eq_u32_e64 s[26:27], 11, v0
	v_cndmask_b32_e64 v30, v30, v25, s[26:27]
	v_cmp_eq_u32_e64 s[28:29], 12, v0
	v_cndmask_b32_e64 v30, v30, v27, s[28:29]
	v_cmp_eq_u32_e64 s[30:31], 13, v0
	s_waitcnt vmcnt(0)
	v_cndmask_b32_e64 v31, v30, v29, s[30:31]
	v_cndmask_b32_e32 v30, v2, v4, vcc
	v_cndmask_b32_e64 v30, v30, v6, s[8:9]
	v_cndmask_b32_e64 v30, v30, v8, s[10:11]
	;; [unrolled: 1-line block ×8, first 2 shown]
	ds_read_b64 v[32:33], v93
	v_cndmask_b32_e64 v30, v30, v22, s[24:25]
	v_cndmask_b32_e64 v30, v30, v24, s[26:27]
	v_cndmask_b32_e64 v30, v30, v26, s[28:29]
	v_cndmask_b32_e64 v30, v30, v28, s[30:31]
	s_waitcnt lgkmcnt(0)
	v_mul_f64 v[30:31], v[30:31], v[32:33]
	s_cbranch_execz .LBB13_240
	s_branch .LBB13_241
.LBB13_239:
                                        ; implicit-def: $vgpr30_vgpr31
.LBB13_240:
	ds_read_b64 v[30:31], v93
.LBB13_241:
	v_cmp_ne_u32_e32 vcc, 5, v0
	s_and_saveexec_b64 s[12:13], vcc
	s_cbranch_execz .LBB13_245
; %bb.242:
	v_mov_b32_e32 v32, 0x78
	v_lshl_add_u32 v35, v0, 3, v32
	s_mov_b64 s[14:15], 0
	v_pk_mov_b32 v[32:33], v[0:1], v[0:1] op_sel:[0,1]
.LBB13_243:                             ; =>This Inner Loop Header: Depth=1
	v_add_co_u32_e32 v32, vcc, 1, v32
	v_addc_co_u32_e32 v33, vcc, 0, v33, vcc
	v_cmp_eq_u32_e32 vcc, 1, v32
	s_waitcnt vmcnt(1)
	v_cndmask_b32_e32 v38, v3, v5, vcc
	v_cmp_eq_u32_e64 s[10:11], 2, v32
	v_cmp_lt_u32_e64 s[8:9], 4, v32
	v_cndmask_b32_e64 v38, v38, v7, s[10:11]
	v_cndmask_b32_e32 v39, v2, v4, vcc
	v_cmp_eq_u32_e32 vcc, 3, v32
	s_or_b64 s[14:15], s[8:9], s[14:15]
	v_cndmask_b32_e32 v38, v38, v9, vcc
	v_cndmask_b32_e64 v39, v39, v6, s[10:11]
	v_cmp_eq_u32_e64 s[8:9], 4, v32
	v_cndmask_b32_e64 v38, v38, v11, s[8:9]
	v_cndmask_b32_e32 v39, v39, v8, vcc
	v_cmp_eq_u32_e32 vcc, 5, v32
	v_cndmask_b32_e32 v38, v38, v13, vcc
	v_cndmask_b32_e64 v39, v39, v10, s[8:9]
	v_cmp_eq_u32_e64 s[8:9], 6, v32
	v_cndmask_b32_e64 v38, v38, v15, s[8:9]
	v_cndmask_b32_e32 v39, v39, v12, vcc
	v_cmp_eq_u32_e32 vcc, 7, v32
	;; [unrolled: 6-line block ×3, first 2 shown]
	v_cndmask_b32_e32 v38, v38, v21, vcc
	v_cndmask_b32_e64 v39, v39, v18, s[8:9]
	v_cmp_eq_u32_e64 s[8:9], 10, v32
	ds_read_b64 v[36:37], v35
	v_cndmask_b32_e64 v38, v38, v23, s[8:9]
	v_cndmask_b32_e32 v39, v39, v20, vcc
	v_cmp_eq_u32_e32 vcc, 11, v32
	v_cndmask_b32_e32 v38, v38, v25, vcc
	v_cndmask_b32_e64 v39, v39, v22, s[8:9]
	v_cmp_eq_u32_e64 s[8:9], 12, v32
	v_cndmask_b32_e64 v38, v38, v27, s[8:9]
	v_cndmask_b32_e32 v40, v39, v24, vcc
	v_cmp_eq_u32_e32 vcc, 13, v32
	s_waitcnt vmcnt(0)
	v_cndmask_b32_e32 v39, v38, v29, vcc
	v_cndmask_b32_e64 v38, v40, v26, s[8:9]
	v_cndmask_b32_e32 v38, v38, v28, vcc
	v_add_u32_e32 v35, 8, v35
	s_waitcnt lgkmcnt(0)
	v_fmac_f64_e32 v[30:31], v[38:39], v[36:37]
	s_andn2_b64 exec, exec, s[14:15]
	s_cbranch_execnz .LBB13_243
; %bb.244:
	s_or_b64 exec, exec, s[14:15]
.LBB13_245:
	s_or_b64 exec, exec, s[12:13]
	v_mov_b32_e32 v14, 0
	ds_read_b64 v[14:15], v14 offset:48
	s_waitcnt lgkmcnt(0)
	v_mul_f64 v[14:15], v[30:31], v[14:15]
.LBB13_246:
	s_or_b64 exec, exec, s[34:35]
	v_cmp_gt_u32_e64 s[8:9], 7, v0
	s_waitcnt vmcnt(7)
	ds_write_b64 v93, v[16:17]
	s_waitcnt lgkmcnt(0)
	; wave barrier
	s_waitcnt lgkmcnt(0)
	s_and_saveexec_b64 s[36:37], s[8:9]
	s_cbranch_execz .LBB13_256
; %bb.247:
	s_and_b64 vcc, exec, s[0:1]
	s_cbranch_vccnz .LBB13_249
; %bb.248:
	v_cmp_eq_u32_e32 vcc, 1, v0
	s_waitcnt vmcnt(1)
	v_cndmask_b32_e32 v30, v3, v5, vcc
	v_cmp_eq_u32_e64 s[10:11], 2, v0
	v_cndmask_b32_e64 v30, v30, v7, s[10:11]
	v_cmp_eq_u32_e64 s[12:13], 3, v0
	v_cndmask_b32_e64 v30, v30, v9, s[12:13]
	;; [unrolled: 2-line block ×11, first 2 shown]
	v_cmp_eq_u32_e64 s[34:35], 13, v0
	s_waitcnt vmcnt(0)
	v_cndmask_b32_e64 v31, v30, v29, s[34:35]
	v_cndmask_b32_e32 v30, v2, v4, vcc
	v_cndmask_b32_e64 v30, v30, v6, s[10:11]
	v_cndmask_b32_e64 v30, v30, v8, s[12:13]
	;; [unrolled: 1-line block ×8, first 2 shown]
	ds_read_b64 v[32:33], v93
	v_cndmask_b32_e64 v30, v30, v22, s[26:27]
	v_cndmask_b32_e64 v30, v30, v24, s[28:29]
	;; [unrolled: 1-line block ×4, first 2 shown]
	s_waitcnt lgkmcnt(0)
	v_mul_f64 v[30:31], v[30:31], v[32:33]
	s_cbranch_execz .LBB13_250
	s_branch .LBB13_251
.LBB13_249:
                                        ; implicit-def: $vgpr30_vgpr31
.LBB13_250:
	ds_read_b64 v[30:31], v93
.LBB13_251:
	v_cmp_ne_u32_e32 vcc, 6, v0
	s_and_saveexec_b64 s[14:15], vcc
	s_cbranch_execz .LBB13_255
; %bb.252:
	v_mov_b32_e32 v32, 0x78
	v_lshl_add_u32 v35, v0, 3, v32
	s_mov_b64 s[16:17], 0
	v_pk_mov_b32 v[32:33], v[0:1], v[0:1] op_sel:[0,1]
.LBB13_253:                             ; =>This Inner Loop Header: Depth=1
	v_add_co_u32_e32 v32, vcc, 1, v32
	v_addc_co_u32_e32 v33, vcc, 0, v33, vcc
	v_cmp_eq_u32_e32 vcc, 1, v32
	s_waitcnt vmcnt(1)
	v_cndmask_b32_e32 v38, v3, v5, vcc
	v_cmp_eq_u32_e64 s[12:13], 2, v32
	v_cmp_lt_u32_e64 s[10:11], 5, v32
	v_cndmask_b32_e64 v38, v38, v7, s[12:13]
	v_cndmask_b32_e32 v39, v2, v4, vcc
	v_cmp_eq_u32_e32 vcc, 3, v32
	s_or_b64 s[16:17], s[10:11], s[16:17]
	v_cndmask_b32_e32 v38, v38, v9, vcc
	v_cndmask_b32_e64 v39, v39, v6, s[12:13]
	v_cmp_eq_u32_e64 s[10:11], 4, v32
	v_cndmask_b32_e64 v38, v38, v11, s[10:11]
	v_cndmask_b32_e32 v39, v39, v8, vcc
	v_cmp_eq_u32_e32 vcc, 5, v32
	v_cndmask_b32_e32 v38, v38, v13, vcc
	v_cndmask_b32_e64 v39, v39, v10, s[10:11]
	v_cmp_eq_u32_e64 s[10:11], 6, v32
	v_cndmask_b32_e64 v38, v38, v15, s[10:11]
	v_cndmask_b32_e32 v39, v39, v12, vcc
	v_cmp_eq_u32_e32 vcc, 7, v32
	;; [unrolled: 6-line block ×3, first 2 shown]
	v_cndmask_b32_e32 v38, v38, v21, vcc
	v_cndmask_b32_e64 v39, v39, v18, s[10:11]
	v_cmp_eq_u32_e64 s[10:11], 10, v32
	ds_read_b64 v[36:37], v35
	v_cndmask_b32_e64 v38, v38, v23, s[10:11]
	v_cndmask_b32_e32 v39, v39, v20, vcc
	v_cmp_eq_u32_e32 vcc, 11, v32
	v_cndmask_b32_e32 v38, v38, v25, vcc
	v_cndmask_b32_e64 v39, v39, v22, s[10:11]
	v_cmp_eq_u32_e64 s[10:11], 12, v32
	v_cndmask_b32_e64 v38, v38, v27, s[10:11]
	v_cndmask_b32_e32 v40, v39, v24, vcc
	v_cmp_eq_u32_e32 vcc, 13, v32
	s_waitcnt vmcnt(0)
	v_cndmask_b32_e32 v39, v38, v29, vcc
	v_cndmask_b32_e64 v38, v40, v26, s[10:11]
	v_cndmask_b32_e32 v38, v38, v28, vcc
	v_add_u32_e32 v35, 8, v35
	s_waitcnt lgkmcnt(0)
	v_fmac_f64_e32 v[30:31], v[38:39], v[36:37]
	s_andn2_b64 exec, exec, s[16:17]
	s_cbranch_execnz .LBB13_253
; %bb.254:
	s_or_b64 exec, exec, s[16:17]
.LBB13_255:
	s_or_b64 exec, exec, s[14:15]
	v_mov_b32_e32 v16, 0
	ds_read_b64 v[16:17], v16 offset:56
	s_waitcnt lgkmcnt(0)
	v_mul_f64 v[16:17], v[30:31], v[16:17]
.LBB13_256:
	s_or_b64 exec, exec, s[36:37]
	v_cmp_gt_u32_e32 vcc, 8, v0
	s_waitcnt vmcnt(6)
	ds_write_b64 v93, v[18:19]
	s_waitcnt lgkmcnt(0)
	; wave barrier
	s_waitcnt lgkmcnt(0)
	s_and_saveexec_b64 s[36:37], vcc
	s_cbranch_execz .LBB13_266
; %bb.257:
	s_and_b64 vcc, exec, s[0:1]
	s_cbranch_vccnz .LBB13_259
; %bb.258:
	v_cmp_eq_u32_e32 vcc, 1, v0
	s_waitcnt vmcnt(1)
	v_cndmask_b32_e32 v30, v3, v5, vcc
	v_cmp_eq_u32_e64 s[10:11], 2, v0
	v_cndmask_b32_e64 v30, v30, v7, s[10:11]
	v_cmp_eq_u32_e64 s[12:13], 3, v0
	v_cndmask_b32_e64 v30, v30, v9, s[12:13]
	;; [unrolled: 2-line block ×11, first 2 shown]
	v_cmp_eq_u32_e64 s[34:35], 13, v0
	s_waitcnt vmcnt(0)
	v_cndmask_b32_e64 v31, v30, v29, s[34:35]
	v_cndmask_b32_e32 v30, v2, v4, vcc
	v_cndmask_b32_e64 v30, v30, v6, s[10:11]
	v_cndmask_b32_e64 v30, v30, v8, s[12:13]
	;; [unrolled: 1-line block ×8, first 2 shown]
	ds_read_b64 v[32:33], v93
	v_cndmask_b32_e64 v30, v30, v22, s[26:27]
	v_cndmask_b32_e64 v30, v30, v24, s[28:29]
	;; [unrolled: 1-line block ×4, first 2 shown]
	s_waitcnt lgkmcnt(0)
	v_mul_f64 v[30:31], v[30:31], v[32:33]
	s_cbranch_execz .LBB13_260
	s_branch .LBB13_261
.LBB13_259:
                                        ; implicit-def: $vgpr30_vgpr31
.LBB13_260:
	ds_read_b64 v[30:31], v93
.LBB13_261:
	v_cmp_ne_u32_e32 vcc, 7, v0
	s_and_saveexec_b64 s[14:15], vcc
	s_cbranch_execz .LBB13_265
; %bb.262:
	v_mov_b32_e32 v32, 0x78
	v_lshl_add_u32 v35, v0, 3, v32
	s_mov_b64 s[16:17], 0
	v_pk_mov_b32 v[32:33], v[0:1], v[0:1] op_sel:[0,1]
.LBB13_263:                             ; =>This Inner Loop Header: Depth=1
	v_add_co_u32_e32 v32, vcc, 1, v32
	v_addc_co_u32_e32 v33, vcc, 0, v33, vcc
	v_cmp_eq_u32_e32 vcc, 1, v32
	s_waitcnt vmcnt(1)
	v_cndmask_b32_e32 v38, v3, v5, vcc
	v_cmp_eq_u32_e64 s[12:13], 2, v32
	v_cmp_lt_u32_e64 s[10:11], 6, v32
	v_cndmask_b32_e64 v38, v38, v7, s[12:13]
	v_cndmask_b32_e32 v39, v2, v4, vcc
	v_cmp_eq_u32_e32 vcc, 3, v32
	s_or_b64 s[16:17], s[10:11], s[16:17]
	v_cndmask_b32_e32 v38, v38, v9, vcc
	v_cndmask_b32_e64 v39, v39, v6, s[12:13]
	v_cmp_eq_u32_e64 s[10:11], 4, v32
	v_cndmask_b32_e64 v38, v38, v11, s[10:11]
	v_cndmask_b32_e32 v39, v39, v8, vcc
	v_cmp_eq_u32_e32 vcc, 5, v32
	v_cndmask_b32_e32 v38, v38, v13, vcc
	v_cndmask_b32_e64 v39, v39, v10, s[10:11]
	v_cmp_eq_u32_e64 s[10:11], 6, v32
	v_cndmask_b32_e64 v38, v38, v15, s[10:11]
	v_cndmask_b32_e32 v39, v39, v12, vcc
	v_cmp_eq_u32_e32 vcc, 7, v32
	;; [unrolled: 6-line block ×3, first 2 shown]
	v_cndmask_b32_e32 v38, v38, v21, vcc
	v_cndmask_b32_e64 v39, v39, v18, s[10:11]
	v_cmp_eq_u32_e64 s[10:11], 10, v32
	ds_read_b64 v[36:37], v35
	v_cndmask_b32_e64 v38, v38, v23, s[10:11]
	v_cndmask_b32_e32 v39, v39, v20, vcc
	v_cmp_eq_u32_e32 vcc, 11, v32
	v_cndmask_b32_e32 v38, v38, v25, vcc
	v_cndmask_b32_e64 v39, v39, v22, s[10:11]
	v_cmp_eq_u32_e64 s[10:11], 12, v32
	v_cndmask_b32_e64 v38, v38, v27, s[10:11]
	v_cndmask_b32_e32 v40, v39, v24, vcc
	v_cmp_eq_u32_e32 vcc, 13, v32
	s_waitcnt vmcnt(0)
	v_cndmask_b32_e32 v39, v38, v29, vcc
	v_cndmask_b32_e64 v38, v40, v26, s[10:11]
	v_cndmask_b32_e32 v38, v38, v28, vcc
	v_add_u32_e32 v35, 8, v35
	s_waitcnt lgkmcnt(0)
	v_fmac_f64_e32 v[30:31], v[38:39], v[36:37]
	s_andn2_b64 exec, exec, s[16:17]
	s_cbranch_execnz .LBB13_263
; %bb.264:
	s_or_b64 exec, exec, s[16:17]
.LBB13_265:
	s_or_b64 exec, exec, s[14:15]
	v_mov_b32_e32 v18, 0
	ds_read_b64 v[18:19], v18 offset:64
	s_waitcnt lgkmcnt(0)
	v_mul_f64 v[18:19], v[30:31], v[18:19]
.LBB13_266:
	s_or_b64 exec, exec, s[36:37]
	v_cmp_gt_u32_e32 vcc, 9, v0
	s_waitcnt vmcnt(5)
	ds_write_b64 v93, v[20:21]
	s_waitcnt lgkmcnt(0)
	; wave barrier
	s_waitcnt lgkmcnt(0)
	s_and_saveexec_b64 s[36:37], vcc
	s_cbranch_execz .LBB13_288
; %bb.267:
	s_and_b64 vcc, exec, s[0:1]
	s_cbranch_vccnz .LBB13_269
; %bb.268:
	v_cmp_eq_u32_e32 vcc, 1, v0
	s_waitcnt vmcnt(1)
	v_cndmask_b32_e32 v30, v3, v5, vcc
	v_cmp_eq_u32_e64 s[10:11], 2, v0
	v_cndmask_b32_e64 v30, v30, v7, s[10:11]
	v_cmp_eq_u32_e64 s[12:13], 3, v0
	v_cndmask_b32_e64 v30, v30, v9, s[12:13]
	;; [unrolled: 2-line block ×11, first 2 shown]
	v_cmp_eq_u32_e64 s[34:35], 13, v0
	s_waitcnt vmcnt(0)
	v_cndmask_b32_e64 v31, v30, v29, s[34:35]
	v_cndmask_b32_e32 v30, v2, v4, vcc
	v_cndmask_b32_e64 v30, v30, v6, s[10:11]
	v_cndmask_b32_e64 v30, v30, v8, s[12:13]
	v_cndmask_b32_e64 v30, v30, v10, s[14:15]
	v_cndmask_b32_e64 v30, v30, v12, s[16:17]
	v_cndmask_b32_e64 v30, v30, v14, s[18:19]
	v_cndmask_b32_e64 v30, v30, v16, s[20:21]
	v_cndmask_b32_e64 v30, v30, v18, s[22:23]
	v_cndmask_b32_e64 v30, v30, v20, s[24:25]
	ds_read_b64 v[32:33], v93
	v_cndmask_b32_e64 v30, v30, v22, s[26:27]
	v_cndmask_b32_e64 v30, v30, v24, s[28:29]
	;; [unrolled: 1-line block ×4, first 2 shown]
	s_waitcnt lgkmcnt(0)
	v_mul_f64 v[30:31], v[30:31], v[32:33]
	s_cbranch_execz .LBB13_270
	s_branch .LBB13_271
.LBB13_269:
                                        ; implicit-def: $vgpr30_vgpr31
.LBB13_270:
	ds_read_b64 v[30:31], v93
.LBB13_271:
	v_cmp_ne_u32_e32 vcc, 8, v0
	s_and_saveexec_b64 s[38:39], vcc
	s_cbranch_execz .LBB13_287
; %bb.272:
	v_cmp_eq_u32_e32 vcc, 1, v34
	s_waitcnt vmcnt(1)
	v_cndmask_b32_e32 v32, v3, v5, vcc
	v_cmp_eq_u32_e64 s[10:11], 2, v34
	v_cndmask_b32_e64 v32, v32, v7, s[10:11]
	v_cmp_eq_u32_e64 s[12:13], 3, v34
	v_cndmask_b32_e64 v32, v32, v9, s[12:13]
	;; [unrolled: 2-line block ×11, first 2 shown]
	v_cmp_eq_u32_e64 s[34:35], 13, v34
	s_waitcnt vmcnt(0)
	v_cndmask_b32_e64 v33, v32, v29, s[34:35]
	v_cndmask_b32_e32 v32, v2, v4, vcc
	v_cndmask_b32_e64 v32, v32, v6, s[10:11]
	v_cndmask_b32_e64 v32, v32, v8, s[12:13]
	;; [unrolled: 1-line block ×8, first 2 shown]
	ds_read_b64 v[34:35], v93 offset:8
	v_cndmask_b32_e64 v32, v32, v22, s[26:27]
	v_cndmask_b32_e64 v32, v32, v24, s[28:29]
	;; [unrolled: 1-line block ×4, first 2 shown]
	s_waitcnt lgkmcnt(0)
	v_fmac_f64_e32 v[30:31], v[32:33], v[34:35]
	s_and_saveexec_b64 s[34:35], s[8:9]
	s_cbranch_execz .LBB13_286
; %bb.273:
	v_add_u32_e32 v32, 2, v0
	v_cmp_eq_u32_e32 vcc, 1, v32
	v_cndmask_b32_e32 v33, v3, v5, vcc
	v_cmp_eq_u32_e64 s[8:9], 2, v32
	v_cmp_eq_u32_e64 s[10:11], 3, v32
	;; [unrolled: 1-line block ×12, first 2 shown]
	v_cndmask_b32_e32 v32, v2, v4, vcc
	v_cndmask_b32_e64 v33, v33, v7, s[8:9]
	v_cndmask_b32_e64 v32, v32, v6, s[8:9]
	;; [unrolled: 1-line block ×16, first 2 shown]
	ds_read_b64 v[34:35], v93 offset:16
	v_cndmask_b32_e64 v33, v33, v23, s[24:25]
	v_cndmask_b32_e64 v32, v32, v22, s[24:25]
	;; [unrolled: 1-line block ×8, first 2 shown]
	s_waitcnt lgkmcnt(0)
	v_fmac_f64_e32 v[30:31], v[32:33], v[34:35]
	v_cmp_ne_u32_e32 vcc, 6, v0
	s_and_saveexec_b64 s[40:41], vcc
	s_cbranch_execz .LBB13_285
; %bb.274:
	v_add_u32_e32 v32, 3, v0
	v_cmp_eq_u32_e32 vcc, 1, v32
	v_cndmask_b32_e32 v33, v3, v5, vcc
	v_cmp_eq_u32_e64 s[8:9], 2, v32
	v_cmp_eq_u32_e64 s[10:11], 3, v32
	;; [unrolled: 1-line block ×12, first 2 shown]
	v_cndmask_b32_e32 v32, v2, v4, vcc
	v_cndmask_b32_e64 v33, v33, v7, s[8:9]
	v_cndmask_b32_e64 v32, v32, v6, s[8:9]
	v_cndmask_b32_e64 v33, v33, v9, s[10:11]
	v_cndmask_b32_e64 v32, v32, v8, s[10:11]
	v_cndmask_b32_e64 v33, v33, v11, s[12:13]
	v_cndmask_b32_e64 v32, v32, v10, s[12:13]
	v_cndmask_b32_e64 v33, v33, v13, s[14:15]
	v_cndmask_b32_e64 v32, v32, v12, s[14:15]
	v_cndmask_b32_e64 v33, v33, v15, s[16:17]
	v_cndmask_b32_e64 v32, v32, v14, s[16:17]
	v_cndmask_b32_e64 v33, v33, v17, s[18:19]
	v_cndmask_b32_e64 v32, v32, v16, s[18:19]
	v_cndmask_b32_e64 v33, v33, v19, s[20:21]
	v_cndmask_b32_e64 v32, v32, v18, s[20:21]
	v_cndmask_b32_e64 v33, v33, v21, s[22:23]
	v_cndmask_b32_e64 v32, v32, v20, s[22:23]
	ds_read_b64 v[34:35], v93 offset:24
	v_cndmask_b32_e64 v33, v33, v23, s[24:25]
	v_cndmask_b32_e64 v32, v32, v22, s[24:25]
	;; [unrolled: 1-line block ×8, first 2 shown]
	s_waitcnt lgkmcnt(0)
	v_fmac_f64_e32 v[30:31], v[32:33], v[34:35]
	s_and_saveexec_b64 s[30:31], s[6:7]
	s_cbranch_execz .LBB13_284
; %bb.275:
	v_add_u32_e32 v32, 4, v0
	v_cmp_eq_u32_e32 vcc, 1, v32
	v_cndmask_b32_e32 v33, v3, v5, vcc
	v_cmp_eq_u32_e64 s[6:7], 2, v32
	v_cmp_eq_u32_e64 s[8:9], 3, v32
	;; [unrolled: 1-line block ×12, first 2 shown]
	v_cndmask_b32_e32 v32, v2, v4, vcc
	v_cndmask_b32_e64 v33, v33, v7, s[6:7]
	v_cndmask_b32_e64 v32, v32, v6, s[6:7]
	;; [unrolled: 1-line block ×16, first 2 shown]
	ds_read_b64 v[34:35], v93 offset:32
	v_cndmask_b32_e64 v33, v33, v23, s[22:23]
	v_cndmask_b32_e64 v32, v32, v22, s[22:23]
	;; [unrolled: 1-line block ×8, first 2 shown]
	s_waitcnt lgkmcnt(0)
	v_fmac_f64_e32 v[30:31], v[32:33], v[34:35]
	v_cmp_ne_u32_e32 vcc, 4, v0
	s_and_saveexec_b64 s[42:43], vcc
	s_cbranch_execz .LBB13_283
; %bb.276:
	v_add_u32_e32 v32, 5, v0
	v_cmp_eq_u32_e32 vcc, 1, v32
	v_cndmask_b32_e32 v33, v3, v5, vcc
	v_cmp_eq_u32_e64 s[6:7], 2, v32
	v_cmp_eq_u32_e64 s[8:9], 3, v32
	;; [unrolled: 1-line block ×12, first 2 shown]
	v_cndmask_b32_e32 v32, v2, v4, vcc
	v_cndmask_b32_e64 v33, v33, v7, s[6:7]
	v_cndmask_b32_e64 v32, v32, v6, s[6:7]
	;; [unrolled: 1-line block ×16, first 2 shown]
	ds_read_b64 v[34:35], v93 offset:40
	v_cndmask_b32_e64 v33, v33, v23, s[22:23]
	v_cndmask_b32_e64 v32, v32, v22, s[22:23]
	;; [unrolled: 1-line block ×8, first 2 shown]
	s_waitcnt lgkmcnt(0)
	v_fmac_f64_e32 v[30:31], v[32:33], v[34:35]
	s_and_saveexec_b64 s[28:29], s[4:5]
	s_cbranch_execz .LBB13_282
; %bb.277:
	v_add_u32_e32 v32, 6, v0
	v_cmp_eq_u32_e32 vcc, 1, v32
	v_cndmask_b32_e32 v33, v3, v5, vcc
	v_cmp_eq_u32_e64 s[4:5], 2, v32
	v_cmp_eq_u32_e64 s[6:7], 3, v32
	;; [unrolled: 1-line block ×12, first 2 shown]
	v_cndmask_b32_e32 v32, v2, v4, vcc
	v_cndmask_b32_e64 v33, v33, v7, s[4:5]
	v_cndmask_b32_e64 v32, v32, v6, s[4:5]
	;; [unrolled: 1-line block ×16, first 2 shown]
	ds_read_b64 v[34:35], v93 offset:48
	v_cndmask_b32_e64 v33, v33, v23, s[20:21]
	v_cndmask_b32_e64 v32, v32, v22, s[20:21]
	;; [unrolled: 1-line block ×8, first 2 shown]
	s_waitcnt lgkmcnt(0)
	v_fmac_f64_e32 v[30:31], v[32:33], v[34:35]
	v_cmp_ne_u32_e32 vcc, 2, v0
	s_and_saveexec_b64 s[44:45], vcc
	s_cbranch_execz .LBB13_281
; %bb.278:
	v_add_u32_e32 v32, 7, v0
	v_cmp_eq_u32_e32 vcc, 1, v32
	v_cndmask_b32_e32 v33, v3, v5, vcc
	v_cmp_eq_u32_e64 s[4:5], 2, v32
	v_cmp_eq_u32_e64 s[6:7], 3, v32
	;; [unrolled: 1-line block ×12, first 2 shown]
	v_cndmask_b32_e32 v32, v2, v4, vcc
	v_cndmask_b32_e64 v33, v33, v7, s[4:5]
	v_cndmask_b32_e64 v32, v32, v6, s[4:5]
	;; [unrolled: 1-line block ×16, first 2 shown]
	ds_read_b64 v[32:33], v93 offset:56
	v_cndmask_b32_e64 v21, v21, v23, s[20:21]
	v_cndmask_b32_e64 v20, v20, v22, s[20:21]
	;; [unrolled: 1-line block ×8, first 2 shown]
	s_waitcnt lgkmcnt(0)
	v_fmac_f64_e32 v[30:31], v[20:21], v[32:33]
	s_and_saveexec_b64 s[4:5], s[2:3]
	s_cbranch_execz .LBB13_280
; %bb.279:
	ds_read_b64 v[20:21], v93 offset:64
	s_waitcnt lgkmcnt(0)
	v_fmac_f64_e32 v[30:31], v[18:19], v[20:21]
.LBB13_280:
	s_or_b64 exec, exec, s[4:5]
.LBB13_281:
	s_or_b64 exec, exec, s[44:45]
.LBB13_282:
	s_or_b64 exec, exec, s[28:29]
.LBB13_283:
	s_or_b64 exec, exec, s[42:43]
.LBB13_284:
	s_or_b64 exec, exec, s[30:31]
.LBB13_285:
	s_or_b64 exec, exec, s[40:41]
.LBB13_286:
	s_or_b64 exec, exec, s[34:35]
.LBB13_287:
	s_or_b64 exec, exec, s[38:39]
	v_mov_b32_e32 v20, 0
	ds_read_b64 v[20:21], v20 offset:72
	s_waitcnt lgkmcnt(0)
	v_mul_f64 v[20:21], v[30:31], v[20:21]
.LBB13_288:
	s_or_b64 exec, exec, s[36:37]
	v_cmp_gt_u32_e32 vcc, 10, v0
	s_waitcnt vmcnt(4)
	ds_write_b64 v93, v[22:23]
	s_waitcnt lgkmcnt(0)
	; wave barrier
	s_waitcnt lgkmcnt(0)
	s_and_saveexec_b64 s[26:27], vcc
	s_cbranch_execz .LBB13_298
; %bb.289:
	s_and_b64 vcc, exec, s[0:1]
	s_cbranch_vccnz .LBB13_291
; %bb.290:
	v_cmp_eq_u32_e32 vcc, 1, v0
	s_waitcnt vmcnt(1)
	v_cndmask_b32_e32 v30, v3, v5, vcc
	v_cmp_eq_u32_e64 s[2:3], 2, v0
	v_cndmask_b32_e64 v30, v30, v7, s[2:3]
	v_cmp_eq_u32_e64 s[4:5], 3, v0
	v_cndmask_b32_e64 v30, v30, v9, s[4:5]
	;; [unrolled: 2-line block ×11, first 2 shown]
	v_cmp_eq_u32_e64 s[24:25], 13, v0
	s_waitcnt vmcnt(0)
	v_cndmask_b32_e64 v31, v30, v29, s[24:25]
	v_cndmask_b32_e32 v30, v2, v4, vcc
	v_cndmask_b32_e64 v30, v30, v6, s[2:3]
	v_cndmask_b32_e64 v30, v30, v8, s[4:5]
	;; [unrolled: 1-line block ×8, first 2 shown]
	ds_read_b64 v[32:33], v93
	v_cndmask_b32_e64 v30, v30, v22, s[18:19]
	v_cndmask_b32_e64 v30, v30, v24, s[20:21]
	;; [unrolled: 1-line block ×4, first 2 shown]
	s_waitcnt lgkmcnt(0)
	v_mul_f64 v[30:31], v[30:31], v[32:33]
	s_cbranch_execz .LBB13_292
	s_branch .LBB13_293
.LBB13_291:
                                        ; implicit-def: $vgpr30_vgpr31
.LBB13_292:
	ds_read_b64 v[30:31], v93
.LBB13_293:
	v_cmp_ne_u32_e32 vcc, 9, v0
	s_and_saveexec_b64 s[6:7], vcc
	s_cbranch_execz .LBB13_297
; %bb.294:
	v_mov_b32_e32 v32, 0x78
	v_lshl_add_u32 v34, v0, 3, v32
	s_mov_b64 s[8:9], 0
	v_pk_mov_b32 v[32:33], v[0:1], v[0:1] op_sel:[0,1]
.LBB13_295:                             ; =>This Inner Loop Header: Depth=1
	v_add_co_u32_e32 v32, vcc, 1, v32
	v_addc_co_u32_e32 v33, vcc, 0, v33, vcc
	v_cmp_eq_u32_e32 vcc, 1, v32
	s_waitcnt vmcnt(1)
	v_cndmask_b32_e32 v35, v3, v5, vcc
	v_cmp_eq_u32_e64 s[4:5], 2, v32
	v_cmp_lt_u32_e64 s[2:3], 8, v32
	v_cndmask_b32_e64 v35, v35, v7, s[4:5]
	v_cndmask_b32_e32 v38, v2, v4, vcc
	v_cmp_eq_u32_e32 vcc, 3, v32
	s_or_b64 s[8:9], s[2:3], s[8:9]
	v_cndmask_b32_e32 v35, v35, v9, vcc
	v_cndmask_b32_e64 v38, v38, v6, s[4:5]
	v_cmp_eq_u32_e64 s[2:3], 4, v32
	v_cndmask_b32_e64 v35, v35, v11, s[2:3]
	v_cndmask_b32_e32 v38, v38, v8, vcc
	v_cmp_eq_u32_e32 vcc, 5, v32
	v_cndmask_b32_e32 v35, v35, v13, vcc
	v_cndmask_b32_e64 v38, v38, v10, s[2:3]
	v_cmp_eq_u32_e64 s[2:3], 6, v32
	v_cndmask_b32_e64 v35, v35, v15, s[2:3]
	v_cndmask_b32_e32 v38, v38, v12, vcc
	v_cmp_eq_u32_e32 vcc, 7, v32
	;; [unrolled: 6-line block ×3, first 2 shown]
	v_cndmask_b32_e32 v35, v35, v21, vcc
	v_cndmask_b32_e64 v38, v38, v18, s[2:3]
	v_cmp_eq_u32_e64 s[2:3], 10, v32
	ds_read_b64 v[36:37], v34
	v_cndmask_b32_e64 v35, v35, v23, s[2:3]
	v_cndmask_b32_e32 v38, v38, v20, vcc
	v_cmp_eq_u32_e32 vcc, 11, v32
	v_cndmask_b32_e32 v35, v35, v25, vcc
	v_cndmask_b32_e64 v38, v38, v22, s[2:3]
	v_cmp_eq_u32_e64 s[2:3], 12, v32
	v_cndmask_b32_e64 v35, v35, v27, s[2:3]
	v_cndmask_b32_e32 v38, v38, v24, vcc
	v_cmp_eq_u32_e32 vcc, 13, v32
	s_waitcnt vmcnt(0)
	v_cndmask_b32_e32 v39, v35, v29, vcc
	v_cndmask_b32_e64 v35, v38, v26, s[2:3]
	v_cndmask_b32_e32 v38, v35, v28, vcc
	v_add_u32_e32 v34, 8, v34
	s_waitcnt lgkmcnt(0)
	v_fmac_f64_e32 v[30:31], v[38:39], v[36:37]
	s_andn2_b64 exec, exec, s[8:9]
	s_cbranch_execnz .LBB13_295
; %bb.296:
	s_or_b64 exec, exec, s[8:9]
.LBB13_297:
	s_or_b64 exec, exec, s[6:7]
	v_mov_b32_e32 v22, 0
	ds_read_b64 v[22:23], v22 offset:80
	s_waitcnt lgkmcnt(0)
	v_mul_f64 v[22:23], v[30:31], v[22:23]
.LBB13_298:
	s_or_b64 exec, exec, s[26:27]
	v_cmp_gt_u32_e32 vcc, 11, v0
	s_waitcnt vmcnt(3)
	ds_write_b64 v93, v[24:25]
	s_waitcnt lgkmcnt(0)
	; wave barrier
	s_waitcnt lgkmcnt(0)
	s_and_saveexec_b64 s[26:27], vcc
	s_cbranch_execz .LBB13_308
; %bb.299:
	s_and_b64 vcc, exec, s[0:1]
	s_cbranch_vccnz .LBB13_301
; %bb.300:
	v_cmp_eq_u32_e32 vcc, 1, v0
	s_waitcnt vmcnt(1)
	v_cndmask_b32_e32 v30, v3, v5, vcc
	v_cmp_eq_u32_e64 s[2:3], 2, v0
	v_cndmask_b32_e64 v30, v30, v7, s[2:3]
	v_cmp_eq_u32_e64 s[4:5], 3, v0
	v_cndmask_b32_e64 v30, v30, v9, s[4:5]
	;; [unrolled: 2-line block ×11, first 2 shown]
	v_cmp_eq_u32_e64 s[24:25], 13, v0
	s_waitcnt vmcnt(0)
	v_cndmask_b32_e64 v31, v30, v29, s[24:25]
	v_cndmask_b32_e32 v30, v2, v4, vcc
	v_cndmask_b32_e64 v30, v30, v6, s[2:3]
	v_cndmask_b32_e64 v30, v30, v8, s[4:5]
	;; [unrolled: 1-line block ×8, first 2 shown]
	ds_read_b64 v[32:33], v93
	v_cndmask_b32_e64 v30, v30, v22, s[18:19]
	v_cndmask_b32_e64 v30, v30, v24, s[20:21]
	;; [unrolled: 1-line block ×4, first 2 shown]
	s_waitcnt lgkmcnt(0)
	v_mul_f64 v[30:31], v[30:31], v[32:33]
	s_cbranch_execz .LBB13_302
	s_branch .LBB13_303
.LBB13_301:
                                        ; implicit-def: $vgpr30_vgpr31
.LBB13_302:
	ds_read_b64 v[30:31], v93
.LBB13_303:
	v_cmp_ne_u32_e32 vcc, 10, v0
	s_and_saveexec_b64 s[6:7], vcc
	s_cbranch_execz .LBB13_307
; %bb.304:
	v_mov_b32_e32 v32, 0x78
	v_lshl_add_u32 v34, v0, 3, v32
	s_mov_b64 s[8:9], 0
	v_pk_mov_b32 v[32:33], v[0:1], v[0:1] op_sel:[0,1]
.LBB13_305:                             ; =>This Inner Loop Header: Depth=1
	v_add_co_u32_e32 v32, vcc, 1, v32
	v_addc_co_u32_e32 v33, vcc, 0, v33, vcc
	v_cmp_eq_u32_e32 vcc, 1, v32
	s_waitcnt vmcnt(1)
	v_cndmask_b32_e32 v35, v3, v5, vcc
	v_cmp_eq_u32_e64 s[4:5], 2, v32
	v_cmp_lt_u32_e64 s[2:3], 9, v32
	v_cndmask_b32_e64 v35, v35, v7, s[4:5]
	v_cndmask_b32_e32 v38, v2, v4, vcc
	v_cmp_eq_u32_e32 vcc, 3, v32
	s_or_b64 s[8:9], s[2:3], s[8:9]
	v_cndmask_b32_e32 v35, v35, v9, vcc
	v_cndmask_b32_e64 v38, v38, v6, s[4:5]
	v_cmp_eq_u32_e64 s[2:3], 4, v32
	v_cndmask_b32_e64 v35, v35, v11, s[2:3]
	v_cndmask_b32_e32 v38, v38, v8, vcc
	v_cmp_eq_u32_e32 vcc, 5, v32
	v_cndmask_b32_e32 v35, v35, v13, vcc
	v_cndmask_b32_e64 v38, v38, v10, s[2:3]
	v_cmp_eq_u32_e64 s[2:3], 6, v32
	v_cndmask_b32_e64 v35, v35, v15, s[2:3]
	v_cndmask_b32_e32 v38, v38, v12, vcc
	v_cmp_eq_u32_e32 vcc, 7, v32
	v_cndmask_b32_e32 v35, v35, v17, vcc
	v_cndmask_b32_e64 v38, v38, v14, s[2:3]
	v_cmp_eq_u32_e64 s[2:3], 8, v32
	v_cndmask_b32_e64 v35, v35, v19, s[2:3]
	v_cndmask_b32_e32 v38, v38, v16, vcc
	v_cmp_eq_u32_e32 vcc, 9, v32
	v_cndmask_b32_e32 v35, v35, v21, vcc
	v_cndmask_b32_e64 v38, v38, v18, s[2:3]
	v_cmp_eq_u32_e64 s[2:3], 10, v32
	ds_read_b64 v[36:37], v34
	v_cndmask_b32_e64 v35, v35, v23, s[2:3]
	v_cndmask_b32_e32 v38, v38, v20, vcc
	v_cmp_eq_u32_e32 vcc, 11, v32
	v_cndmask_b32_e32 v35, v35, v25, vcc
	v_cndmask_b32_e64 v38, v38, v22, s[2:3]
	v_cmp_eq_u32_e64 s[2:3], 12, v32
	v_cndmask_b32_e64 v35, v35, v27, s[2:3]
	v_cndmask_b32_e32 v38, v38, v24, vcc
	v_cmp_eq_u32_e32 vcc, 13, v32
	s_waitcnt vmcnt(0)
	v_cndmask_b32_e32 v39, v35, v29, vcc
	v_cndmask_b32_e64 v35, v38, v26, s[2:3]
	v_cndmask_b32_e32 v38, v35, v28, vcc
	v_add_u32_e32 v34, 8, v34
	s_waitcnt lgkmcnt(0)
	v_fmac_f64_e32 v[30:31], v[38:39], v[36:37]
	s_andn2_b64 exec, exec, s[8:9]
	s_cbranch_execnz .LBB13_305
; %bb.306:
	s_or_b64 exec, exec, s[8:9]
.LBB13_307:
	s_or_b64 exec, exec, s[6:7]
	v_mov_b32_e32 v24, 0
	ds_read_b64 v[24:25], v24 offset:88
	s_waitcnt lgkmcnt(0)
	v_mul_f64 v[24:25], v[30:31], v[24:25]
.LBB13_308:
	s_or_b64 exec, exec, s[26:27]
	v_cmp_gt_u32_e64 s[2:3], 12, v0
	s_waitcnt vmcnt(2)
	ds_write_b64 v93, v[26:27]
	s_waitcnt lgkmcnt(0)
	; wave barrier
	s_waitcnt lgkmcnt(0)
	s_and_saveexec_b64 s[28:29], s[2:3]
	s_cbranch_execz .LBB13_318
; %bb.309:
	s_and_b64 vcc, exec, s[0:1]
	s_cbranch_vccnz .LBB13_311
; %bb.310:
	v_cmp_eq_u32_e32 vcc, 1, v0
	s_waitcnt vmcnt(1)
	v_cndmask_b32_e32 v30, v3, v5, vcc
	v_cmp_eq_u32_e64 s[4:5], 2, v0
	v_cndmask_b32_e64 v30, v30, v7, s[4:5]
	v_cmp_eq_u32_e64 s[6:7], 3, v0
	v_cndmask_b32_e64 v30, v30, v9, s[6:7]
	;; [unrolled: 2-line block ×11, first 2 shown]
	v_cmp_eq_u32_e64 s[26:27], 13, v0
	s_waitcnt vmcnt(0)
	v_cndmask_b32_e64 v31, v30, v29, s[26:27]
	v_cndmask_b32_e32 v30, v2, v4, vcc
	v_cndmask_b32_e64 v30, v30, v6, s[4:5]
	v_cndmask_b32_e64 v30, v30, v8, s[6:7]
	;; [unrolled: 1-line block ×8, first 2 shown]
	ds_read_b64 v[32:33], v93
	v_cndmask_b32_e64 v30, v30, v22, s[20:21]
	v_cndmask_b32_e64 v30, v30, v24, s[22:23]
	;; [unrolled: 1-line block ×4, first 2 shown]
	s_waitcnt lgkmcnt(0)
	v_mul_f64 v[30:31], v[30:31], v[32:33]
	s_cbranch_execz .LBB13_312
	s_branch .LBB13_313
.LBB13_311:
                                        ; implicit-def: $vgpr30_vgpr31
.LBB13_312:
	ds_read_b64 v[30:31], v93
.LBB13_313:
	v_cmp_ne_u32_e32 vcc, 11, v0
	s_and_saveexec_b64 s[8:9], vcc
	s_cbranch_execz .LBB13_317
; %bb.314:
	v_mov_b32_e32 v32, 0x78
	v_lshl_add_u32 v34, v0, 3, v32
	s_mov_b64 s[10:11], 0
	v_pk_mov_b32 v[32:33], v[0:1], v[0:1] op_sel:[0,1]
.LBB13_315:                             ; =>This Inner Loop Header: Depth=1
	v_add_co_u32_e32 v32, vcc, 1, v32
	v_addc_co_u32_e32 v33, vcc, 0, v33, vcc
	v_cmp_eq_u32_e32 vcc, 1, v32
	s_waitcnt vmcnt(1)
	v_cndmask_b32_e32 v35, v3, v5, vcc
	v_cmp_eq_u32_e64 s[6:7], 2, v32
	v_cmp_lt_u32_e64 s[4:5], 10, v32
	v_cndmask_b32_e64 v35, v35, v7, s[6:7]
	v_cndmask_b32_e32 v38, v2, v4, vcc
	v_cmp_eq_u32_e32 vcc, 3, v32
	s_or_b64 s[10:11], s[4:5], s[10:11]
	v_cndmask_b32_e32 v35, v35, v9, vcc
	v_cndmask_b32_e64 v38, v38, v6, s[6:7]
	v_cmp_eq_u32_e64 s[4:5], 4, v32
	v_cndmask_b32_e64 v35, v35, v11, s[4:5]
	v_cndmask_b32_e32 v38, v38, v8, vcc
	v_cmp_eq_u32_e32 vcc, 5, v32
	v_cndmask_b32_e32 v35, v35, v13, vcc
	v_cndmask_b32_e64 v38, v38, v10, s[4:5]
	v_cmp_eq_u32_e64 s[4:5], 6, v32
	v_cndmask_b32_e64 v35, v35, v15, s[4:5]
	v_cndmask_b32_e32 v38, v38, v12, vcc
	v_cmp_eq_u32_e32 vcc, 7, v32
	;; [unrolled: 6-line block ×3, first 2 shown]
	v_cndmask_b32_e32 v35, v35, v21, vcc
	v_cndmask_b32_e64 v38, v38, v18, s[4:5]
	v_cmp_eq_u32_e64 s[4:5], 10, v32
	ds_read_b64 v[36:37], v34
	v_cndmask_b32_e64 v35, v35, v23, s[4:5]
	v_cndmask_b32_e32 v38, v38, v20, vcc
	v_cmp_eq_u32_e32 vcc, 11, v32
	v_cndmask_b32_e32 v35, v35, v25, vcc
	v_cndmask_b32_e64 v38, v38, v22, s[4:5]
	v_cmp_eq_u32_e64 s[4:5], 12, v32
	v_cndmask_b32_e64 v35, v35, v27, s[4:5]
	v_cndmask_b32_e32 v38, v38, v24, vcc
	v_cmp_eq_u32_e32 vcc, 13, v32
	s_waitcnt vmcnt(0)
	v_cndmask_b32_e32 v39, v35, v29, vcc
	v_cndmask_b32_e64 v35, v38, v26, s[4:5]
	v_cndmask_b32_e32 v38, v35, v28, vcc
	v_add_u32_e32 v34, 8, v34
	s_waitcnt lgkmcnt(0)
	v_fmac_f64_e32 v[30:31], v[38:39], v[36:37]
	s_andn2_b64 exec, exec, s[10:11]
	s_cbranch_execnz .LBB13_315
; %bb.316:
	s_or_b64 exec, exec, s[10:11]
.LBB13_317:
	s_or_b64 exec, exec, s[8:9]
	v_mov_b32_e32 v26, 0
	ds_read_b64 v[26:27], v26 offset:96
	s_waitcnt lgkmcnt(0)
	v_mul_f64 v[26:27], v[30:31], v[26:27]
.LBB13_318:
	s_or_b64 exec, exec, s[28:29]
	v_cmp_ne_u32_e32 vcc, 13, v0
	s_waitcnt vmcnt(0)
	ds_write_b64 v93, v[28:29]
	s_waitcnt lgkmcnt(0)
	; wave barrier
	s_waitcnt lgkmcnt(0)
	s_and_saveexec_b64 s[26:27], vcc
	s_cbranch_execz .LBB13_328
; %bb.319:
	s_and_b64 vcc, exec, s[0:1]
	s_cbranch_vccnz .LBB13_321
; %bb.320:
	v_cmp_eq_u32_e32 vcc, 1, v0
	v_cndmask_b32_e32 v30, v3, v5, vcc
	v_cmp_eq_u32_e64 s[0:1], 2, v0
	v_cndmask_b32_e64 v30, v30, v7, s[0:1]
	v_cmp_eq_u32_e64 s[4:5], 3, v0
	v_cndmask_b32_e64 v30, v30, v9, s[4:5]
	;; [unrolled: 2-line block ×12, first 2 shown]
	v_cndmask_b32_e32 v30, v2, v4, vcc
	v_cndmask_b32_e64 v30, v30, v6, s[0:1]
	v_cndmask_b32_e64 v30, v30, v8, s[4:5]
	v_cndmask_b32_e64 v30, v30, v10, s[6:7]
	v_cndmask_b32_e64 v30, v30, v12, s[8:9]
	v_cndmask_b32_e64 v30, v30, v14, s[10:11]
	v_cndmask_b32_e64 v30, v30, v16, s[12:13]
	v_cndmask_b32_e64 v30, v30, v18, s[14:15]
	v_cndmask_b32_e64 v30, v30, v20, s[16:17]
	ds_read_b64 v[32:33], v93
	v_cndmask_b32_e64 v30, v30, v22, s[18:19]
	v_cndmask_b32_e64 v30, v30, v24, s[20:21]
	;; [unrolled: 1-line block ×4, first 2 shown]
	s_waitcnt lgkmcnt(0)
	v_mul_f64 v[30:31], v[30:31], v[32:33]
	s_cbranch_execz .LBB13_322
	s_branch .LBB13_323
.LBB13_321:
                                        ; implicit-def: $vgpr30_vgpr31
.LBB13_322:
	ds_read_b64 v[30:31], v93
.LBB13_323:
	s_and_saveexec_b64 s[4:5], s[2:3]
	s_cbranch_execz .LBB13_327
; %bb.324:
	v_mov_b32_e32 v32, 0x78
	v_lshl_add_u32 v32, v0, 3, v32
	s_mov_b64 s[6:7], 0
.LBB13_325:                             ; =>This Inner Loop Header: Depth=1
	v_add_co_u32_e32 v0, vcc, 1, v0
	v_addc_co_u32_e32 v1, vcc, 0, v1, vcc
	v_cmp_eq_u32_e32 vcc, 1, v0
	v_cndmask_b32_e32 v33, v3, v5, vcc
	v_cmp_eq_u32_e64 s[2:3], 2, v0
	v_cmp_lt_u32_e64 s[0:1], 11, v0
	v_cndmask_b32_e64 v33, v33, v7, s[2:3]
	v_cndmask_b32_e32 v36, v2, v4, vcc
	v_cmp_eq_u32_e32 vcc, 3, v0
	s_or_b64 s[6:7], s[0:1], s[6:7]
	v_cndmask_b32_e32 v33, v33, v9, vcc
	v_cndmask_b32_e64 v36, v36, v6, s[2:3]
	v_cmp_eq_u32_e64 s[0:1], 4, v0
	v_cndmask_b32_e64 v33, v33, v11, s[0:1]
	v_cndmask_b32_e32 v36, v36, v8, vcc
	v_cmp_eq_u32_e32 vcc, 5, v0
	v_cndmask_b32_e32 v33, v33, v13, vcc
	v_cndmask_b32_e64 v36, v36, v10, s[0:1]
	v_cmp_eq_u32_e64 s[0:1], 6, v0
	v_cndmask_b32_e64 v33, v33, v15, s[0:1]
	v_cndmask_b32_e32 v36, v36, v12, vcc
	v_cmp_eq_u32_e32 vcc, 7, v0
	;; [unrolled: 6-line block ×3, first 2 shown]
	v_cndmask_b32_e32 v33, v33, v21, vcc
	v_cndmask_b32_e64 v36, v36, v18, s[0:1]
	v_cmp_eq_u32_e64 s[0:1], 10, v0
	ds_read_b64 v[34:35], v32
	v_cndmask_b32_e64 v33, v33, v23, s[0:1]
	v_cndmask_b32_e32 v36, v36, v20, vcc
	v_cmp_eq_u32_e32 vcc, 11, v0
	v_cndmask_b32_e32 v33, v33, v25, vcc
	v_cndmask_b32_e64 v36, v36, v22, s[0:1]
	v_cmp_eq_u32_e64 s[0:1], 12, v0
	v_cndmask_b32_e64 v33, v33, v27, s[0:1]
	v_cndmask_b32_e32 v36, v36, v24, vcc
	v_cmp_eq_u32_e32 vcc, 13, v0
	v_cndmask_b32_e32 v37, v33, v29, vcc
	v_cndmask_b32_e64 v33, v36, v26, s[0:1]
	v_cndmask_b32_e32 v36, v33, v28, vcc
	v_add_u32_e32 v32, 8, v32
	s_waitcnt lgkmcnt(0)
	v_fmac_f64_e32 v[30:31], v[36:37], v[34:35]
	s_andn2_b64 exec, exec, s[6:7]
	s_cbranch_execnz .LBB13_325
; %bb.326:
	s_or_b64 exec, exec, s[6:7]
.LBB13_327:
	s_or_b64 exec, exec, s[4:5]
	v_mov_b32_e32 v0, 0
	ds_read_b64 v[0:1], v0 offset:104
	s_waitcnt lgkmcnt(0)
	v_mul_f64 v[28:29], v[30:31], v[0:1]
.LBB13_328:
	s_or_b64 exec, exec, s[26:27]
	v_pk_mov_b32 v[60:61], v[32:33], v[32:33] op_sel:[0,1]
	v_pk_mov_b32 v[58:59], v[30:31], v[30:31] op_sel:[0,1]
	;; [unrolled: 1-line block ×16, first 2 shown]
.LBB13_329:
	global_store_dwordx2 v[62:63], v[30:31], off
	global_store_dwordx2 v[64:65], v[32:33], off
	;; [unrolled: 1-line block ×14, first 2 shown]
.LBB13_330:
	s_endpgm
	.section	.rodata,"a",@progbits
	.p2align	6, 0x0
	.amdhsa_kernel _ZN9rocsolver6v33100L18trti2_kernel_smallILi14EdPdEEv13rocblas_fill_17rocblas_diagonal_T1_iil
		.amdhsa_group_segment_fixed_size 224
		.amdhsa_private_segment_fixed_size 0
		.amdhsa_kernarg_size 32
		.amdhsa_user_sgpr_count 6
		.amdhsa_user_sgpr_private_segment_buffer 1
		.amdhsa_user_sgpr_dispatch_ptr 0
		.amdhsa_user_sgpr_queue_ptr 0
		.amdhsa_user_sgpr_kernarg_segment_ptr 1
		.amdhsa_user_sgpr_dispatch_id 0
		.amdhsa_user_sgpr_flat_scratch_init 0
		.amdhsa_user_sgpr_kernarg_preload_length 0
		.amdhsa_user_sgpr_kernarg_preload_offset 0
		.amdhsa_user_sgpr_private_segment_size 0
		.amdhsa_uses_dynamic_stack 0
		.amdhsa_system_sgpr_private_segment_wavefront_offset 0
		.amdhsa_system_sgpr_workgroup_id_x 1
		.amdhsa_system_sgpr_workgroup_id_y 0
		.amdhsa_system_sgpr_workgroup_id_z 0
		.amdhsa_system_sgpr_workgroup_info 0
		.amdhsa_system_vgpr_workitem_id 0
		.amdhsa_next_free_vgpr 118
		.amdhsa_next_free_sgpr 46
		.amdhsa_accum_offset 120
		.amdhsa_reserve_vcc 1
		.amdhsa_reserve_flat_scratch 0
		.amdhsa_float_round_mode_32 0
		.amdhsa_float_round_mode_16_64 0
		.amdhsa_float_denorm_mode_32 3
		.amdhsa_float_denorm_mode_16_64 3
		.amdhsa_dx10_clamp 1
		.amdhsa_ieee_mode 1
		.amdhsa_fp16_overflow 0
		.amdhsa_tg_split 0
		.amdhsa_exception_fp_ieee_invalid_op 0
		.amdhsa_exception_fp_denorm_src 0
		.amdhsa_exception_fp_ieee_div_zero 0
		.amdhsa_exception_fp_ieee_overflow 0
		.amdhsa_exception_fp_ieee_underflow 0
		.amdhsa_exception_fp_ieee_inexact 0
		.amdhsa_exception_int_div_zero 0
	.end_amdhsa_kernel
	.section	.text._ZN9rocsolver6v33100L18trti2_kernel_smallILi14EdPdEEv13rocblas_fill_17rocblas_diagonal_T1_iil,"axG",@progbits,_ZN9rocsolver6v33100L18trti2_kernel_smallILi14EdPdEEv13rocblas_fill_17rocblas_diagonal_T1_iil,comdat
.Lfunc_end13:
	.size	_ZN9rocsolver6v33100L18trti2_kernel_smallILi14EdPdEEv13rocblas_fill_17rocblas_diagonal_T1_iil, .Lfunc_end13-_ZN9rocsolver6v33100L18trti2_kernel_smallILi14EdPdEEv13rocblas_fill_17rocblas_diagonal_T1_iil
                                        ; -- End function
	.section	.AMDGPU.csdata,"",@progbits
; Kernel info:
; codeLenInByte = 27048
; NumSgprs: 50
; NumVgprs: 118
; NumAgprs: 0
; TotalNumVgprs: 118
; ScratchSize: 0
; MemoryBound: 0
; FloatMode: 240
; IeeeMode: 1
; LDSByteSize: 224 bytes/workgroup (compile time only)
; SGPRBlocks: 6
; VGPRBlocks: 14
; NumSGPRsForWavesPerEU: 50
; NumVGPRsForWavesPerEU: 118
; AccumOffset: 120
; Occupancy: 4
; WaveLimiterHint : 0
; COMPUTE_PGM_RSRC2:SCRATCH_EN: 0
; COMPUTE_PGM_RSRC2:USER_SGPR: 6
; COMPUTE_PGM_RSRC2:TRAP_HANDLER: 0
; COMPUTE_PGM_RSRC2:TGID_X_EN: 1
; COMPUTE_PGM_RSRC2:TGID_Y_EN: 0
; COMPUTE_PGM_RSRC2:TGID_Z_EN: 0
; COMPUTE_PGM_RSRC2:TIDIG_COMP_CNT: 0
; COMPUTE_PGM_RSRC3_GFX90A:ACCUM_OFFSET: 29
; COMPUTE_PGM_RSRC3_GFX90A:TG_SPLIT: 0
	.section	.text._ZN9rocsolver6v33100L18trti2_kernel_smallILi15EdPdEEv13rocblas_fill_17rocblas_diagonal_T1_iil,"axG",@progbits,_ZN9rocsolver6v33100L18trti2_kernel_smallILi15EdPdEEv13rocblas_fill_17rocblas_diagonal_T1_iil,comdat
	.globl	_ZN9rocsolver6v33100L18trti2_kernel_smallILi15EdPdEEv13rocblas_fill_17rocblas_diagonal_T1_iil ; -- Begin function _ZN9rocsolver6v33100L18trti2_kernel_smallILi15EdPdEEv13rocblas_fill_17rocblas_diagonal_T1_iil
	.p2align	8
	.type	_ZN9rocsolver6v33100L18trti2_kernel_smallILi15EdPdEEv13rocblas_fill_17rocblas_diagonal_T1_iil,@function
_ZN9rocsolver6v33100L18trti2_kernel_smallILi15EdPdEEv13rocblas_fill_17rocblas_diagonal_T1_iil: ; @_ZN9rocsolver6v33100L18trti2_kernel_smallILi15EdPdEEv13rocblas_fill_17rocblas_diagonal_T1_iil
; %bb.0:
	v_cmp_gt_u32_e32 vcc, 15, v0
	s_and_saveexec_b64 s[0:1], vcc
	s_cbranch_execz .LBB14_356
; %bb.1:
	s_load_dwordx8 s[36:43], s[4:5], 0x0
	s_ashr_i32 s2, s6, 31
	v_lshlrev_b32_e32 v34, 3, v0
	v_mov_b32_e32 v32, 0
	v_mov_b32_e32 v33, 0xbff00000
	s_waitcnt lgkmcnt(0)
	s_mul_i32 s3, s6, s43
	s_mul_hi_u32 s4, s6, s42
	s_add_i32 s3, s4, s3
	s_mul_i32 s2, s2, s42
	s_add_i32 s3, s3, s2
	s_mul_i32 s2, s6, s42
	s_ashr_i32 s1, s40, 31
	s_lshl_b64 s[2:3], s[2:3], 3
	s_mov_b32 s0, s40
	s_add_u32 s2, s38, s2
	s_addc_u32 s3, s39, s3
	s_lshl_b64 s[0:1], s[0:1], 3
	s_add_u32 s0, s2, s0
	s_addc_u32 s1, s3, s1
	v_mov_b32_e32 v1, s1
	v_add_co_u32_e32 v64, vcc, s0, v34
	s_ashr_i32 s3, s41, 31
	s_mov_b32 s2, s41
	v_addc_co_u32_e32 v65, vcc, 0, v1, vcc
	s_lshl_b64 s[2:3], s[2:3], 3
	v_add_co_u32_e32 v66, vcc, s2, v64
	s_add_i32 s2, s41, s41
	v_add_u32_e32 v2, s2, v0
	v_mov_b32_e32 v1, s3
	v_ashrrev_i32_e32 v3, 31, v2
	v_addc_co_u32_e32 v67, vcc, v65, v1, vcc
	v_lshlrev_b64 v[4:5], 3, v[2:3]
	v_add_u32_e32 v2, s41, v2
	v_mov_b32_e32 v1, s1
	v_add_co_u32_e32 v68, vcc, s0, v4
	v_ashrrev_i32_e32 v3, 31, v2
	v_addc_co_u32_e32 v69, vcc, v1, v5, vcc
	v_lshlrev_b64 v[4:5], 3, v[2:3]
	v_add_u32_e32 v2, s41, v2
	v_add_co_u32_e32 v70, vcc, s0, v4
	v_ashrrev_i32_e32 v3, 31, v2
	v_addc_co_u32_e32 v71, vcc, v1, v5, vcc
	v_lshlrev_b64 v[4:5], 3, v[2:3]
	v_add_u32_e32 v2, s41, v2
	;; [unrolled: 5-line block ×11, first 2 shown]
	v_add_co_u32_e32 v90, vcc, s0, v4
	v_ashrrev_i32_e32 v3, 31, v2
	v_addc_co_u32_e32 v91, vcc, v1, v5, vcc
	v_lshlrev_b64 v[2:3], 3, v[2:3]
	v_add_co_u32_e32 v92, vcc, s0, v2
	v_addc_co_u32_e32 v93, vcc, v1, v3, vcc
	global_load_dwordx2 v[4:5], v[66:67], off
	global_load_dwordx2 v[6:7], v[68:69], off
	;; [unrolled: 1-line block ×13, first 2 shown]
	global_load_dwordx2 v[2:3], v34, s[0:1]
	global_load_dwordx2 v[30:31], v[92:93], off
	s_cmpk_lg_i32 s37, 0x84
	v_mov_b32_e32 v1, 0
	s_cselect_b64 s[30:31], -1, 0
	s_cmpk_eq_i32 s37, 0x84
	v_cmp_eq_u32_e64 s[0:1], 0, v0
	s_cbranch_scc1 .LBB14_3
; %bb.2:
	v_cmp_eq_u32_e64 s[2:3], 1, v0
	s_waitcnt vmcnt(1)
	v_cndmask_b32_e64 v32, v3, v5, s[2:3]
	v_cmp_eq_u32_e64 s[4:5], 2, v0
	v_cndmask_b32_e64 v32, v32, v7, s[4:5]
	v_cmp_eq_u32_e64 s[6:7], 3, v0
	;; [unrolled: 2-line block ×13, first 2 shown]
	s_waitcnt vmcnt(0)
	v_cndmask_b32_e64 v33, v32, v31, s[28:29]
	v_cndmask_b32_e64 v32, v2, v4, s[2:3]
	;; [unrolled: 1-line block ×15, first 2 shown]
	v_div_scale_f64 v[36:37], s[34:35], v[32:33], v[32:33], 1.0
	v_rcp_f64_e32 v[38:39], v[36:37]
	v_fma_f64 v[40:41], -v[36:37], v[38:39], 1.0
	v_fmac_f64_e32 v[38:39], v[38:39], v[40:41]
	v_fma_f64 v[40:41], -v[36:37], v[38:39], 1.0
	v_fmac_f64_e32 v[38:39], v[38:39], v[40:41]
	v_div_scale_f64 v[40:41], vcc, 1.0, v[32:33], 1.0
	v_mul_f64 v[42:43], v[40:41], v[38:39]
	v_fma_f64 v[36:37], -v[36:37], v[42:43], v[40:41]
	s_nop 1
	v_div_fmas_f64 v[36:37], v[36:37], v[38:39], v[42:43]
	v_div_fixup_f64 v[32:33], v[36:37], v[32:33], 1.0
	v_cndmask_b32_e64 v31, v31, v33, s[28:29]
	v_cndmask_b32_e64 v30, v30, v32, s[28:29]
	;; [unrolled: 1-line block ×30, first 2 shown]
	v_xor_b32_e32 v33, 0x80000000, v33
.LBB14_3:
	s_cmpk_eq_i32 s36, 0x79
	v_add_u32_e32 v97, 0x80, v34
	ds_write_b64 v34, v[32:33]
	s_cbranch_scc1 .LBB14_7
; %bb.4:
	s_waitcnt vmcnt(0)
	v_pk_mov_b32 v[62:63], v[32:33], v[32:33] op_sel:[0,1]
	v_cmp_eq_u32_e64 s[0:1], 14, v0
	v_pk_mov_b32 v[60:61], v[30:31], v[30:31] op_sel:[0,1]
	v_pk_mov_b32 v[58:59], v[28:29], v[28:29] op_sel:[0,1]
	;; [unrolled: 1-line block ×15, first 2 shown]
	ds_write_b64 v97, v[28:29]
	s_waitcnt lgkmcnt(0)
	; wave barrier
	s_waitcnt lgkmcnt(0)
	s_and_saveexec_b64 s[28:29], s[0:1]
	s_cbranch_execz .LBB14_11
; %bb.5:
	s_and_b64 vcc, exec, s[30:31]
	s_cbranch_vccz .LBB14_8
; %bb.6:
	v_cmp_eq_u32_e32 vcc, 1, v0
	v_cndmask_b32_e32 v32, v3, v5, vcc
	v_cmp_eq_u32_e64 s[2:3], 2, v0
	v_cndmask_b32_e64 v32, v32, v7, s[2:3]
	v_cmp_eq_u32_e64 s[4:5], 3, v0
	v_cndmask_b32_e64 v32, v32, v9, s[4:5]
	;; [unrolled: 2-line block ×13, first 2 shown]
	v_cndmask_b32_e32 v32, v2, v4, vcc
	v_cndmask_b32_e64 v32, v32, v6, s[2:3]
	v_cndmask_b32_e64 v32, v32, v8, s[4:5]
	;; [unrolled: 1-line block ×9, first 2 shown]
	ds_read_b64 v[34:35], v97
	v_cndmask_b32_e64 v32, v32, v24, s[20:21]
	v_cndmask_b32_e64 v32, v32, v26, s[22:23]
	;; [unrolled: 1-line block ×4, first 2 shown]
	s_waitcnt lgkmcnt(0)
	v_mul_f64 v[36:37], v[32:33], v[34:35]
	s_cbranch_execz .LBB14_9
	s_branch .LBB14_10
.LBB14_7:
                                        ; implicit-def: $vgpr32_vgpr33_vgpr34_vgpr35_vgpr36_vgpr37_vgpr38_vgpr39_vgpr40_vgpr41_vgpr42_vgpr43_vgpr44_vgpr45_vgpr46_vgpr47_vgpr48_vgpr49_vgpr50_vgpr51_vgpr52_vgpr53_vgpr54_vgpr55_vgpr56_vgpr57_vgpr58_vgpr59_vgpr60_vgpr61_vgpr62_vgpr63
	s_cbranch_execnz .LBB14_210
	s_branch .LBB14_355
.LBB14_8:
                                        ; implicit-def: $vgpr36_vgpr37
.LBB14_9:
	ds_read_b64 v[36:37], v97
.LBB14_10:
	v_mov_b32_e32 v32, 0
	ds_read_b64 v[38:39], v32 offset:104
	v_mov_b32_e32 v32, v2
	v_mov_b32_e32 v33, v3
	;; [unrolled: 1-line block ×4, first 2 shown]
	s_waitcnt lgkmcnt(0)
	v_mul_f64 v[58:59], v[36:37], v[38:39]
	v_mov_b32_e32 v36, v6
	v_mov_b32_e32 v37, v7
	;; [unrolled: 1-line block ×24, first 2 shown]
.LBB14_11:
	s_or_b64 exec, exec, s[28:29]
	v_cmp_lt_u32_e64 s[2:3], 12, v0
	ds_write_b64 v97, v[56:57]
	s_waitcnt lgkmcnt(0)
	; wave barrier
	s_waitcnt lgkmcnt(0)
	s_and_saveexec_b64 s[34:35], s[2:3]
	s_cbranch_execz .LBB14_17
; %bb.12:
	s_andn2_b64 vcc, exec, s[30:31]
	s_cbranch_vccnz .LBB14_14
; %bb.13:
	v_cmp_eq_u32_e32 vcc, 1, v0
	v_cndmask_b32_e32 v62, v33, v35, vcc
	v_cmp_eq_u32_e64 s[4:5], 2, v0
	v_cndmask_b32_e64 v62, v62, v37, s[4:5]
	v_cmp_eq_u32_e64 s[6:7], 3, v0
	v_cndmask_b32_e64 v62, v62, v39, s[6:7]
	;; [unrolled: 2-line block ×11, first 2 shown]
	v_cndmask_b32_e32 v62, v32, v34, vcc
	v_cndmask_b32_e64 v62, v62, v36, s[4:5]
	v_cndmask_b32_e64 v62, v62, v38, s[6:7]
	;; [unrolled: 1-line block ×9, first 2 shown]
	ds_read_b64 v[62:63], v97
	v_cndmask_b32_e64 v94, v94, v54, s[22:23]
	v_cmp_eq_u32_e64 s[26:27], 13, v0
	v_cndmask_b32_e64 v56, v94, v56, s[24:25]
	v_cndmask_b32_e64 v57, v57, v59, s[26:27]
	v_cmp_eq_u32_e64 s[28:29], 14, v0
	v_cndmask_b32_e64 v56, v56, v58, s[26:27]
	v_cndmask_b32_e64 v57, v57, v61, s[28:29]
	;; [unrolled: 1-line block ×3, first 2 shown]
	s_waitcnt lgkmcnt(0)
	v_mul_f64 v[56:57], v[56:57], v[62:63]
	s_cbranch_execz .LBB14_15
	s_branch .LBB14_16
.LBB14_14:
                                        ; implicit-def: $vgpr56_vgpr57
.LBB14_15:
	ds_read_b64 v[56:57], v97
.LBB14_16:
	v_mov_b32_e32 v62, 0
	ds_read2_b64 v[98:101], v62 offset0:12 offset1:29
	s_waitcnt lgkmcnt(0)
	v_fma_f64 v[62:63], v[58:59], v[100:101], v[56:57]
	v_cndmask_b32_e64 v57, v57, v63, s[0:1]
	v_cndmask_b32_e64 v56, v56, v62, s[0:1]
	v_mul_f64 v[56:57], v[56:57], v[98:99]
.LBB14_17:
	s_or_b64 exec, exec, s[34:35]
	v_cmp_lt_u32_e64 s[0:1], 11, v0
	ds_write_b64 v97, v[54:55]
	s_waitcnt lgkmcnt(0)
	; wave barrier
	s_waitcnt lgkmcnt(0)
	s_and_saveexec_b64 s[34:35], s[0:1]
	s_cbranch_execz .LBB14_33
; %bb.18:
	s_andn2_b64 vcc, exec, s[30:31]
	s_cbranch_vccnz .LBB14_20
; %bb.19:
	v_cmp_eq_u32_e32 vcc, 1, v0
	v_cndmask_b32_e32 v94, v33, v35, vcc
	v_cmp_eq_u32_e64 s[4:5], 2, v0
	v_cndmask_b32_e64 v94, v94, v37, s[4:5]
	v_cmp_eq_u32_e64 s[6:7], 3, v0
	v_cndmask_b32_e64 v94, v94, v39, s[6:7]
	;; [unrolled: 2-line block ×13, first 2 shown]
	v_cndmask_b32_e32 v94, v32, v34, vcc
	v_cndmask_b32_e64 v94, v94, v36, s[4:5]
	v_cndmask_b32_e64 v94, v94, v38, s[6:7]
	;; [unrolled: 1-line block ×9, first 2 shown]
	ds_read_b64 v[98:99], v97
	v_cndmask_b32_e64 v94, v94, v54, s[22:23]
	v_cndmask_b32_e64 v94, v94, v56, s[24:25]
	;; [unrolled: 1-line block ×4, first 2 shown]
	s_waitcnt lgkmcnt(0)
	v_mul_f64 v[94:95], v[94:95], v[98:99]
	s_cbranch_execz .LBB14_21
	s_branch .LBB14_22
.LBB14_20:
                                        ; implicit-def: $vgpr94_vgpr95
.LBB14_21:
	ds_read_b64 v[94:95], v97
.LBB14_22:
	s_and_saveexec_b64 s[6:7], s[2:3]
	s_cbranch_execz .LBB14_32
; %bb.23:
	v_add_u32_e32 v96, -13, v0
	v_add_u32_e32 v99, -12, v0
	v_cmp_lt_u32_e32 vcc, 6, v96
	v_mov_b32_e32 v96, 12
	s_and_saveexec_b64 s[2:3], vcc
	s_cbranch_execz .LBB14_27
; %bb.24:
	v_and_b32_e32 v96, -8, v99
	v_sub_u32_e32 v98, 0, v96
	s_mov_b64 s[4:5], 19
	s_movk_i32 s10, 0xe0
	s_mov_b64 s[8:9], 0
.LBB14_25:                              ; =>This Inner Loop Header: Depth=1
	s_lshl_b32 s11, s4, 1
	s_add_i32 s12, s11, -13
	s_add_i32 s13, s11, -14
	s_set_gpr_idx_on s12, gpr_idx(SRC0)
	v_mov_b32_e32 v117, v32
	s_set_gpr_idx_off
	v_mov_b32_e32 v96, s10
	s_add_i32 s14, s11, -11
	s_set_gpr_idx_on s13, gpr_idx(SRC0)
	v_mov_b32_e32 v116, v32
	s_set_gpr_idx_off
	s_add_i32 s15, s11, -12
	ds_read_b128 v[100:103], v96
	ds_read_b128 v[104:107], v96 offset:16
	ds_read_b128 v[108:111], v96 offset:32
	;; [unrolled: 1-line block ×3, first 2 shown]
	s_set_gpr_idx_on s14, gpr_idx(SRC0)
	v_mov_b32_e32 v119, v32
	s_set_gpr_idx_off
	s_add_i32 s16, s11, -9
	s_set_gpr_idx_on s15, gpr_idx(SRC0)
	v_mov_b32_e32 v118, v32
	s_set_gpr_idx_off
	s_add_i32 s17, s11, -10
	;; [unrolled: 4-line block ×4, first 2 shown]
	s_waitcnt lgkmcnt(3)
	v_fmac_f64_e32 v[94:95], v[116:117], v[100:101]
	s_set_gpr_idx_on s18, gpr_idx(SRC0)
	v_mov_b32_e32 v101, v32
	s_set_gpr_idx_off
	s_add_i32 s20, s11, -5
	v_fmac_f64_e32 v[94:95], v[118:119], v[102:103]
	s_set_gpr_idx_on s19, gpr_idx(SRC0)
	v_mov_b32_e32 v100, v32
	s_set_gpr_idx_off
	s_add_i32 s21, s11, -6
	s_waitcnt lgkmcnt(2)
	v_fmac_f64_e32 v[94:95], v[120:121], v[104:105]
	s_set_gpr_idx_on s20, gpr_idx(SRC0)
	v_mov_b32_e32 v103, v32
	s_set_gpr_idx_off
	s_add_i32 s22, s11, -3
	v_fmac_f64_e32 v[94:95], v[100:101], v[106:107]
	s_set_gpr_idx_on s21, gpr_idx(SRC0)
	v_mov_b32_e32 v102, v32
	s_set_gpr_idx_off
	s_add_i32 s23, s11, -4
	s_waitcnt lgkmcnt(1)
	v_fmac_f64_e32 v[94:95], v[102:103], v[108:109]
	s_set_gpr_idx_on s22, gpr_idx(SRC0)
	v_mov_b32_e32 v101, v32
	s_set_gpr_idx_off
	s_add_i32 s24, s11, -1
	s_set_gpr_idx_on s23, gpr_idx(SRC0)
	v_mov_b32_e32 v100, v32
	s_set_gpr_idx_off
	s_add_i32 s25, s11, -2
	v_fmac_f64_e32 v[94:95], v[100:101], v[110:111]
	s_set_gpr_idx_on s24, gpr_idx(SRC0)
	v_mov_b32_e32 v101, v32
	s_set_gpr_idx_off
	s_add_u32 s4, s4, 8
	s_set_gpr_idx_on s25, gpr_idx(SRC0)
	v_mov_b32_e32 v100, v32
	s_set_gpr_idx_off
	v_add_u32_e32 v96, s4, v98
	s_waitcnt lgkmcnt(0)
	v_fmac_f64_e32 v[94:95], v[100:101], v[112:113]
	s_set_gpr_idx_on s11, gpr_idx(SRC0)
	v_mov_b32_e32 v101, v33
	s_set_gpr_idx_off
	s_addc_u32 s5, s5, 0
	s_add_i32 s10, s10, 64
	s_add_i32 s12, s4, -7
	v_cmp_eq_u32_e32 vcc, 19, v96
	s_set_gpr_idx_on s11, gpr_idx(SRC0)
	v_mov_b32_e32 v100, v32
	s_set_gpr_idx_off
	v_mov_b32_e32 v96, s12
	s_or_b64 s[8:9], vcc, s[8:9]
	v_fmac_f64_e32 v[94:95], v[100:101], v[114:115]
	s_andn2_b64 exec, exec, s[8:9]
	s_cbranch_execnz .LBB14_25
; %bb.26:
	s_or_b64 exec, exec, s[8:9]
.LBB14_27:
	s_or_b64 exec, exec, s[2:3]
	v_and_b32_e32 v62, 7, v99
	v_cmp_ne_u32_e32 vcc, 0, v62
	s_and_saveexec_b64 s[8:9], vcc
	s_cbranch_execz .LBB14_31
; %bb.28:
	v_mov_b32_e32 v63, 0x80
	v_lshl_add_u32 v98, v96, 3, v63
	v_mov_b32_e32 v63, 0
	s_mov_b64 s[10:11], 0
.LBB14_29:                              ; =>This Inner Loop Header: Depth=1
	v_cmp_eq_u32_e32 vcc, 1, v96
	v_cndmask_b32_e32 v99, v33, v35, vcc
	v_add_u32_e32 v62, -1, v62
	v_cmp_eq_u32_e64 s[2:3], 2, v96
	v_cndmask_b32_e64 v99, v99, v37, s[2:3]
	v_cndmask_b32_e32 v102, v32, v34, vcc
	v_cmp_eq_u32_e32 vcc, 0, v62
	v_cmp_eq_u32_e64 s[4:5], 3, v96
	v_cndmask_b32_e64 v99, v99, v39, s[4:5]
	v_cndmask_b32_e64 v102, v102, v36, s[2:3]
	s_or_b64 s[10:11], vcc, s[10:11]
	v_cmp_eq_u32_e32 vcc, 4, v96
	v_cndmask_b32_e32 v99, v99, v41, vcc
	v_cndmask_b32_e64 v102, v102, v38, s[4:5]
	v_cmp_eq_u32_e64 s[2:3], 5, v96
	v_cndmask_b32_e64 v99, v99, v43, s[2:3]
	v_cndmask_b32_e32 v102, v102, v40, vcc
	v_cmp_eq_u32_e32 vcc, 6, v96
	v_cndmask_b32_e32 v99, v99, v45, vcc
	v_cndmask_b32_e64 v102, v102, v42, s[2:3]
	v_cmp_eq_u32_e64 s[2:3], 7, v96
	v_cndmask_b32_e64 v99, v99, v47, s[2:3]
	v_cndmask_b32_e32 v102, v102, v44, vcc
	;; [unrolled: 6-line block ×3, first 2 shown]
	v_cmp_eq_u32_e32 vcc, 10, v96
	v_cndmask_b32_e32 v99, v99, v53, vcc
	v_cndmask_b32_e64 v102, v102, v50, s[2:3]
	v_cmp_eq_u32_e64 s[2:3], 11, v96
	ds_read_b64 v[100:101], v98
	v_cndmask_b32_e64 v99, v99, v55, s[2:3]
	v_cndmask_b32_e32 v102, v102, v52, vcc
	v_cmp_eq_u32_e32 vcc, 12, v96
	v_cndmask_b32_e32 v99, v99, v57, vcc
	v_cndmask_b32_e64 v102, v102, v54, s[2:3]
	v_cmp_eq_u32_e64 s[2:3], 13, v96
	v_cndmask_b32_e64 v99, v99, v59, s[2:3]
	v_cmp_eq_u32_e64 s[4:5], 14, v96
	v_cndmask_b32_e32 v102, v102, v56, vcc
	v_cndmask_b32_e64 v103, v99, v61, s[4:5]
	v_cndmask_b32_e64 v99, v102, v58, s[2:3]
	v_add_co_u32_e32 v96, vcc, 1, v96
	v_cndmask_b32_e64 v102, v99, v60, s[4:5]
	v_add_u32_e32 v98, 8, v98
	v_addc_co_u32_e32 v63, vcc, 0, v63, vcc
	s_waitcnt lgkmcnt(0)
	v_fmac_f64_e32 v[94:95], v[102:103], v[100:101]
	s_andn2_b64 exec, exec, s[10:11]
	s_cbranch_execnz .LBB14_29
; %bb.30:
	s_or_b64 exec, exec, s[10:11]
.LBB14_31:
	s_or_b64 exec, exec, s[8:9]
.LBB14_32:
	s_or_b64 exec, exec, s[6:7]
	v_mov_b32_e32 v54, 0
	ds_read_b64 v[54:55], v54 offset:88
	s_waitcnt lgkmcnt(0)
	v_mul_f64 v[54:55], v[94:95], v[54:55]
.LBB14_33:
	s_or_b64 exec, exec, s[34:35]
	v_cmp_lt_u32_e64 s[2:3], 10, v0
	ds_write_b64 v97, v[52:53]
	s_waitcnt lgkmcnt(0)
	; wave barrier
	s_waitcnt lgkmcnt(0)
	s_and_saveexec_b64 s[34:35], s[2:3]
	s_cbranch_execz .LBB14_49
; %bb.34:
	s_andn2_b64 vcc, exec, s[30:31]
	s_cbranch_vccnz .LBB14_36
; %bb.35:
	v_cmp_eq_u32_e32 vcc, 1, v0
	v_cndmask_b32_e32 v94, v33, v35, vcc
	v_cmp_eq_u32_e64 s[4:5], 2, v0
	v_cndmask_b32_e64 v94, v94, v37, s[4:5]
	v_cmp_eq_u32_e64 s[6:7], 3, v0
	v_cndmask_b32_e64 v94, v94, v39, s[6:7]
	;; [unrolled: 2-line block ×13, first 2 shown]
	v_cndmask_b32_e32 v94, v32, v34, vcc
	v_cndmask_b32_e64 v94, v94, v36, s[4:5]
	v_cndmask_b32_e64 v94, v94, v38, s[6:7]
	;; [unrolled: 1-line block ×9, first 2 shown]
	ds_read_b64 v[98:99], v97
	v_cndmask_b32_e64 v94, v94, v54, s[22:23]
	v_cndmask_b32_e64 v94, v94, v56, s[24:25]
	;; [unrolled: 1-line block ×4, first 2 shown]
	s_waitcnt lgkmcnt(0)
	v_mul_f64 v[94:95], v[94:95], v[98:99]
	s_cbranch_execz .LBB14_37
	s_branch .LBB14_38
.LBB14_36:
                                        ; implicit-def: $vgpr94_vgpr95
.LBB14_37:
	ds_read_b64 v[94:95], v97
.LBB14_38:
	s_and_saveexec_b64 s[6:7], s[0:1]
	s_cbranch_execz .LBB14_48
; %bb.39:
	v_add_u32_e32 v96, -12, v0
	v_add_u32_e32 v99, -11, v0
	v_cmp_lt_u32_e32 vcc, 6, v96
	v_mov_b32_e32 v96, 11
	s_and_saveexec_b64 s[0:1], vcc
	s_cbranch_execz .LBB14_43
; %bb.40:
	v_and_b32_e32 v96, -8, v99
	v_sub_u32_e32 v98, 0, v96
	s_mov_b64 s[4:5], 18
	s_movk_i32 s10, 0xd8
	s_mov_b64 s[8:9], 0
.LBB14_41:                              ; =>This Inner Loop Header: Depth=1
	s_lshl_b32 s11, s4, 1
	s_add_i32 s12, s11, -13
	v_mov_b32_e32 v114, s10
	s_add_i32 s13, s11, -14
	s_set_gpr_idx_on s12, gpr_idx(SRC0)
	v_mov_b32_e32 v109, v32
	s_set_gpr_idx_off
	s_add_i32 s14, s11, -11
	s_set_gpr_idx_on s13, gpr_idx(SRC0)
	v_mov_b32_e32 v108, v32
	s_set_gpr_idx_off
	ds_read2_b64 v[100:103], v114 offset1:1
	s_add_i32 s15, s11, -12
	s_set_gpr_idx_on s14, gpr_idx(SRC0)
	v_mov_b32_e32 v111, v32
	s_set_gpr_idx_off
	s_add_i32 s16, s11, -9
	s_set_gpr_idx_on s15, gpr_idx(SRC0)
	v_mov_b32_e32 v110, v32
	s_set_gpr_idx_off
	;; [unrolled: 4-line block ×4, first 2 shown]
	ds_read2_b64 v[104:107], v114 offset0:2 offset1:3
	s_add_i32 s19, s11, -8
	s_waitcnt lgkmcnt(1)
	v_fmac_f64_e32 v[94:95], v[108:109], v[100:101]
	s_set_gpr_idx_on s18, gpr_idx(SRC0)
	v_mov_b32_e32 v109, v32
	s_set_gpr_idx_off
	s_add_i32 s20, s11, -5
	v_fmac_f64_e32 v[94:95], v[110:111], v[102:103]
	s_set_gpr_idx_on s19, gpr_idx(SRC0)
	v_mov_b32_e32 v108, v32
	s_set_gpr_idx_off
	s_add_i32 s21, s11, -6
	s_set_gpr_idx_on s20, gpr_idx(SRC0)
	v_mov_b32_e32 v111, v32
	s_set_gpr_idx_off
	s_add_i32 s22, s11, -3
	;; [unrolled: 4-line block ×3, first 2 shown]
	ds_read2_b64 v[100:103], v114 offset0:4 offset1:5
	s_waitcnt lgkmcnt(1)
	v_fmac_f64_e32 v[94:95], v[112:113], v[104:105]
	s_set_gpr_idx_on s22, gpr_idx(SRC0)
	v_mov_b32_e32 v113, v32
	s_set_gpr_idx_off
	s_add_i32 s24, s11, -1
	v_fmac_f64_e32 v[94:95], v[108:109], v[106:107]
	s_set_gpr_idx_on s23, gpr_idx(SRC0)
	v_mov_b32_e32 v112, v32
	s_set_gpr_idx_off
	s_add_i32 s25, s11, -2
	s_set_gpr_idx_on s24, gpr_idx(SRC0)
	v_mov_b32_e32 v109, v32
	s_set_gpr_idx_off
	s_set_gpr_idx_on s25, gpr_idx(SRC0)
	v_mov_b32_e32 v108, v32
	s_set_gpr_idx_off
	ds_read2_b64 v[104:107], v114 offset0:6 offset1:7
	s_add_u32 s4, s4, 8
	s_waitcnt lgkmcnt(1)
	v_fmac_f64_e32 v[94:95], v[110:111], v[100:101]
	s_set_gpr_idx_on s11, gpr_idx(SRC0)
	v_mov_b32_e32 v101, v33
	s_set_gpr_idx_off
	v_add_u32_e32 v96, s4, v98
	v_fmac_f64_e32 v[94:95], v[112:113], v[102:103]
	s_set_gpr_idx_on s11, gpr_idx(SRC0)
	v_mov_b32_e32 v100, v32
	s_set_gpr_idx_off
	s_addc_u32 s5, s5, 0
	s_add_i32 s10, s10, 64
	s_add_i32 s12, s4, -7
	v_cmp_eq_u32_e32 vcc, 18, v96
	s_waitcnt lgkmcnt(0)
	v_fmac_f64_e32 v[94:95], v[108:109], v[104:105]
	v_mov_b32_e32 v96, s12
	s_or_b64 s[8:9], vcc, s[8:9]
	v_fmac_f64_e32 v[94:95], v[100:101], v[106:107]
	s_andn2_b64 exec, exec, s[8:9]
	s_cbranch_execnz .LBB14_41
; %bb.42:
	s_or_b64 exec, exec, s[8:9]
.LBB14_43:
	s_or_b64 exec, exec, s[0:1]
	v_and_b32_e32 v62, 7, v99
	v_cmp_ne_u32_e32 vcc, 0, v62
	s_and_saveexec_b64 s[8:9], vcc
	s_cbranch_execz .LBB14_47
; %bb.44:
	v_mov_b32_e32 v63, 0x80
	v_lshl_add_u32 v98, v96, 3, v63
	v_mov_b32_e32 v63, 0
	s_mov_b64 s[10:11], 0
.LBB14_45:                              ; =>This Inner Loop Header: Depth=1
	v_cmp_eq_u32_e32 vcc, 1, v96
	v_cndmask_b32_e32 v99, v33, v35, vcc
	v_add_u32_e32 v62, -1, v62
	v_cmp_eq_u32_e64 s[0:1], 2, v96
	v_cndmask_b32_e64 v99, v99, v37, s[0:1]
	v_cndmask_b32_e32 v102, v32, v34, vcc
	v_cmp_eq_u32_e32 vcc, 0, v62
	v_cmp_eq_u32_e64 s[4:5], 3, v96
	v_cndmask_b32_e64 v99, v99, v39, s[4:5]
	v_cndmask_b32_e64 v102, v102, v36, s[0:1]
	s_or_b64 s[10:11], vcc, s[10:11]
	v_cmp_eq_u32_e32 vcc, 4, v96
	v_cndmask_b32_e32 v99, v99, v41, vcc
	v_cndmask_b32_e64 v102, v102, v38, s[4:5]
	v_cmp_eq_u32_e64 s[0:1], 5, v96
	v_cndmask_b32_e64 v99, v99, v43, s[0:1]
	v_cndmask_b32_e32 v102, v102, v40, vcc
	v_cmp_eq_u32_e32 vcc, 6, v96
	v_cndmask_b32_e32 v99, v99, v45, vcc
	v_cndmask_b32_e64 v102, v102, v42, s[0:1]
	v_cmp_eq_u32_e64 s[0:1], 7, v96
	v_cndmask_b32_e64 v99, v99, v47, s[0:1]
	v_cndmask_b32_e32 v102, v102, v44, vcc
	;; [unrolled: 6-line block ×3, first 2 shown]
	v_cmp_eq_u32_e32 vcc, 10, v96
	v_cndmask_b32_e32 v99, v99, v53, vcc
	v_cndmask_b32_e64 v102, v102, v50, s[0:1]
	v_cmp_eq_u32_e64 s[0:1], 11, v96
	ds_read_b64 v[100:101], v98
	v_cndmask_b32_e64 v99, v99, v55, s[0:1]
	v_cndmask_b32_e32 v102, v102, v52, vcc
	v_cmp_eq_u32_e32 vcc, 12, v96
	v_cndmask_b32_e32 v99, v99, v57, vcc
	v_cndmask_b32_e64 v102, v102, v54, s[0:1]
	v_cmp_eq_u32_e64 s[0:1], 13, v96
	v_cndmask_b32_e64 v99, v99, v59, s[0:1]
	v_cmp_eq_u32_e64 s[4:5], 14, v96
	v_cndmask_b32_e32 v102, v102, v56, vcc
	v_cndmask_b32_e64 v103, v99, v61, s[4:5]
	v_cndmask_b32_e64 v99, v102, v58, s[0:1]
	v_add_co_u32_e32 v96, vcc, 1, v96
	v_cndmask_b32_e64 v102, v99, v60, s[4:5]
	v_add_u32_e32 v98, 8, v98
	v_addc_co_u32_e32 v63, vcc, 0, v63, vcc
	s_waitcnt lgkmcnt(0)
	v_fmac_f64_e32 v[94:95], v[102:103], v[100:101]
	s_andn2_b64 exec, exec, s[10:11]
	s_cbranch_execnz .LBB14_45
; %bb.46:
	s_or_b64 exec, exec, s[10:11]
.LBB14_47:
	s_or_b64 exec, exec, s[8:9]
.LBB14_48:
	s_or_b64 exec, exec, s[6:7]
	v_mov_b32_e32 v52, 0
	ds_read_b64 v[52:53], v52 offset:80
	s_waitcnt lgkmcnt(0)
	v_mul_f64 v[52:53], v[94:95], v[52:53]
.LBB14_49:
	s_or_b64 exec, exec, s[34:35]
	v_cmp_lt_u32_e64 s[0:1], 9, v0
	ds_write_b64 v97, v[50:51]
	s_waitcnt lgkmcnt(0)
	; wave barrier
	s_waitcnt lgkmcnt(0)
	s_and_saveexec_b64 s[34:35], s[0:1]
	s_cbranch_execz .LBB14_65
; %bb.50:
	s_andn2_b64 vcc, exec, s[30:31]
	s_cbranch_vccnz .LBB14_52
; %bb.51:
	v_cmp_eq_u32_e32 vcc, 1, v0
	v_cndmask_b32_e32 v94, v33, v35, vcc
	v_cmp_eq_u32_e64 s[4:5], 2, v0
	v_cndmask_b32_e64 v94, v94, v37, s[4:5]
	v_cmp_eq_u32_e64 s[6:7], 3, v0
	v_cndmask_b32_e64 v94, v94, v39, s[6:7]
	;; [unrolled: 2-line block ×13, first 2 shown]
	v_cndmask_b32_e32 v94, v32, v34, vcc
	v_cndmask_b32_e64 v94, v94, v36, s[4:5]
	v_cndmask_b32_e64 v94, v94, v38, s[6:7]
	;; [unrolled: 1-line block ×9, first 2 shown]
	ds_read_b64 v[98:99], v97
	v_cndmask_b32_e64 v94, v94, v54, s[22:23]
	v_cndmask_b32_e64 v94, v94, v56, s[24:25]
	;; [unrolled: 1-line block ×4, first 2 shown]
	s_waitcnt lgkmcnt(0)
	v_mul_f64 v[94:95], v[94:95], v[98:99]
	s_cbranch_execz .LBB14_53
	s_branch .LBB14_54
.LBB14_52:
                                        ; implicit-def: $vgpr94_vgpr95
.LBB14_53:
	ds_read_b64 v[94:95], v97
.LBB14_54:
	s_and_saveexec_b64 s[6:7], s[2:3]
	s_cbranch_execz .LBB14_64
; %bb.55:
	v_add_u32_e32 v96, -11, v0
	v_add_u32_e32 v99, -10, v0
	v_cmp_lt_u32_e32 vcc, 6, v96
	v_mov_b32_e32 v96, 10
	s_and_saveexec_b64 s[2:3], vcc
	s_cbranch_execz .LBB14_59
; %bb.56:
	v_and_b32_e32 v96, -8, v99
	v_sub_u32_e32 v98, 0, v96
	s_mov_b64 s[4:5], 17
	s_movk_i32 s10, 0xd0
	s_mov_b64 s[8:9], 0
.LBB14_57:                              ; =>This Inner Loop Header: Depth=1
	s_lshl_b32 s11, s4, 1
	s_add_i32 s12, s11, -13
	s_add_i32 s13, s11, -14
	s_set_gpr_idx_on s12, gpr_idx(SRC0)
	v_mov_b32_e32 v117, v32
	s_set_gpr_idx_off
	v_mov_b32_e32 v96, s10
	s_add_i32 s14, s11, -11
	s_set_gpr_idx_on s13, gpr_idx(SRC0)
	v_mov_b32_e32 v116, v32
	s_set_gpr_idx_off
	s_add_i32 s15, s11, -12
	ds_read_b128 v[100:103], v96
	ds_read_b128 v[104:107], v96 offset:16
	ds_read_b128 v[108:111], v96 offset:32
	ds_read_b128 v[112:115], v96 offset:48
	s_set_gpr_idx_on s14, gpr_idx(SRC0)
	v_mov_b32_e32 v119, v32
	s_set_gpr_idx_off
	s_add_i32 s16, s11, -9
	s_set_gpr_idx_on s15, gpr_idx(SRC0)
	v_mov_b32_e32 v118, v32
	s_set_gpr_idx_off
	s_add_i32 s17, s11, -10
	;; [unrolled: 4-line block ×4, first 2 shown]
	s_waitcnt lgkmcnt(3)
	v_fmac_f64_e32 v[94:95], v[116:117], v[100:101]
	s_set_gpr_idx_on s18, gpr_idx(SRC0)
	v_mov_b32_e32 v101, v32
	s_set_gpr_idx_off
	s_add_i32 s20, s11, -5
	v_fmac_f64_e32 v[94:95], v[118:119], v[102:103]
	s_set_gpr_idx_on s19, gpr_idx(SRC0)
	v_mov_b32_e32 v100, v32
	s_set_gpr_idx_off
	s_add_i32 s21, s11, -6
	s_waitcnt lgkmcnt(2)
	v_fmac_f64_e32 v[94:95], v[120:121], v[104:105]
	s_set_gpr_idx_on s20, gpr_idx(SRC0)
	v_mov_b32_e32 v103, v32
	s_set_gpr_idx_off
	s_add_i32 s22, s11, -3
	v_fmac_f64_e32 v[94:95], v[100:101], v[106:107]
	s_set_gpr_idx_on s21, gpr_idx(SRC0)
	v_mov_b32_e32 v102, v32
	s_set_gpr_idx_off
	s_add_i32 s23, s11, -4
	s_waitcnt lgkmcnt(1)
	v_fmac_f64_e32 v[94:95], v[102:103], v[108:109]
	s_set_gpr_idx_on s22, gpr_idx(SRC0)
	v_mov_b32_e32 v101, v32
	s_set_gpr_idx_off
	s_add_i32 s24, s11, -1
	s_set_gpr_idx_on s23, gpr_idx(SRC0)
	v_mov_b32_e32 v100, v32
	s_set_gpr_idx_off
	s_add_i32 s25, s11, -2
	v_fmac_f64_e32 v[94:95], v[100:101], v[110:111]
	s_set_gpr_idx_on s24, gpr_idx(SRC0)
	v_mov_b32_e32 v101, v32
	s_set_gpr_idx_off
	s_add_u32 s4, s4, 8
	s_set_gpr_idx_on s25, gpr_idx(SRC0)
	v_mov_b32_e32 v100, v32
	s_set_gpr_idx_off
	v_add_u32_e32 v96, s4, v98
	s_waitcnt lgkmcnt(0)
	v_fmac_f64_e32 v[94:95], v[100:101], v[112:113]
	s_set_gpr_idx_on s11, gpr_idx(SRC0)
	v_mov_b32_e32 v101, v33
	s_set_gpr_idx_off
	s_addc_u32 s5, s5, 0
	s_add_i32 s10, s10, 64
	s_add_i32 s12, s4, -7
	v_cmp_eq_u32_e32 vcc, 17, v96
	s_set_gpr_idx_on s11, gpr_idx(SRC0)
	v_mov_b32_e32 v100, v32
	s_set_gpr_idx_off
	v_mov_b32_e32 v96, s12
	s_or_b64 s[8:9], vcc, s[8:9]
	v_fmac_f64_e32 v[94:95], v[100:101], v[114:115]
	s_andn2_b64 exec, exec, s[8:9]
	s_cbranch_execnz .LBB14_57
; %bb.58:
	s_or_b64 exec, exec, s[8:9]
.LBB14_59:
	s_or_b64 exec, exec, s[2:3]
	v_and_b32_e32 v62, 7, v99
	v_cmp_ne_u32_e32 vcc, 0, v62
	s_and_saveexec_b64 s[8:9], vcc
	s_cbranch_execz .LBB14_63
; %bb.60:
	v_mov_b32_e32 v63, 0x80
	v_lshl_add_u32 v98, v96, 3, v63
	v_mov_b32_e32 v63, 0
	s_mov_b64 s[10:11], 0
.LBB14_61:                              ; =>This Inner Loop Header: Depth=1
	v_cmp_eq_u32_e32 vcc, 1, v96
	v_cndmask_b32_e32 v99, v33, v35, vcc
	v_add_u32_e32 v62, -1, v62
	v_cmp_eq_u32_e64 s[2:3], 2, v96
	v_cndmask_b32_e64 v99, v99, v37, s[2:3]
	v_cndmask_b32_e32 v102, v32, v34, vcc
	v_cmp_eq_u32_e32 vcc, 0, v62
	v_cmp_eq_u32_e64 s[4:5], 3, v96
	v_cndmask_b32_e64 v99, v99, v39, s[4:5]
	v_cndmask_b32_e64 v102, v102, v36, s[2:3]
	s_or_b64 s[10:11], vcc, s[10:11]
	v_cmp_eq_u32_e32 vcc, 4, v96
	v_cndmask_b32_e32 v99, v99, v41, vcc
	v_cndmask_b32_e64 v102, v102, v38, s[4:5]
	v_cmp_eq_u32_e64 s[2:3], 5, v96
	v_cndmask_b32_e64 v99, v99, v43, s[2:3]
	v_cndmask_b32_e32 v102, v102, v40, vcc
	v_cmp_eq_u32_e32 vcc, 6, v96
	v_cndmask_b32_e32 v99, v99, v45, vcc
	v_cndmask_b32_e64 v102, v102, v42, s[2:3]
	v_cmp_eq_u32_e64 s[2:3], 7, v96
	v_cndmask_b32_e64 v99, v99, v47, s[2:3]
	v_cndmask_b32_e32 v102, v102, v44, vcc
	v_cmp_eq_u32_e32 vcc, 8, v96
	v_cndmask_b32_e32 v99, v99, v49, vcc
	v_cndmask_b32_e64 v102, v102, v46, s[2:3]
	v_cmp_eq_u32_e64 s[2:3], 9, v96
	v_cndmask_b32_e64 v99, v99, v51, s[2:3]
	v_cndmask_b32_e32 v102, v102, v48, vcc
	v_cmp_eq_u32_e32 vcc, 10, v96
	v_cndmask_b32_e32 v99, v99, v53, vcc
	v_cndmask_b32_e64 v102, v102, v50, s[2:3]
	v_cmp_eq_u32_e64 s[2:3], 11, v96
	ds_read_b64 v[100:101], v98
	v_cndmask_b32_e64 v99, v99, v55, s[2:3]
	v_cndmask_b32_e32 v102, v102, v52, vcc
	v_cmp_eq_u32_e32 vcc, 12, v96
	v_cndmask_b32_e32 v99, v99, v57, vcc
	v_cndmask_b32_e64 v102, v102, v54, s[2:3]
	v_cmp_eq_u32_e64 s[2:3], 13, v96
	v_cndmask_b32_e64 v99, v99, v59, s[2:3]
	v_cmp_eq_u32_e64 s[4:5], 14, v96
	v_cndmask_b32_e32 v102, v102, v56, vcc
	v_cndmask_b32_e64 v103, v99, v61, s[4:5]
	v_cndmask_b32_e64 v99, v102, v58, s[2:3]
	v_add_co_u32_e32 v96, vcc, 1, v96
	v_cndmask_b32_e64 v102, v99, v60, s[4:5]
	v_add_u32_e32 v98, 8, v98
	v_addc_co_u32_e32 v63, vcc, 0, v63, vcc
	s_waitcnt lgkmcnt(0)
	v_fmac_f64_e32 v[94:95], v[102:103], v[100:101]
	s_andn2_b64 exec, exec, s[10:11]
	s_cbranch_execnz .LBB14_61
; %bb.62:
	s_or_b64 exec, exec, s[10:11]
.LBB14_63:
	s_or_b64 exec, exec, s[8:9]
.LBB14_64:
	s_or_b64 exec, exec, s[6:7]
	v_mov_b32_e32 v50, 0
	ds_read_b64 v[50:51], v50 offset:72
	s_waitcnt lgkmcnt(0)
	v_mul_f64 v[50:51], v[94:95], v[50:51]
.LBB14_65:
	s_or_b64 exec, exec, s[34:35]
	v_cmp_lt_u32_e64 s[2:3], 8, v0
	ds_write_b64 v97, v[48:49]
	s_waitcnt lgkmcnt(0)
	; wave barrier
	s_waitcnt lgkmcnt(0)
	s_and_saveexec_b64 s[34:35], s[2:3]
	s_cbranch_execz .LBB14_81
; %bb.66:
	s_andn2_b64 vcc, exec, s[30:31]
	s_cbranch_vccnz .LBB14_68
; %bb.67:
	v_cmp_eq_u32_e32 vcc, 1, v0
	v_cndmask_b32_e32 v94, v33, v35, vcc
	v_cmp_eq_u32_e64 s[4:5], 2, v0
	v_cndmask_b32_e64 v94, v94, v37, s[4:5]
	v_cmp_eq_u32_e64 s[6:7], 3, v0
	v_cndmask_b32_e64 v94, v94, v39, s[6:7]
	;; [unrolled: 2-line block ×13, first 2 shown]
	v_cndmask_b32_e32 v94, v32, v34, vcc
	v_cndmask_b32_e64 v94, v94, v36, s[4:5]
	v_cndmask_b32_e64 v94, v94, v38, s[6:7]
	v_cndmask_b32_e64 v94, v94, v40, s[8:9]
	v_cndmask_b32_e64 v94, v94, v42, s[10:11]
	v_cndmask_b32_e64 v94, v94, v44, s[12:13]
	v_cndmask_b32_e64 v94, v94, v46, s[14:15]
	v_cndmask_b32_e64 v94, v94, v48, s[16:17]
	v_cndmask_b32_e64 v94, v94, v50, s[18:19]
	v_cndmask_b32_e64 v94, v94, v52, s[20:21]
	ds_read_b64 v[98:99], v97
	v_cndmask_b32_e64 v94, v94, v54, s[22:23]
	v_cndmask_b32_e64 v94, v94, v56, s[24:25]
	;; [unrolled: 1-line block ×4, first 2 shown]
	s_waitcnt lgkmcnt(0)
	v_mul_f64 v[94:95], v[94:95], v[98:99]
	s_cbranch_execz .LBB14_69
	s_branch .LBB14_70
.LBB14_68:
                                        ; implicit-def: $vgpr94_vgpr95
.LBB14_69:
	ds_read_b64 v[94:95], v97
.LBB14_70:
	s_and_saveexec_b64 s[6:7], s[0:1]
	s_cbranch_execz .LBB14_80
; %bb.71:
	v_add_u32_e32 v96, -10, v0
	v_add_u32_e32 v99, -9, v0
	v_cmp_lt_u32_e32 vcc, 6, v96
	v_mov_b32_e32 v96, 9
	s_and_saveexec_b64 s[0:1], vcc
	s_cbranch_execz .LBB14_75
; %bb.72:
	v_and_b32_e32 v96, -8, v99
	v_sub_u32_e32 v98, 0, v96
	s_mov_b64 s[4:5], 16
	s_movk_i32 s10, 0xc8
	s_mov_b64 s[8:9], 0
.LBB14_73:                              ; =>This Inner Loop Header: Depth=1
	s_lshl_b32 s11, s4, 1
	s_add_i32 s12, s11, -13
	v_mov_b32_e32 v114, s10
	s_add_i32 s13, s11, -14
	s_set_gpr_idx_on s12, gpr_idx(SRC0)
	v_mov_b32_e32 v109, v32
	s_set_gpr_idx_off
	s_add_i32 s14, s11, -11
	s_set_gpr_idx_on s13, gpr_idx(SRC0)
	v_mov_b32_e32 v108, v32
	s_set_gpr_idx_off
	ds_read2_b64 v[100:103], v114 offset1:1
	s_add_i32 s15, s11, -12
	s_set_gpr_idx_on s14, gpr_idx(SRC0)
	v_mov_b32_e32 v111, v32
	s_set_gpr_idx_off
	s_add_i32 s16, s11, -9
	s_set_gpr_idx_on s15, gpr_idx(SRC0)
	v_mov_b32_e32 v110, v32
	s_set_gpr_idx_off
	;; [unrolled: 4-line block ×4, first 2 shown]
	ds_read2_b64 v[104:107], v114 offset0:2 offset1:3
	s_add_i32 s19, s11, -8
	s_waitcnt lgkmcnt(1)
	v_fmac_f64_e32 v[94:95], v[108:109], v[100:101]
	s_set_gpr_idx_on s18, gpr_idx(SRC0)
	v_mov_b32_e32 v109, v32
	s_set_gpr_idx_off
	s_add_i32 s20, s11, -5
	v_fmac_f64_e32 v[94:95], v[110:111], v[102:103]
	s_set_gpr_idx_on s19, gpr_idx(SRC0)
	v_mov_b32_e32 v108, v32
	s_set_gpr_idx_off
	s_add_i32 s21, s11, -6
	s_set_gpr_idx_on s20, gpr_idx(SRC0)
	v_mov_b32_e32 v111, v32
	s_set_gpr_idx_off
	s_add_i32 s22, s11, -3
	;; [unrolled: 4-line block ×3, first 2 shown]
	ds_read2_b64 v[100:103], v114 offset0:4 offset1:5
	s_waitcnt lgkmcnt(1)
	v_fmac_f64_e32 v[94:95], v[112:113], v[104:105]
	s_set_gpr_idx_on s22, gpr_idx(SRC0)
	v_mov_b32_e32 v113, v32
	s_set_gpr_idx_off
	s_add_i32 s24, s11, -1
	v_fmac_f64_e32 v[94:95], v[108:109], v[106:107]
	s_set_gpr_idx_on s23, gpr_idx(SRC0)
	v_mov_b32_e32 v112, v32
	s_set_gpr_idx_off
	s_add_i32 s25, s11, -2
	s_set_gpr_idx_on s24, gpr_idx(SRC0)
	v_mov_b32_e32 v109, v32
	s_set_gpr_idx_off
	s_set_gpr_idx_on s25, gpr_idx(SRC0)
	v_mov_b32_e32 v108, v32
	s_set_gpr_idx_off
	ds_read2_b64 v[104:107], v114 offset0:6 offset1:7
	s_add_u32 s4, s4, 8
	s_waitcnt lgkmcnt(1)
	v_fmac_f64_e32 v[94:95], v[110:111], v[100:101]
	s_set_gpr_idx_on s11, gpr_idx(SRC0)
	v_mov_b32_e32 v101, v33
	s_set_gpr_idx_off
	v_add_u32_e32 v96, s4, v98
	v_fmac_f64_e32 v[94:95], v[112:113], v[102:103]
	s_set_gpr_idx_on s11, gpr_idx(SRC0)
	v_mov_b32_e32 v100, v32
	s_set_gpr_idx_off
	s_addc_u32 s5, s5, 0
	s_add_i32 s10, s10, 64
	s_add_i32 s12, s4, -7
	v_cmp_eq_u32_e32 vcc, 16, v96
	s_waitcnt lgkmcnt(0)
	v_fmac_f64_e32 v[94:95], v[108:109], v[104:105]
	v_mov_b32_e32 v96, s12
	s_or_b64 s[8:9], vcc, s[8:9]
	v_fmac_f64_e32 v[94:95], v[100:101], v[106:107]
	s_andn2_b64 exec, exec, s[8:9]
	s_cbranch_execnz .LBB14_73
; %bb.74:
	s_or_b64 exec, exec, s[8:9]
.LBB14_75:
	s_or_b64 exec, exec, s[0:1]
	v_and_b32_e32 v62, 7, v99
	v_cmp_ne_u32_e32 vcc, 0, v62
	s_and_saveexec_b64 s[8:9], vcc
	s_cbranch_execz .LBB14_79
; %bb.76:
	v_mov_b32_e32 v63, 0x80
	v_lshl_add_u32 v98, v96, 3, v63
	v_mov_b32_e32 v63, 0
	s_mov_b64 s[10:11], 0
.LBB14_77:                              ; =>This Inner Loop Header: Depth=1
	v_cmp_eq_u32_e32 vcc, 1, v96
	v_cndmask_b32_e32 v99, v33, v35, vcc
	v_add_u32_e32 v62, -1, v62
	v_cmp_eq_u32_e64 s[0:1], 2, v96
	v_cndmask_b32_e64 v99, v99, v37, s[0:1]
	v_cndmask_b32_e32 v102, v32, v34, vcc
	v_cmp_eq_u32_e32 vcc, 0, v62
	v_cmp_eq_u32_e64 s[4:5], 3, v96
	v_cndmask_b32_e64 v99, v99, v39, s[4:5]
	v_cndmask_b32_e64 v102, v102, v36, s[0:1]
	s_or_b64 s[10:11], vcc, s[10:11]
	v_cmp_eq_u32_e32 vcc, 4, v96
	v_cndmask_b32_e32 v99, v99, v41, vcc
	v_cndmask_b32_e64 v102, v102, v38, s[4:5]
	v_cmp_eq_u32_e64 s[0:1], 5, v96
	v_cndmask_b32_e64 v99, v99, v43, s[0:1]
	v_cndmask_b32_e32 v102, v102, v40, vcc
	v_cmp_eq_u32_e32 vcc, 6, v96
	v_cndmask_b32_e32 v99, v99, v45, vcc
	v_cndmask_b32_e64 v102, v102, v42, s[0:1]
	v_cmp_eq_u32_e64 s[0:1], 7, v96
	v_cndmask_b32_e64 v99, v99, v47, s[0:1]
	v_cndmask_b32_e32 v102, v102, v44, vcc
	;; [unrolled: 6-line block ×3, first 2 shown]
	v_cmp_eq_u32_e32 vcc, 10, v96
	v_cndmask_b32_e32 v99, v99, v53, vcc
	v_cndmask_b32_e64 v102, v102, v50, s[0:1]
	v_cmp_eq_u32_e64 s[0:1], 11, v96
	ds_read_b64 v[100:101], v98
	v_cndmask_b32_e64 v99, v99, v55, s[0:1]
	v_cndmask_b32_e32 v102, v102, v52, vcc
	v_cmp_eq_u32_e32 vcc, 12, v96
	v_cndmask_b32_e32 v99, v99, v57, vcc
	v_cndmask_b32_e64 v102, v102, v54, s[0:1]
	v_cmp_eq_u32_e64 s[0:1], 13, v96
	v_cndmask_b32_e64 v99, v99, v59, s[0:1]
	v_cmp_eq_u32_e64 s[4:5], 14, v96
	v_cndmask_b32_e32 v102, v102, v56, vcc
	v_cndmask_b32_e64 v103, v99, v61, s[4:5]
	v_cndmask_b32_e64 v99, v102, v58, s[0:1]
	v_add_co_u32_e32 v96, vcc, 1, v96
	v_cndmask_b32_e64 v102, v99, v60, s[4:5]
	v_add_u32_e32 v98, 8, v98
	v_addc_co_u32_e32 v63, vcc, 0, v63, vcc
	s_waitcnt lgkmcnt(0)
	v_fmac_f64_e32 v[94:95], v[102:103], v[100:101]
	s_andn2_b64 exec, exec, s[10:11]
	s_cbranch_execnz .LBB14_77
; %bb.78:
	s_or_b64 exec, exec, s[10:11]
.LBB14_79:
	s_or_b64 exec, exec, s[8:9]
.LBB14_80:
	s_or_b64 exec, exec, s[6:7]
	v_mov_b32_e32 v48, 0
	ds_read_b64 v[48:49], v48 offset:64
	s_waitcnt lgkmcnt(0)
	v_mul_f64 v[48:49], v[94:95], v[48:49]
.LBB14_81:
	s_or_b64 exec, exec, s[34:35]
	v_cmp_lt_u32_e64 s[4:5], 7, v0
	ds_write_b64 v97, v[46:47]
	s_waitcnt lgkmcnt(0)
	; wave barrier
	s_waitcnt lgkmcnt(0)
	s_and_saveexec_b64 s[34:35], s[4:5]
	s_cbranch_execz .LBB14_97
; %bb.82:
	s_andn2_b64 vcc, exec, s[30:31]
	s_cbranch_vccnz .LBB14_84
; %bb.83:
	v_cmp_eq_u32_e32 vcc, 1, v0
	v_cndmask_b32_e32 v94, v33, v35, vcc
	v_cmp_eq_u32_e64 s[0:1], 2, v0
	v_cndmask_b32_e64 v94, v94, v37, s[0:1]
	v_cmp_eq_u32_e64 s[6:7], 3, v0
	v_cndmask_b32_e64 v94, v94, v39, s[6:7]
	;; [unrolled: 2-line block ×13, first 2 shown]
	v_cndmask_b32_e32 v94, v32, v34, vcc
	v_cndmask_b32_e64 v94, v94, v36, s[0:1]
	v_cndmask_b32_e64 v94, v94, v38, s[6:7]
	;; [unrolled: 1-line block ×9, first 2 shown]
	ds_read_b64 v[98:99], v97
	v_cndmask_b32_e64 v94, v94, v54, s[22:23]
	v_cndmask_b32_e64 v94, v94, v56, s[24:25]
	;; [unrolled: 1-line block ×4, first 2 shown]
	s_waitcnt lgkmcnt(0)
	v_mul_f64 v[94:95], v[94:95], v[98:99]
	s_cbranch_execz .LBB14_85
	s_branch .LBB14_86
.LBB14_84:
                                        ; implicit-def: $vgpr94_vgpr95
.LBB14_85:
	ds_read_b64 v[94:95], v97
.LBB14_86:
	s_and_saveexec_b64 s[6:7], s[2:3]
	s_cbranch_execz .LBB14_96
; %bb.87:
	v_add_u32_e32 v96, -9, v0
	v_cmp_lt_u32_e32 vcc, 6, v96
	v_mov_b32_e32 v96, 8
	s_and_saveexec_b64 s[0:1], vcc
	s_cbranch_execz .LBB14_91
; %bb.88:
	v_and_b32_e32 v96, 8, v0
	v_sub_u32_e32 v98, 0, v96
	s_mov_b64 s[2:3], 15
	s_movk_i32 s10, 0xc0
	s_mov_b64 s[8:9], 0
.LBB14_89:                              ; =>This Inner Loop Header: Depth=1
	s_lshl_b32 s11, s2, 1
	s_add_i32 s12, s11, -13
	s_add_i32 s13, s11, -14
	s_set_gpr_idx_on s12, gpr_idx(SRC0)
	v_mov_b32_e32 v117, v32
	s_set_gpr_idx_off
	v_mov_b32_e32 v96, s10
	s_add_i32 s14, s11, -11
	s_set_gpr_idx_on s13, gpr_idx(SRC0)
	v_mov_b32_e32 v116, v32
	s_set_gpr_idx_off
	s_add_i32 s15, s11, -12
	ds_read_b128 v[100:103], v96
	ds_read_b128 v[104:107], v96 offset:16
	ds_read_b128 v[108:111], v96 offset:32
	;; [unrolled: 1-line block ×3, first 2 shown]
	s_set_gpr_idx_on s14, gpr_idx(SRC0)
	v_mov_b32_e32 v119, v32
	s_set_gpr_idx_off
	s_add_i32 s16, s11, -9
	s_set_gpr_idx_on s15, gpr_idx(SRC0)
	v_mov_b32_e32 v118, v32
	s_set_gpr_idx_off
	s_add_i32 s17, s11, -10
	;; [unrolled: 4-line block ×4, first 2 shown]
	s_waitcnt lgkmcnt(3)
	v_fmac_f64_e32 v[94:95], v[116:117], v[100:101]
	s_set_gpr_idx_on s18, gpr_idx(SRC0)
	v_mov_b32_e32 v101, v32
	s_set_gpr_idx_off
	s_add_i32 s20, s11, -5
	v_fmac_f64_e32 v[94:95], v[118:119], v[102:103]
	s_set_gpr_idx_on s19, gpr_idx(SRC0)
	v_mov_b32_e32 v100, v32
	s_set_gpr_idx_off
	s_add_i32 s21, s11, -6
	s_waitcnt lgkmcnt(2)
	v_fmac_f64_e32 v[94:95], v[120:121], v[104:105]
	s_set_gpr_idx_on s20, gpr_idx(SRC0)
	v_mov_b32_e32 v103, v32
	s_set_gpr_idx_off
	s_add_i32 s22, s11, -3
	v_fmac_f64_e32 v[94:95], v[100:101], v[106:107]
	s_set_gpr_idx_on s21, gpr_idx(SRC0)
	v_mov_b32_e32 v102, v32
	s_set_gpr_idx_off
	s_add_i32 s23, s11, -4
	s_waitcnt lgkmcnt(1)
	v_fmac_f64_e32 v[94:95], v[102:103], v[108:109]
	s_set_gpr_idx_on s22, gpr_idx(SRC0)
	v_mov_b32_e32 v101, v32
	s_set_gpr_idx_off
	s_add_i32 s24, s11, -1
	s_set_gpr_idx_on s23, gpr_idx(SRC0)
	v_mov_b32_e32 v100, v32
	s_set_gpr_idx_off
	s_add_i32 s25, s11, -2
	v_fmac_f64_e32 v[94:95], v[100:101], v[110:111]
	s_set_gpr_idx_on s24, gpr_idx(SRC0)
	v_mov_b32_e32 v101, v32
	s_set_gpr_idx_off
	s_add_u32 s2, s2, 8
	s_set_gpr_idx_on s25, gpr_idx(SRC0)
	v_mov_b32_e32 v100, v32
	s_set_gpr_idx_off
	v_add_u32_e32 v96, s2, v98
	s_waitcnt lgkmcnt(0)
	v_fmac_f64_e32 v[94:95], v[100:101], v[112:113]
	s_set_gpr_idx_on s11, gpr_idx(SRC0)
	v_mov_b32_e32 v101, v33
	s_set_gpr_idx_off
	s_addc_u32 s3, s3, 0
	s_add_i32 s10, s10, 64
	s_add_i32 s12, s2, -7
	v_cmp_eq_u32_e32 vcc, 7, v96
	s_set_gpr_idx_on s11, gpr_idx(SRC0)
	v_mov_b32_e32 v100, v32
	s_set_gpr_idx_off
	v_mov_b32_e32 v96, s12
	s_or_b64 s[8:9], vcc, s[8:9]
	v_fmac_f64_e32 v[94:95], v[100:101], v[114:115]
	s_andn2_b64 exec, exec, s[8:9]
	s_cbranch_execnz .LBB14_89
; %bb.90:
	s_or_b64 exec, exec, s[8:9]
.LBB14_91:
	s_or_b64 exec, exec, s[0:1]
	v_and_b32_e32 v62, 7, v0
	v_cmp_ne_u32_e32 vcc, 0, v62
	s_and_saveexec_b64 s[8:9], vcc
	s_cbranch_execz .LBB14_95
; %bb.92:
	v_mov_b32_e32 v63, 0x80
	v_lshl_add_u32 v98, v96, 3, v63
	v_mov_b32_e32 v63, 0
	s_mov_b64 s[10:11], 0
.LBB14_93:                              ; =>This Inner Loop Header: Depth=1
	v_cmp_eq_u32_e32 vcc, 1, v96
	v_cndmask_b32_e32 v99, v33, v35, vcc
	v_add_u32_e32 v62, -1, v62
	v_cmp_eq_u32_e64 s[0:1], 2, v96
	v_cndmask_b32_e64 v99, v99, v37, s[0:1]
	v_cndmask_b32_e32 v102, v32, v34, vcc
	v_cmp_eq_u32_e32 vcc, 0, v62
	v_cmp_eq_u32_e64 s[2:3], 3, v96
	v_cndmask_b32_e64 v99, v99, v39, s[2:3]
	v_cndmask_b32_e64 v102, v102, v36, s[0:1]
	s_or_b64 s[10:11], vcc, s[10:11]
	v_cmp_eq_u32_e32 vcc, 4, v96
	v_cndmask_b32_e32 v99, v99, v41, vcc
	v_cndmask_b32_e64 v102, v102, v38, s[2:3]
	v_cmp_eq_u32_e64 s[0:1], 5, v96
	v_cndmask_b32_e64 v99, v99, v43, s[0:1]
	v_cndmask_b32_e32 v102, v102, v40, vcc
	v_cmp_eq_u32_e32 vcc, 6, v96
	v_cndmask_b32_e32 v99, v99, v45, vcc
	v_cndmask_b32_e64 v102, v102, v42, s[0:1]
	v_cmp_eq_u32_e64 s[0:1], 7, v96
	v_cndmask_b32_e64 v99, v99, v47, s[0:1]
	v_cndmask_b32_e32 v102, v102, v44, vcc
	;; [unrolled: 6-line block ×3, first 2 shown]
	v_cmp_eq_u32_e32 vcc, 10, v96
	v_cndmask_b32_e32 v99, v99, v53, vcc
	v_cndmask_b32_e64 v102, v102, v50, s[0:1]
	v_cmp_eq_u32_e64 s[0:1], 11, v96
	ds_read_b64 v[100:101], v98
	v_cndmask_b32_e64 v99, v99, v55, s[0:1]
	v_cndmask_b32_e32 v102, v102, v52, vcc
	v_cmp_eq_u32_e32 vcc, 12, v96
	v_cndmask_b32_e32 v99, v99, v57, vcc
	v_cndmask_b32_e64 v102, v102, v54, s[0:1]
	v_cmp_eq_u32_e64 s[0:1], 13, v96
	v_cndmask_b32_e64 v99, v99, v59, s[0:1]
	v_cmp_eq_u32_e64 s[2:3], 14, v96
	v_cndmask_b32_e32 v102, v102, v56, vcc
	v_cndmask_b32_e64 v103, v99, v61, s[2:3]
	v_cndmask_b32_e64 v99, v102, v58, s[0:1]
	v_add_co_u32_e32 v96, vcc, 1, v96
	v_cndmask_b32_e64 v102, v99, v60, s[2:3]
	v_add_u32_e32 v98, 8, v98
	v_addc_co_u32_e32 v63, vcc, 0, v63, vcc
	s_waitcnt lgkmcnt(0)
	v_fmac_f64_e32 v[94:95], v[102:103], v[100:101]
	s_andn2_b64 exec, exec, s[10:11]
	s_cbranch_execnz .LBB14_93
; %bb.94:
	s_or_b64 exec, exec, s[10:11]
.LBB14_95:
	s_or_b64 exec, exec, s[8:9]
.LBB14_96:
	s_or_b64 exec, exec, s[6:7]
	v_mov_b32_e32 v46, 0
	ds_read_b64 v[46:47], v46 offset:56
	s_waitcnt lgkmcnt(0)
	v_mul_f64 v[46:47], v[94:95], v[46:47]
.LBB14_97:
	s_or_b64 exec, exec, s[34:35]
	v_cmp_lt_u32_e64 s[0:1], 6, v0
	ds_write_b64 v97, v[44:45]
	s_waitcnt lgkmcnt(0)
	; wave barrier
	s_waitcnt lgkmcnt(0)
	s_and_saveexec_b64 s[34:35], s[0:1]
	s_cbranch_execz .LBB14_113
; %bb.98:
	s_andn2_b64 vcc, exec, s[30:31]
	s_cbranch_vccnz .LBB14_100
; %bb.99:
	v_cmp_eq_u32_e32 vcc, 1, v0
	v_cndmask_b32_e32 v94, v33, v35, vcc
	v_cmp_eq_u32_e64 s[2:3], 2, v0
	v_cndmask_b32_e64 v94, v94, v37, s[2:3]
	v_cmp_eq_u32_e64 s[6:7], 3, v0
	v_cndmask_b32_e64 v94, v94, v39, s[6:7]
	;; [unrolled: 2-line block ×13, first 2 shown]
	v_cndmask_b32_e32 v94, v32, v34, vcc
	v_cndmask_b32_e64 v94, v94, v36, s[2:3]
	v_cndmask_b32_e64 v94, v94, v38, s[6:7]
	;; [unrolled: 1-line block ×9, first 2 shown]
	ds_read_b64 v[98:99], v97
	v_cndmask_b32_e64 v94, v94, v54, s[22:23]
	v_cndmask_b32_e64 v94, v94, v56, s[24:25]
	;; [unrolled: 1-line block ×4, first 2 shown]
	s_waitcnt lgkmcnt(0)
	v_mul_f64 v[94:95], v[94:95], v[98:99]
	s_cbranch_execz .LBB14_101
	s_branch .LBB14_102
.LBB14_100:
                                        ; implicit-def: $vgpr94_vgpr95
.LBB14_101:
	ds_read_b64 v[94:95], v97
.LBB14_102:
	s_and_saveexec_b64 s[6:7], s[4:5]
	s_cbranch_execz .LBB14_112
; %bb.103:
	v_add_u32_e32 v96, -8, v0
	v_add_u32_e32 v99, -7, v0
	v_cmp_lt_u32_e32 vcc, 6, v96
	v_mov_b32_e32 v96, 7
	s_and_saveexec_b64 s[2:3], vcc
	s_cbranch_execz .LBB14_107
; %bb.104:
	v_and_b32_e32 v96, -8, v99
	v_sub_u32_e32 v98, 0, v96
	s_mov_b64 s[4:5], 14
	s_movk_i32 s10, 0xb8
	s_mov_b64 s[8:9], 0
.LBB14_105:                             ; =>This Inner Loop Header: Depth=1
	s_lshl_b32 s11, s4, 1
	s_add_i32 s12, s11, -13
	v_mov_b32_e32 v114, s10
	s_add_i32 s13, s11, -14
	s_set_gpr_idx_on s12, gpr_idx(SRC0)
	v_mov_b32_e32 v109, v32
	s_set_gpr_idx_off
	s_add_i32 s14, s11, -11
	s_set_gpr_idx_on s13, gpr_idx(SRC0)
	v_mov_b32_e32 v108, v32
	s_set_gpr_idx_off
	ds_read2_b64 v[100:103], v114 offset1:1
	s_add_i32 s15, s11, -12
	s_set_gpr_idx_on s14, gpr_idx(SRC0)
	v_mov_b32_e32 v111, v32
	s_set_gpr_idx_off
	s_add_i32 s16, s11, -9
	s_set_gpr_idx_on s15, gpr_idx(SRC0)
	v_mov_b32_e32 v110, v32
	s_set_gpr_idx_off
	;; [unrolled: 4-line block ×4, first 2 shown]
	ds_read2_b64 v[104:107], v114 offset0:2 offset1:3
	s_add_i32 s19, s11, -8
	s_waitcnt lgkmcnt(1)
	v_fmac_f64_e32 v[94:95], v[108:109], v[100:101]
	s_set_gpr_idx_on s18, gpr_idx(SRC0)
	v_mov_b32_e32 v109, v32
	s_set_gpr_idx_off
	s_add_i32 s20, s11, -5
	v_fmac_f64_e32 v[94:95], v[110:111], v[102:103]
	s_set_gpr_idx_on s19, gpr_idx(SRC0)
	v_mov_b32_e32 v108, v32
	s_set_gpr_idx_off
	s_add_i32 s21, s11, -6
	s_set_gpr_idx_on s20, gpr_idx(SRC0)
	v_mov_b32_e32 v111, v32
	s_set_gpr_idx_off
	s_add_i32 s22, s11, -3
	;; [unrolled: 4-line block ×3, first 2 shown]
	ds_read2_b64 v[100:103], v114 offset0:4 offset1:5
	s_waitcnt lgkmcnt(1)
	v_fmac_f64_e32 v[94:95], v[112:113], v[104:105]
	s_set_gpr_idx_on s22, gpr_idx(SRC0)
	v_mov_b32_e32 v113, v32
	s_set_gpr_idx_off
	s_add_i32 s24, s11, -1
	v_fmac_f64_e32 v[94:95], v[108:109], v[106:107]
	s_set_gpr_idx_on s23, gpr_idx(SRC0)
	v_mov_b32_e32 v112, v32
	s_set_gpr_idx_off
	s_add_i32 s25, s11, -2
	s_set_gpr_idx_on s24, gpr_idx(SRC0)
	v_mov_b32_e32 v109, v32
	s_set_gpr_idx_off
	s_set_gpr_idx_on s25, gpr_idx(SRC0)
	v_mov_b32_e32 v108, v32
	s_set_gpr_idx_off
	ds_read2_b64 v[104:107], v114 offset0:6 offset1:7
	s_add_u32 s4, s4, 8
	s_waitcnt lgkmcnt(1)
	v_fmac_f64_e32 v[94:95], v[110:111], v[100:101]
	s_set_gpr_idx_on s11, gpr_idx(SRC0)
	v_mov_b32_e32 v101, v33
	s_set_gpr_idx_off
	v_add_u32_e32 v96, s4, v98
	v_fmac_f64_e32 v[94:95], v[112:113], v[102:103]
	s_set_gpr_idx_on s11, gpr_idx(SRC0)
	v_mov_b32_e32 v100, v32
	s_set_gpr_idx_off
	s_addc_u32 s5, s5, 0
	s_add_i32 s10, s10, 64
	s_add_i32 s12, s4, -7
	v_cmp_eq_u32_e32 vcc, 14, v96
	s_waitcnt lgkmcnt(0)
	v_fmac_f64_e32 v[94:95], v[108:109], v[104:105]
	v_mov_b32_e32 v96, s12
	s_or_b64 s[8:9], vcc, s[8:9]
	v_fmac_f64_e32 v[94:95], v[100:101], v[106:107]
	s_andn2_b64 exec, exec, s[8:9]
	s_cbranch_execnz .LBB14_105
; %bb.106:
	s_or_b64 exec, exec, s[8:9]
.LBB14_107:
	s_or_b64 exec, exec, s[2:3]
	v_and_b32_e32 v62, 7, v99
	v_cmp_ne_u32_e32 vcc, 0, v62
	s_and_saveexec_b64 s[8:9], vcc
	s_cbranch_execz .LBB14_111
; %bb.108:
	v_mov_b32_e32 v63, 0x80
	v_lshl_add_u32 v98, v96, 3, v63
	v_mov_b32_e32 v63, 0
	s_mov_b64 s[10:11], 0
.LBB14_109:                             ; =>This Inner Loop Header: Depth=1
	v_cmp_eq_u32_e32 vcc, 1, v96
	v_cndmask_b32_e32 v99, v33, v35, vcc
	v_add_u32_e32 v62, -1, v62
	v_cmp_eq_u32_e64 s[2:3], 2, v96
	v_cndmask_b32_e64 v99, v99, v37, s[2:3]
	v_cndmask_b32_e32 v102, v32, v34, vcc
	v_cmp_eq_u32_e32 vcc, 0, v62
	v_cmp_eq_u32_e64 s[4:5], 3, v96
	v_cndmask_b32_e64 v99, v99, v39, s[4:5]
	v_cndmask_b32_e64 v102, v102, v36, s[2:3]
	s_or_b64 s[10:11], vcc, s[10:11]
	v_cmp_eq_u32_e32 vcc, 4, v96
	v_cndmask_b32_e32 v99, v99, v41, vcc
	v_cndmask_b32_e64 v102, v102, v38, s[4:5]
	v_cmp_eq_u32_e64 s[2:3], 5, v96
	v_cndmask_b32_e64 v99, v99, v43, s[2:3]
	v_cndmask_b32_e32 v102, v102, v40, vcc
	v_cmp_eq_u32_e32 vcc, 6, v96
	v_cndmask_b32_e32 v99, v99, v45, vcc
	v_cndmask_b32_e64 v102, v102, v42, s[2:3]
	v_cmp_eq_u32_e64 s[2:3], 7, v96
	v_cndmask_b32_e64 v99, v99, v47, s[2:3]
	v_cndmask_b32_e32 v102, v102, v44, vcc
	v_cmp_eq_u32_e32 vcc, 8, v96
	v_cndmask_b32_e32 v99, v99, v49, vcc
	v_cndmask_b32_e64 v102, v102, v46, s[2:3]
	v_cmp_eq_u32_e64 s[2:3], 9, v96
	v_cndmask_b32_e64 v99, v99, v51, s[2:3]
	v_cndmask_b32_e32 v102, v102, v48, vcc
	v_cmp_eq_u32_e32 vcc, 10, v96
	v_cndmask_b32_e32 v99, v99, v53, vcc
	v_cndmask_b32_e64 v102, v102, v50, s[2:3]
	v_cmp_eq_u32_e64 s[2:3], 11, v96
	ds_read_b64 v[100:101], v98
	v_cndmask_b32_e64 v99, v99, v55, s[2:3]
	v_cndmask_b32_e32 v102, v102, v52, vcc
	v_cmp_eq_u32_e32 vcc, 12, v96
	v_cndmask_b32_e32 v99, v99, v57, vcc
	v_cndmask_b32_e64 v102, v102, v54, s[2:3]
	v_cmp_eq_u32_e64 s[2:3], 13, v96
	v_cndmask_b32_e64 v99, v99, v59, s[2:3]
	v_cmp_eq_u32_e64 s[4:5], 14, v96
	v_cndmask_b32_e32 v102, v102, v56, vcc
	v_cndmask_b32_e64 v103, v99, v61, s[4:5]
	v_cndmask_b32_e64 v99, v102, v58, s[2:3]
	v_add_co_u32_e32 v96, vcc, 1, v96
	v_cndmask_b32_e64 v102, v99, v60, s[4:5]
	v_add_u32_e32 v98, 8, v98
	v_addc_co_u32_e32 v63, vcc, 0, v63, vcc
	s_waitcnt lgkmcnt(0)
	v_fmac_f64_e32 v[94:95], v[102:103], v[100:101]
	s_andn2_b64 exec, exec, s[10:11]
	s_cbranch_execnz .LBB14_109
; %bb.110:
	s_or_b64 exec, exec, s[10:11]
.LBB14_111:
	s_or_b64 exec, exec, s[8:9]
.LBB14_112:
	s_or_b64 exec, exec, s[6:7]
	v_mov_b32_e32 v44, 0
	ds_read_b64 v[44:45], v44 offset:48
	s_waitcnt lgkmcnt(0)
	v_mul_f64 v[44:45], v[94:95], v[44:45]
.LBB14_113:
	s_or_b64 exec, exec, s[34:35]
	v_cmp_lt_u32_e64 s[2:3], 5, v0
	ds_write_b64 v97, v[42:43]
	s_waitcnt lgkmcnt(0)
	; wave barrier
	s_waitcnt lgkmcnt(0)
	s_and_saveexec_b64 s[34:35], s[2:3]
	s_cbranch_execz .LBB14_129
; %bb.114:
	s_andn2_b64 vcc, exec, s[30:31]
	s_cbranch_vccnz .LBB14_116
; %bb.115:
	v_cmp_eq_u32_e32 vcc, 1, v0
	v_cndmask_b32_e32 v94, v33, v35, vcc
	v_cmp_eq_u32_e64 s[4:5], 2, v0
	v_cndmask_b32_e64 v94, v94, v37, s[4:5]
	v_cmp_eq_u32_e64 s[6:7], 3, v0
	v_cndmask_b32_e64 v94, v94, v39, s[6:7]
	;; [unrolled: 2-line block ×13, first 2 shown]
	v_cndmask_b32_e32 v94, v32, v34, vcc
	v_cndmask_b32_e64 v94, v94, v36, s[4:5]
	v_cndmask_b32_e64 v94, v94, v38, s[6:7]
	;; [unrolled: 1-line block ×9, first 2 shown]
	ds_read_b64 v[98:99], v97
	v_cndmask_b32_e64 v94, v94, v54, s[22:23]
	v_cndmask_b32_e64 v94, v94, v56, s[24:25]
	;; [unrolled: 1-line block ×4, first 2 shown]
	s_waitcnt lgkmcnt(0)
	v_mul_f64 v[94:95], v[94:95], v[98:99]
	s_cbranch_execz .LBB14_117
	s_branch .LBB14_118
.LBB14_116:
                                        ; implicit-def: $vgpr94_vgpr95
.LBB14_117:
	ds_read_b64 v[94:95], v97
.LBB14_118:
	s_and_saveexec_b64 s[6:7], s[0:1]
	s_cbranch_execz .LBB14_128
; %bb.119:
	v_add_u32_e32 v96, -7, v0
	v_add_u32_e32 v99, -6, v0
	v_cmp_lt_u32_e32 vcc, 6, v96
	v_mov_b32_e32 v96, 6
	s_and_saveexec_b64 s[0:1], vcc
	s_cbranch_execz .LBB14_123
; %bb.120:
	v_and_b32_e32 v96, -8, v99
	v_sub_u32_e32 v98, 0, v96
	s_mov_b64 s[4:5], 13
	s_movk_i32 s10, 0xb0
	s_mov_b64 s[8:9], 0
.LBB14_121:                             ; =>This Inner Loop Header: Depth=1
	s_lshl_b32 s11, s4, 1
	s_add_i32 s12, s11, -13
	s_add_i32 s13, s11, -14
	s_set_gpr_idx_on s12, gpr_idx(SRC0)
	v_mov_b32_e32 v117, v32
	s_set_gpr_idx_off
	v_mov_b32_e32 v96, s10
	s_add_i32 s14, s11, -11
	s_set_gpr_idx_on s13, gpr_idx(SRC0)
	v_mov_b32_e32 v116, v32
	s_set_gpr_idx_off
	s_add_i32 s15, s11, -12
	ds_read_b128 v[100:103], v96
	ds_read_b128 v[104:107], v96 offset:16
	ds_read_b128 v[108:111], v96 offset:32
	;; [unrolled: 1-line block ×3, first 2 shown]
	s_set_gpr_idx_on s14, gpr_idx(SRC0)
	v_mov_b32_e32 v119, v32
	s_set_gpr_idx_off
	s_add_i32 s16, s11, -9
	s_set_gpr_idx_on s15, gpr_idx(SRC0)
	v_mov_b32_e32 v118, v32
	s_set_gpr_idx_off
	s_add_i32 s17, s11, -10
	;; [unrolled: 4-line block ×4, first 2 shown]
	s_waitcnt lgkmcnt(3)
	v_fmac_f64_e32 v[94:95], v[116:117], v[100:101]
	s_set_gpr_idx_on s18, gpr_idx(SRC0)
	v_mov_b32_e32 v101, v32
	s_set_gpr_idx_off
	s_add_i32 s20, s11, -5
	v_fmac_f64_e32 v[94:95], v[118:119], v[102:103]
	s_set_gpr_idx_on s19, gpr_idx(SRC0)
	v_mov_b32_e32 v100, v32
	s_set_gpr_idx_off
	s_add_i32 s21, s11, -6
	s_waitcnt lgkmcnt(2)
	v_fmac_f64_e32 v[94:95], v[120:121], v[104:105]
	s_set_gpr_idx_on s20, gpr_idx(SRC0)
	v_mov_b32_e32 v103, v32
	s_set_gpr_idx_off
	s_add_i32 s22, s11, -3
	v_fmac_f64_e32 v[94:95], v[100:101], v[106:107]
	s_set_gpr_idx_on s21, gpr_idx(SRC0)
	v_mov_b32_e32 v102, v32
	s_set_gpr_idx_off
	s_add_i32 s23, s11, -4
	s_waitcnt lgkmcnt(1)
	v_fmac_f64_e32 v[94:95], v[102:103], v[108:109]
	s_set_gpr_idx_on s22, gpr_idx(SRC0)
	v_mov_b32_e32 v101, v32
	s_set_gpr_idx_off
	s_add_i32 s24, s11, -1
	s_set_gpr_idx_on s23, gpr_idx(SRC0)
	v_mov_b32_e32 v100, v32
	s_set_gpr_idx_off
	s_add_i32 s25, s11, -2
	v_fmac_f64_e32 v[94:95], v[100:101], v[110:111]
	s_set_gpr_idx_on s24, gpr_idx(SRC0)
	v_mov_b32_e32 v101, v32
	s_set_gpr_idx_off
	s_add_u32 s4, s4, 8
	s_set_gpr_idx_on s25, gpr_idx(SRC0)
	v_mov_b32_e32 v100, v32
	s_set_gpr_idx_off
	v_add_u32_e32 v96, s4, v98
	s_waitcnt lgkmcnt(0)
	v_fmac_f64_e32 v[94:95], v[100:101], v[112:113]
	s_set_gpr_idx_on s11, gpr_idx(SRC0)
	v_mov_b32_e32 v101, v33
	s_set_gpr_idx_off
	s_addc_u32 s5, s5, 0
	s_add_i32 s10, s10, 64
	s_add_i32 s12, s4, -7
	v_cmp_eq_u32_e32 vcc, 13, v96
	s_set_gpr_idx_on s11, gpr_idx(SRC0)
	v_mov_b32_e32 v100, v32
	s_set_gpr_idx_off
	v_mov_b32_e32 v96, s12
	s_or_b64 s[8:9], vcc, s[8:9]
	v_fmac_f64_e32 v[94:95], v[100:101], v[114:115]
	s_andn2_b64 exec, exec, s[8:9]
	s_cbranch_execnz .LBB14_121
; %bb.122:
	s_or_b64 exec, exec, s[8:9]
.LBB14_123:
	s_or_b64 exec, exec, s[0:1]
	v_and_b32_e32 v62, 7, v99
	v_cmp_ne_u32_e32 vcc, 0, v62
	s_and_saveexec_b64 s[8:9], vcc
	s_cbranch_execz .LBB14_127
; %bb.124:
	v_mov_b32_e32 v63, 0x80
	v_lshl_add_u32 v98, v96, 3, v63
	v_mov_b32_e32 v63, 0
	s_mov_b64 s[10:11], 0
.LBB14_125:                             ; =>This Inner Loop Header: Depth=1
	v_cmp_eq_u32_e32 vcc, 1, v96
	v_cndmask_b32_e32 v99, v33, v35, vcc
	v_add_u32_e32 v62, -1, v62
	v_cmp_eq_u32_e64 s[0:1], 2, v96
	v_cndmask_b32_e64 v99, v99, v37, s[0:1]
	v_cndmask_b32_e32 v102, v32, v34, vcc
	v_cmp_eq_u32_e32 vcc, 0, v62
	v_cmp_eq_u32_e64 s[4:5], 3, v96
	v_cndmask_b32_e64 v99, v99, v39, s[4:5]
	v_cndmask_b32_e64 v102, v102, v36, s[0:1]
	s_or_b64 s[10:11], vcc, s[10:11]
	v_cmp_eq_u32_e32 vcc, 4, v96
	v_cndmask_b32_e32 v99, v99, v41, vcc
	v_cndmask_b32_e64 v102, v102, v38, s[4:5]
	v_cmp_eq_u32_e64 s[0:1], 5, v96
	v_cndmask_b32_e64 v99, v99, v43, s[0:1]
	v_cndmask_b32_e32 v102, v102, v40, vcc
	v_cmp_eq_u32_e32 vcc, 6, v96
	v_cndmask_b32_e32 v99, v99, v45, vcc
	v_cndmask_b32_e64 v102, v102, v42, s[0:1]
	v_cmp_eq_u32_e64 s[0:1], 7, v96
	v_cndmask_b32_e64 v99, v99, v47, s[0:1]
	v_cndmask_b32_e32 v102, v102, v44, vcc
	;; [unrolled: 6-line block ×3, first 2 shown]
	v_cmp_eq_u32_e32 vcc, 10, v96
	v_cndmask_b32_e32 v99, v99, v53, vcc
	v_cndmask_b32_e64 v102, v102, v50, s[0:1]
	v_cmp_eq_u32_e64 s[0:1], 11, v96
	ds_read_b64 v[100:101], v98
	v_cndmask_b32_e64 v99, v99, v55, s[0:1]
	v_cndmask_b32_e32 v102, v102, v52, vcc
	v_cmp_eq_u32_e32 vcc, 12, v96
	v_cndmask_b32_e32 v99, v99, v57, vcc
	v_cndmask_b32_e64 v102, v102, v54, s[0:1]
	v_cmp_eq_u32_e64 s[0:1], 13, v96
	v_cndmask_b32_e64 v99, v99, v59, s[0:1]
	v_cmp_eq_u32_e64 s[4:5], 14, v96
	v_cndmask_b32_e32 v102, v102, v56, vcc
	v_cndmask_b32_e64 v103, v99, v61, s[4:5]
	v_cndmask_b32_e64 v99, v102, v58, s[0:1]
	v_add_co_u32_e32 v96, vcc, 1, v96
	v_cndmask_b32_e64 v102, v99, v60, s[4:5]
	v_add_u32_e32 v98, 8, v98
	v_addc_co_u32_e32 v63, vcc, 0, v63, vcc
	s_waitcnt lgkmcnt(0)
	v_fmac_f64_e32 v[94:95], v[102:103], v[100:101]
	s_andn2_b64 exec, exec, s[10:11]
	s_cbranch_execnz .LBB14_125
; %bb.126:
	s_or_b64 exec, exec, s[10:11]
.LBB14_127:
	s_or_b64 exec, exec, s[8:9]
.LBB14_128:
	s_or_b64 exec, exec, s[6:7]
	v_mov_b32_e32 v42, 0
	ds_read_b64 v[42:43], v42 offset:40
	s_waitcnt lgkmcnt(0)
	v_mul_f64 v[42:43], v[94:95], v[42:43]
.LBB14_129:
	s_or_b64 exec, exec, s[34:35]
	v_cmp_lt_u32_e64 s[0:1], 4, v0
	ds_write_b64 v97, v[40:41]
	s_waitcnt lgkmcnt(0)
	; wave barrier
	s_waitcnt lgkmcnt(0)
	s_and_saveexec_b64 s[34:35], s[0:1]
	s_cbranch_execz .LBB14_145
; %bb.130:
	s_andn2_b64 vcc, exec, s[30:31]
	s_cbranch_vccnz .LBB14_132
; %bb.131:
	v_cmp_eq_u32_e32 vcc, 1, v0
	v_cndmask_b32_e32 v94, v33, v35, vcc
	v_cmp_eq_u32_e64 s[4:5], 2, v0
	v_cndmask_b32_e64 v94, v94, v37, s[4:5]
	v_cmp_eq_u32_e64 s[6:7], 3, v0
	v_cndmask_b32_e64 v94, v94, v39, s[6:7]
	;; [unrolled: 2-line block ×13, first 2 shown]
	v_cndmask_b32_e32 v94, v32, v34, vcc
	v_cndmask_b32_e64 v94, v94, v36, s[4:5]
	v_cndmask_b32_e64 v94, v94, v38, s[6:7]
	;; [unrolled: 1-line block ×9, first 2 shown]
	ds_read_b64 v[98:99], v97
	v_cndmask_b32_e64 v94, v94, v54, s[22:23]
	v_cndmask_b32_e64 v94, v94, v56, s[24:25]
	;; [unrolled: 1-line block ×4, first 2 shown]
	s_waitcnt lgkmcnt(0)
	v_mul_f64 v[94:95], v[94:95], v[98:99]
	s_cbranch_execz .LBB14_133
	s_branch .LBB14_134
.LBB14_132:
                                        ; implicit-def: $vgpr94_vgpr95
.LBB14_133:
	ds_read_b64 v[94:95], v97
.LBB14_134:
	s_and_saveexec_b64 s[6:7], s[2:3]
	s_cbranch_execz .LBB14_144
; %bb.135:
	v_add_u32_e32 v96, -6, v0
	v_add_u32_e32 v99, -5, v0
	v_cmp_lt_u32_e32 vcc, 6, v96
	v_mov_b32_e32 v96, 5
	s_and_saveexec_b64 s[2:3], vcc
	s_cbranch_execz .LBB14_139
; %bb.136:
	v_and_b32_e32 v96, -8, v99
	v_sub_u32_e32 v98, 0, v96
	s_mov_b64 s[4:5], 12
	s_movk_i32 s10, 0xa8
	s_mov_b64 s[8:9], 0
.LBB14_137:                             ; =>This Inner Loop Header: Depth=1
	s_lshl_b32 s11, s4, 1
	s_add_i32 s12, s11, -13
	v_mov_b32_e32 v114, s10
	s_add_i32 s13, s11, -14
	s_set_gpr_idx_on s12, gpr_idx(SRC0)
	v_mov_b32_e32 v109, v32
	s_set_gpr_idx_off
	s_add_i32 s14, s11, -11
	s_set_gpr_idx_on s13, gpr_idx(SRC0)
	v_mov_b32_e32 v108, v32
	s_set_gpr_idx_off
	ds_read2_b64 v[100:103], v114 offset1:1
	s_add_i32 s15, s11, -12
	s_set_gpr_idx_on s14, gpr_idx(SRC0)
	v_mov_b32_e32 v111, v32
	s_set_gpr_idx_off
	s_add_i32 s16, s11, -9
	s_set_gpr_idx_on s15, gpr_idx(SRC0)
	v_mov_b32_e32 v110, v32
	s_set_gpr_idx_off
	;; [unrolled: 4-line block ×4, first 2 shown]
	ds_read2_b64 v[104:107], v114 offset0:2 offset1:3
	s_add_i32 s19, s11, -8
	s_waitcnt lgkmcnt(1)
	v_fmac_f64_e32 v[94:95], v[108:109], v[100:101]
	s_set_gpr_idx_on s18, gpr_idx(SRC0)
	v_mov_b32_e32 v109, v32
	s_set_gpr_idx_off
	s_add_i32 s20, s11, -5
	v_fmac_f64_e32 v[94:95], v[110:111], v[102:103]
	s_set_gpr_idx_on s19, gpr_idx(SRC0)
	v_mov_b32_e32 v108, v32
	s_set_gpr_idx_off
	s_add_i32 s21, s11, -6
	s_set_gpr_idx_on s20, gpr_idx(SRC0)
	v_mov_b32_e32 v111, v32
	s_set_gpr_idx_off
	s_add_i32 s22, s11, -3
	;; [unrolled: 4-line block ×3, first 2 shown]
	ds_read2_b64 v[100:103], v114 offset0:4 offset1:5
	s_waitcnt lgkmcnt(1)
	v_fmac_f64_e32 v[94:95], v[112:113], v[104:105]
	s_set_gpr_idx_on s22, gpr_idx(SRC0)
	v_mov_b32_e32 v113, v32
	s_set_gpr_idx_off
	s_add_i32 s24, s11, -1
	v_fmac_f64_e32 v[94:95], v[108:109], v[106:107]
	s_set_gpr_idx_on s23, gpr_idx(SRC0)
	v_mov_b32_e32 v112, v32
	s_set_gpr_idx_off
	s_add_i32 s25, s11, -2
	s_set_gpr_idx_on s24, gpr_idx(SRC0)
	v_mov_b32_e32 v109, v32
	s_set_gpr_idx_off
	s_set_gpr_idx_on s25, gpr_idx(SRC0)
	v_mov_b32_e32 v108, v32
	s_set_gpr_idx_off
	ds_read2_b64 v[104:107], v114 offset0:6 offset1:7
	s_add_u32 s4, s4, 8
	s_waitcnt lgkmcnt(1)
	v_fmac_f64_e32 v[94:95], v[110:111], v[100:101]
	s_set_gpr_idx_on s11, gpr_idx(SRC0)
	v_mov_b32_e32 v101, v33
	s_set_gpr_idx_off
	v_add_u32_e32 v96, s4, v98
	v_fmac_f64_e32 v[94:95], v[112:113], v[102:103]
	s_set_gpr_idx_on s11, gpr_idx(SRC0)
	v_mov_b32_e32 v100, v32
	s_set_gpr_idx_off
	s_addc_u32 s5, s5, 0
	s_add_i32 s10, s10, 64
	s_add_i32 s12, s4, -7
	v_cmp_eq_u32_e32 vcc, 12, v96
	s_waitcnt lgkmcnt(0)
	v_fmac_f64_e32 v[94:95], v[108:109], v[104:105]
	v_mov_b32_e32 v96, s12
	s_or_b64 s[8:9], vcc, s[8:9]
	v_fmac_f64_e32 v[94:95], v[100:101], v[106:107]
	s_andn2_b64 exec, exec, s[8:9]
	s_cbranch_execnz .LBB14_137
; %bb.138:
	s_or_b64 exec, exec, s[8:9]
.LBB14_139:
	s_or_b64 exec, exec, s[2:3]
	v_and_b32_e32 v62, 7, v99
	v_cmp_ne_u32_e32 vcc, 0, v62
	s_and_saveexec_b64 s[8:9], vcc
	s_cbranch_execz .LBB14_143
; %bb.140:
	v_mov_b32_e32 v63, 0x80
	v_lshl_add_u32 v98, v96, 3, v63
	v_mov_b32_e32 v63, 0
	s_mov_b64 s[10:11], 0
.LBB14_141:                             ; =>This Inner Loop Header: Depth=1
	v_cmp_eq_u32_e32 vcc, 1, v96
	v_cndmask_b32_e32 v99, v33, v35, vcc
	v_add_u32_e32 v62, -1, v62
	v_cmp_eq_u32_e64 s[2:3], 2, v96
	v_cndmask_b32_e64 v99, v99, v37, s[2:3]
	v_cndmask_b32_e32 v102, v32, v34, vcc
	v_cmp_eq_u32_e32 vcc, 0, v62
	v_cmp_eq_u32_e64 s[4:5], 3, v96
	v_cndmask_b32_e64 v99, v99, v39, s[4:5]
	v_cndmask_b32_e64 v102, v102, v36, s[2:3]
	s_or_b64 s[10:11], vcc, s[10:11]
	v_cmp_eq_u32_e32 vcc, 4, v96
	v_cndmask_b32_e32 v99, v99, v41, vcc
	v_cndmask_b32_e64 v102, v102, v38, s[4:5]
	v_cmp_eq_u32_e64 s[2:3], 5, v96
	v_cndmask_b32_e64 v99, v99, v43, s[2:3]
	v_cndmask_b32_e32 v102, v102, v40, vcc
	v_cmp_eq_u32_e32 vcc, 6, v96
	v_cndmask_b32_e32 v99, v99, v45, vcc
	v_cndmask_b32_e64 v102, v102, v42, s[2:3]
	v_cmp_eq_u32_e64 s[2:3], 7, v96
	v_cndmask_b32_e64 v99, v99, v47, s[2:3]
	v_cndmask_b32_e32 v102, v102, v44, vcc
	;; [unrolled: 6-line block ×3, first 2 shown]
	v_cmp_eq_u32_e32 vcc, 10, v96
	v_cndmask_b32_e32 v99, v99, v53, vcc
	v_cndmask_b32_e64 v102, v102, v50, s[2:3]
	v_cmp_eq_u32_e64 s[2:3], 11, v96
	ds_read_b64 v[100:101], v98
	v_cndmask_b32_e64 v99, v99, v55, s[2:3]
	v_cndmask_b32_e32 v102, v102, v52, vcc
	v_cmp_eq_u32_e32 vcc, 12, v96
	v_cndmask_b32_e32 v99, v99, v57, vcc
	v_cndmask_b32_e64 v102, v102, v54, s[2:3]
	v_cmp_eq_u32_e64 s[2:3], 13, v96
	v_cndmask_b32_e64 v99, v99, v59, s[2:3]
	v_cmp_eq_u32_e64 s[4:5], 14, v96
	v_cndmask_b32_e32 v102, v102, v56, vcc
	v_cndmask_b32_e64 v103, v99, v61, s[4:5]
	v_cndmask_b32_e64 v99, v102, v58, s[2:3]
	v_add_co_u32_e32 v96, vcc, 1, v96
	v_cndmask_b32_e64 v102, v99, v60, s[4:5]
	v_add_u32_e32 v98, 8, v98
	v_addc_co_u32_e32 v63, vcc, 0, v63, vcc
	s_waitcnt lgkmcnt(0)
	v_fmac_f64_e32 v[94:95], v[102:103], v[100:101]
	s_andn2_b64 exec, exec, s[10:11]
	s_cbranch_execnz .LBB14_141
; %bb.142:
	s_or_b64 exec, exec, s[10:11]
.LBB14_143:
	s_or_b64 exec, exec, s[8:9]
.LBB14_144:
	s_or_b64 exec, exec, s[6:7]
	v_mov_b32_e32 v40, 0
	ds_read_b64 v[40:41], v40 offset:32
	s_waitcnt lgkmcnt(0)
	v_mul_f64 v[40:41], v[94:95], v[40:41]
.LBB14_145:
	s_or_b64 exec, exec, s[34:35]
	v_cmp_lt_u32_e64 s[2:3], 3, v0
	ds_write_b64 v97, v[38:39]
	s_waitcnt lgkmcnt(0)
	; wave barrier
	s_waitcnt lgkmcnt(0)
	s_and_saveexec_b64 s[34:35], s[2:3]
	s_cbranch_execz .LBB14_161
; %bb.146:
	s_andn2_b64 vcc, exec, s[30:31]
	s_cbranch_vccnz .LBB14_148
; %bb.147:
	v_cmp_eq_u32_e32 vcc, 1, v0
	v_cndmask_b32_e32 v94, v33, v35, vcc
	v_cmp_eq_u32_e64 s[4:5], 2, v0
	v_cndmask_b32_e64 v94, v94, v37, s[4:5]
	v_cmp_eq_u32_e64 s[6:7], 3, v0
	v_cndmask_b32_e64 v94, v94, v39, s[6:7]
	;; [unrolled: 2-line block ×13, first 2 shown]
	v_cndmask_b32_e32 v94, v32, v34, vcc
	v_cndmask_b32_e64 v94, v94, v36, s[4:5]
	v_cndmask_b32_e64 v94, v94, v38, s[6:7]
	;; [unrolled: 1-line block ×9, first 2 shown]
	ds_read_b64 v[98:99], v97
	v_cndmask_b32_e64 v94, v94, v54, s[22:23]
	v_cndmask_b32_e64 v94, v94, v56, s[24:25]
	;; [unrolled: 1-line block ×4, first 2 shown]
	s_waitcnt lgkmcnt(0)
	v_mul_f64 v[94:95], v[94:95], v[98:99]
	s_cbranch_execz .LBB14_149
	s_branch .LBB14_150
.LBB14_148:
                                        ; implicit-def: $vgpr94_vgpr95
.LBB14_149:
	ds_read_b64 v[94:95], v97
.LBB14_150:
	s_and_saveexec_b64 s[6:7], s[0:1]
	s_cbranch_execz .LBB14_160
; %bb.151:
	v_add_u32_e32 v96, -5, v0
	v_add_u32_e32 v99, -4, v0
	v_cmp_lt_u32_e32 vcc, 6, v96
	v_mov_b32_e32 v96, 4
	s_and_saveexec_b64 s[0:1], vcc
	s_cbranch_execz .LBB14_155
; %bb.152:
	v_and_b32_e32 v96, -8, v99
	v_sub_u32_e32 v98, 0, v96
	s_mov_b64 s[4:5], 5
	s_movk_i32 s10, 0xa0
	s_mov_b64 s[8:9], 0
.LBB14_153:                             ; =>This Inner Loop Header: Depth=1
	s_lshl_b32 s11, s4, 1
	s_add_i32 s12, s11, -1
	s_add_i32 s13, s11, -2
	s_set_gpr_idx_on s12, gpr_idx(SRC0)
	v_mov_b32_e32 v117, v32
	s_set_gpr_idx_off
	v_mov_b32_e32 v96, s10
	s_set_gpr_idx_on s13, gpr_idx(SRC0)
	v_mov_b32_e32 v116, v32
	s_set_gpr_idx_off
	ds_read_b128 v[100:103], v96
	ds_read_b128 v[104:107], v96 offset:16
	ds_read_b128 v[108:111], v96 offset:32
	;; [unrolled: 1-line block ×3, first 2 shown]
	s_set_gpr_idx_on s11, gpr_idx(SRC0)
	v_mov_b32_e32 v119, v33
	s_add_i32 s14, s11, 3
	v_mov_b32_e32 v118, v32
	s_set_gpr_idx_off
	s_add_i32 s15, s11, 2
	s_set_gpr_idx_on s14, gpr_idx(SRC0)
	v_mov_b32_e32 v121, v32
	s_set_gpr_idx_off
	s_add_i32 s16, s11, 5
	s_set_gpr_idx_on s15, gpr_idx(SRC0)
	v_mov_b32_e32 v120, v32
	s_set_gpr_idx_off
	s_add_i32 s17, s11, 4
	s_waitcnt lgkmcnt(3)
	v_fmac_f64_e32 v[94:95], v[116:117], v[100:101]
	s_set_gpr_idx_on s16, gpr_idx(SRC0)
	v_mov_b32_e32 v101, v32
	s_set_gpr_idx_off
	s_add_i32 s18, s11, 7
	v_fmac_f64_e32 v[94:95], v[118:119], v[102:103]
	s_set_gpr_idx_on s17, gpr_idx(SRC0)
	v_mov_b32_e32 v100, v32
	s_set_gpr_idx_off
	s_add_i32 s19, s11, 6
	s_waitcnt lgkmcnt(2)
	v_fmac_f64_e32 v[94:95], v[120:121], v[104:105]
	s_set_gpr_idx_on s18, gpr_idx(SRC0)
	v_mov_b32_e32 v103, v32
	s_set_gpr_idx_off
	s_add_i32 s20, s11, 9
	v_fmac_f64_e32 v[94:95], v[100:101], v[106:107]
	s_set_gpr_idx_on s19, gpr_idx(SRC0)
	v_mov_b32_e32 v102, v32
	s_set_gpr_idx_off
	s_add_i32 s21, s11, 8
	s_waitcnt lgkmcnt(1)
	v_fmac_f64_e32 v[94:95], v[102:103], v[108:109]
	s_set_gpr_idx_on s20, gpr_idx(SRC0)
	v_mov_b32_e32 v101, v32
	s_set_gpr_idx_off
	s_add_i32 s22, s11, 11
	s_set_gpr_idx_on s21, gpr_idx(SRC0)
	v_mov_b32_e32 v100, v32
	s_set_gpr_idx_off
	s_add_i32 s23, s11, 10
	s_add_i32 s24, s11, 13
	;; [unrolled: 1-line block ×3, first 2 shown]
	v_fmac_f64_e32 v[94:95], v[100:101], v[110:111]
	s_set_gpr_idx_on s22, gpr_idx(SRC0)
	v_mov_b32_e32 v101, v32
	s_set_gpr_idx_off
	s_add_u32 s4, s4, 8
	s_set_gpr_idx_on s23, gpr_idx(SRC0)
	v_mov_b32_e32 v100, v32
	s_set_gpr_idx_off
	v_add_u32_e32 v96, s4, v98
	s_waitcnt lgkmcnt(0)
	v_fmac_f64_e32 v[94:95], v[100:101], v[112:113]
	s_set_gpr_idx_on s24, gpr_idx(SRC0)
	v_mov_b32_e32 v101, v32
	s_set_gpr_idx_off
	s_addc_u32 s5, s5, 0
	s_add_i32 s10, s10, 64
	s_add_i32 s12, s4, -1
	v_cmp_eq_u32_e32 vcc, 5, v96
	s_set_gpr_idx_on s25, gpr_idx(SRC0)
	v_mov_b32_e32 v100, v32
	s_set_gpr_idx_off
	v_mov_b32_e32 v96, s12
	s_or_b64 s[8:9], vcc, s[8:9]
	v_fmac_f64_e32 v[94:95], v[100:101], v[114:115]
	s_andn2_b64 exec, exec, s[8:9]
	s_cbranch_execnz .LBB14_153
; %bb.154:
	s_or_b64 exec, exec, s[8:9]
.LBB14_155:
	s_or_b64 exec, exec, s[0:1]
	v_and_b32_e32 v62, 7, v99
	v_cmp_ne_u32_e32 vcc, 0, v62
	s_and_saveexec_b64 s[8:9], vcc
	s_cbranch_execz .LBB14_159
; %bb.156:
	v_mov_b32_e32 v63, 0x80
	v_lshl_add_u32 v98, v96, 3, v63
	v_mov_b32_e32 v63, 0
	s_mov_b64 s[10:11], 0
.LBB14_157:                             ; =>This Inner Loop Header: Depth=1
	v_cmp_eq_u32_e32 vcc, 1, v96
	v_cndmask_b32_e32 v99, v33, v35, vcc
	v_add_u32_e32 v62, -1, v62
	v_cmp_eq_u32_e64 s[0:1], 2, v96
	v_cndmask_b32_e64 v99, v99, v37, s[0:1]
	v_cndmask_b32_e32 v102, v32, v34, vcc
	v_cmp_eq_u32_e32 vcc, 0, v62
	v_cmp_eq_u32_e64 s[4:5], 3, v96
	v_cndmask_b32_e64 v99, v99, v39, s[4:5]
	v_cndmask_b32_e64 v102, v102, v36, s[0:1]
	s_or_b64 s[10:11], vcc, s[10:11]
	v_cmp_eq_u32_e32 vcc, 4, v96
	v_cndmask_b32_e32 v99, v99, v41, vcc
	v_cndmask_b32_e64 v102, v102, v38, s[4:5]
	v_cmp_eq_u32_e64 s[0:1], 5, v96
	v_cndmask_b32_e64 v99, v99, v43, s[0:1]
	v_cndmask_b32_e32 v102, v102, v40, vcc
	v_cmp_eq_u32_e32 vcc, 6, v96
	v_cndmask_b32_e32 v99, v99, v45, vcc
	v_cndmask_b32_e64 v102, v102, v42, s[0:1]
	v_cmp_eq_u32_e64 s[0:1], 7, v96
	v_cndmask_b32_e64 v99, v99, v47, s[0:1]
	v_cndmask_b32_e32 v102, v102, v44, vcc
	;; [unrolled: 6-line block ×3, first 2 shown]
	v_cmp_eq_u32_e32 vcc, 10, v96
	v_cndmask_b32_e32 v99, v99, v53, vcc
	v_cndmask_b32_e64 v102, v102, v50, s[0:1]
	v_cmp_eq_u32_e64 s[0:1], 11, v96
	ds_read_b64 v[100:101], v98
	v_cndmask_b32_e64 v99, v99, v55, s[0:1]
	v_cndmask_b32_e32 v102, v102, v52, vcc
	v_cmp_eq_u32_e32 vcc, 12, v96
	v_cndmask_b32_e32 v99, v99, v57, vcc
	v_cndmask_b32_e64 v102, v102, v54, s[0:1]
	v_cmp_eq_u32_e64 s[0:1], 13, v96
	v_cndmask_b32_e64 v99, v99, v59, s[0:1]
	v_cmp_eq_u32_e64 s[4:5], 14, v96
	v_cndmask_b32_e32 v102, v102, v56, vcc
	v_cndmask_b32_e64 v103, v99, v61, s[4:5]
	v_cndmask_b32_e64 v99, v102, v58, s[0:1]
	v_add_co_u32_e32 v96, vcc, 1, v96
	v_cndmask_b32_e64 v102, v99, v60, s[4:5]
	v_add_u32_e32 v98, 8, v98
	v_addc_co_u32_e32 v63, vcc, 0, v63, vcc
	s_waitcnt lgkmcnt(0)
	v_fmac_f64_e32 v[94:95], v[102:103], v[100:101]
	s_andn2_b64 exec, exec, s[10:11]
	s_cbranch_execnz .LBB14_157
; %bb.158:
	s_or_b64 exec, exec, s[10:11]
.LBB14_159:
	s_or_b64 exec, exec, s[8:9]
.LBB14_160:
	s_or_b64 exec, exec, s[6:7]
	v_mov_b32_e32 v38, 0
	ds_read_b64 v[38:39], v38 offset:24
	s_waitcnt lgkmcnt(0)
	v_mul_f64 v[38:39], v[94:95], v[38:39]
.LBB14_161:
	s_or_b64 exec, exec, s[34:35]
	v_cmp_lt_u32_e64 s[0:1], 2, v0
	ds_write_b64 v97, v[36:37]
	s_waitcnt lgkmcnt(0)
	; wave barrier
	s_waitcnt lgkmcnt(0)
	s_and_saveexec_b64 s[34:35], s[0:1]
	s_cbranch_execz .LBB14_177
; %bb.162:
	s_andn2_b64 vcc, exec, s[30:31]
	s_cbranch_vccnz .LBB14_164
; %bb.163:
	v_cmp_eq_u32_e32 vcc, 1, v0
	v_cndmask_b32_e32 v94, v33, v35, vcc
	v_cmp_eq_u32_e64 s[4:5], 2, v0
	v_cndmask_b32_e64 v94, v94, v37, s[4:5]
	v_cmp_eq_u32_e64 s[6:7], 3, v0
	v_cndmask_b32_e64 v94, v94, v39, s[6:7]
	v_cmp_eq_u32_e64 s[8:9], 4, v0
	v_cndmask_b32_e64 v94, v94, v41, s[8:9]
	v_cmp_eq_u32_e64 s[10:11], 5, v0
	v_cndmask_b32_e64 v94, v94, v43, s[10:11]
	v_cmp_eq_u32_e64 s[12:13], 6, v0
	v_cndmask_b32_e64 v94, v94, v45, s[12:13]
	v_cmp_eq_u32_e64 s[14:15], 7, v0
	v_cndmask_b32_e64 v94, v94, v47, s[14:15]
	v_cmp_eq_u32_e64 s[16:17], 8, v0
	v_cndmask_b32_e64 v94, v94, v49, s[16:17]
	v_cmp_eq_u32_e64 s[18:19], 9, v0
	v_cndmask_b32_e64 v94, v94, v51, s[18:19]
	v_cmp_eq_u32_e64 s[20:21], 10, v0
	v_cndmask_b32_e64 v94, v94, v53, s[20:21]
	v_cmp_eq_u32_e64 s[22:23], 11, v0
	v_cndmask_b32_e64 v94, v94, v55, s[22:23]
	v_cmp_eq_u32_e64 s[24:25], 12, v0
	v_cndmask_b32_e64 v94, v94, v57, s[24:25]
	v_cmp_eq_u32_e64 s[26:27], 13, v0
	v_cndmask_b32_e64 v94, v94, v59, s[26:27]
	v_cmp_eq_u32_e64 s[28:29], 14, v0
	v_cndmask_b32_e64 v95, v94, v61, s[28:29]
	v_cndmask_b32_e32 v94, v32, v34, vcc
	v_cndmask_b32_e64 v94, v94, v36, s[4:5]
	v_cndmask_b32_e64 v94, v94, v38, s[6:7]
	v_cndmask_b32_e64 v94, v94, v40, s[8:9]
	v_cndmask_b32_e64 v94, v94, v42, s[10:11]
	v_cndmask_b32_e64 v94, v94, v44, s[12:13]
	v_cndmask_b32_e64 v94, v94, v46, s[14:15]
	v_cndmask_b32_e64 v94, v94, v48, s[16:17]
	v_cndmask_b32_e64 v94, v94, v50, s[18:19]
	v_cndmask_b32_e64 v94, v94, v52, s[20:21]
	ds_read_b64 v[98:99], v97
	v_cndmask_b32_e64 v94, v94, v54, s[22:23]
	v_cndmask_b32_e64 v94, v94, v56, s[24:25]
	;; [unrolled: 1-line block ×4, first 2 shown]
	s_waitcnt lgkmcnt(0)
	v_mul_f64 v[94:95], v[94:95], v[98:99]
	s_cbranch_execz .LBB14_165
	s_branch .LBB14_166
.LBB14_164:
                                        ; implicit-def: $vgpr94_vgpr95
.LBB14_165:
	ds_read_b64 v[94:95], v97
.LBB14_166:
	s_and_saveexec_b64 s[6:7], s[2:3]
	s_cbranch_execz .LBB14_176
; %bb.167:
	v_add_u32_e32 v96, -4, v0
	v_add_u32_e32 v99, -3, v0
	v_cmp_lt_u32_e32 vcc, 6, v96
	v_mov_b32_e32 v96, 3
	s_and_saveexec_b64 s[2:3], vcc
	s_cbranch_execz .LBB14_171
; %bb.168:
	v_and_b32_e32 v96, -8, v99
	v_sub_u32_e32 v98, 0, v96
	s_mov_b64 s[4:5], 10
	s_movk_i32 s10, 0x98
	s_mov_b64 s[8:9], 0
.LBB14_169:                             ; =>This Inner Loop Header: Depth=1
	s_lshl_b32 s11, s4, 1
	s_add_i32 s12, s11, -13
	v_mov_b32_e32 v114, s10
	s_add_i32 s13, s11, -14
	s_set_gpr_idx_on s12, gpr_idx(SRC0)
	v_mov_b32_e32 v109, v32
	s_set_gpr_idx_off
	s_add_i32 s14, s11, -11
	s_set_gpr_idx_on s13, gpr_idx(SRC0)
	v_mov_b32_e32 v108, v32
	s_set_gpr_idx_off
	ds_read2_b64 v[100:103], v114 offset1:1
	s_add_i32 s15, s11, -12
	s_set_gpr_idx_on s14, gpr_idx(SRC0)
	v_mov_b32_e32 v111, v32
	s_set_gpr_idx_off
	s_add_i32 s16, s11, -9
	s_set_gpr_idx_on s15, gpr_idx(SRC0)
	v_mov_b32_e32 v110, v32
	s_set_gpr_idx_off
	;; [unrolled: 4-line block ×4, first 2 shown]
	ds_read2_b64 v[104:107], v114 offset0:2 offset1:3
	s_add_i32 s19, s11, -8
	s_waitcnt lgkmcnt(1)
	v_fmac_f64_e32 v[94:95], v[108:109], v[100:101]
	s_set_gpr_idx_on s18, gpr_idx(SRC0)
	v_mov_b32_e32 v109, v32
	s_set_gpr_idx_off
	s_add_i32 s20, s11, -5
	v_fmac_f64_e32 v[94:95], v[110:111], v[102:103]
	s_set_gpr_idx_on s19, gpr_idx(SRC0)
	v_mov_b32_e32 v108, v32
	s_set_gpr_idx_off
	s_add_i32 s21, s11, -6
	s_set_gpr_idx_on s20, gpr_idx(SRC0)
	v_mov_b32_e32 v111, v32
	s_set_gpr_idx_off
	s_add_i32 s22, s11, -3
	;; [unrolled: 4-line block ×3, first 2 shown]
	ds_read2_b64 v[100:103], v114 offset0:4 offset1:5
	s_waitcnt lgkmcnt(1)
	v_fmac_f64_e32 v[94:95], v[112:113], v[104:105]
	s_set_gpr_idx_on s22, gpr_idx(SRC0)
	v_mov_b32_e32 v113, v32
	s_set_gpr_idx_off
	s_add_i32 s24, s11, -1
	v_fmac_f64_e32 v[94:95], v[108:109], v[106:107]
	s_set_gpr_idx_on s23, gpr_idx(SRC0)
	v_mov_b32_e32 v112, v32
	s_set_gpr_idx_off
	s_add_i32 s25, s11, -2
	s_set_gpr_idx_on s24, gpr_idx(SRC0)
	v_mov_b32_e32 v109, v32
	s_set_gpr_idx_off
	s_set_gpr_idx_on s25, gpr_idx(SRC0)
	v_mov_b32_e32 v108, v32
	s_set_gpr_idx_off
	ds_read2_b64 v[104:107], v114 offset0:6 offset1:7
	s_add_u32 s4, s4, 8
	s_waitcnt lgkmcnt(1)
	v_fmac_f64_e32 v[94:95], v[110:111], v[100:101]
	s_set_gpr_idx_on s11, gpr_idx(SRC0)
	v_mov_b32_e32 v101, v33
	s_set_gpr_idx_off
	v_add_u32_e32 v96, s4, v98
	v_fmac_f64_e32 v[94:95], v[112:113], v[102:103]
	s_set_gpr_idx_on s11, gpr_idx(SRC0)
	v_mov_b32_e32 v100, v32
	s_set_gpr_idx_off
	s_addc_u32 s5, s5, 0
	s_add_i32 s10, s10, 64
	s_add_i32 s12, s4, -7
	v_cmp_eq_u32_e32 vcc, 10, v96
	s_waitcnt lgkmcnt(0)
	v_fmac_f64_e32 v[94:95], v[108:109], v[104:105]
	v_mov_b32_e32 v96, s12
	s_or_b64 s[8:9], vcc, s[8:9]
	v_fmac_f64_e32 v[94:95], v[100:101], v[106:107]
	s_andn2_b64 exec, exec, s[8:9]
	s_cbranch_execnz .LBB14_169
; %bb.170:
	s_or_b64 exec, exec, s[8:9]
.LBB14_171:
	s_or_b64 exec, exec, s[2:3]
	v_and_b32_e32 v62, 7, v99
	v_cmp_ne_u32_e32 vcc, 0, v62
	s_and_saveexec_b64 s[8:9], vcc
	s_cbranch_execz .LBB14_175
; %bb.172:
	v_mov_b32_e32 v63, 0x80
	v_lshl_add_u32 v98, v96, 3, v63
	v_mov_b32_e32 v63, 0
	s_mov_b64 s[10:11], 0
.LBB14_173:                             ; =>This Inner Loop Header: Depth=1
	v_cmp_eq_u32_e32 vcc, 1, v96
	v_cndmask_b32_e32 v99, v33, v35, vcc
	v_add_u32_e32 v62, -1, v62
	v_cmp_eq_u32_e64 s[2:3], 2, v96
	v_cndmask_b32_e64 v99, v99, v37, s[2:3]
	v_cndmask_b32_e32 v102, v32, v34, vcc
	v_cmp_eq_u32_e32 vcc, 0, v62
	v_cmp_eq_u32_e64 s[4:5], 3, v96
	v_cndmask_b32_e64 v99, v99, v39, s[4:5]
	v_cndmask_b32_e64 v102, v102, v36, s[2:3]
	s_or_b64 s[10:11], vcc, s[10:11]
	v_cmp_eq_u32_e32 vcc, 4, v96
	v_cndmask_b32_e32 v99, v99, v41, vcc
	v_cndmask_b32_e64 v102, v102, v38, s[4:5]
	v_cmp_eq_u32_e64 s[2:3], 5, v96
	v_cndmask_b32_e64 v99, v99, v43, s[2:3]
	v_cndmask_b32_e32 v102, v102, v40, vcc
	v_cmp_eq_u32_e32 vcc, 6, v96
	v_cndmask_b32_e32 v99, v99, v45, vcc
	v_cndmask_b32_e64 v102, v102, v42, s[2:3]
	v_cmp_eq_u32_e64 s[2:3], 7, v96
	v_cndmask_b32_e64 v99, v99, v47, s[2:3]
	v_cndmask_b32_e32 v102, v102, v44, vcc
	;; [unrolled: 6-line block ×3, first 2 shown]
	v_cmp_eq_u32_e32 vcc, 10, v96
	v_cndmask_b32_e32 v99, v99, v53, vcc
	v_cndmask_b32_e64 v102, v102, v50, s[2:3]
	v_cmp_eq_u32_e64 s[2:3], 11, v96
	ds_read_b64 v[100:101], v98
	v_cndmask_b32_e64 v99, v99, v55, s[2:3]
	v_cndmask_b32_e32 v102, v102, v52, vcc
	v_cmp_eq_u32_e32 vcc, 12, v96
	v_cndmask_b32_e32 v99, v99, v57, vcc
	v_cndmask_b32_e64 v102, v102, v54, s[2:3]
	v_cmp_eq_u32_e64 s[2:3], 13, v96
	v_cndmask_b32_e64 v99, v99, v59, s[2:3]
	v_cmp_eq_u32_e64 s[4:5], 14, v96
	v_cndmask_b32_e32 v102, v102, v56, vcc
	v_cndmask_b32_e64 v103, v99, v61, s[4:5]
	v_cndmask_b32_e64 v99, v102, v58, s[2:3]
	v_add_co_u32_e32 v96, vcc, 1, v96
	v_cndmask_b32_e64 v102, v99, v60, s[4:5]
	v_add_u32_e32 v98, 8, v98
	v_addc_co_u32_e32 v63, vcc, 0, v63, vcc
	s_waitcnt lgkmcnt(0)
	v_fmac_f64_e32 v[94:95], v[102:103], v[100:101]
	s_andn2_b64 exec, exec, s[10:11]
	s_cbranch_execnz .LBB14_173
; %bb.174:
	s_or_b64 exec, exec, s[10:11]
.LBB14_175:
	s_or_b64 exec, exec, s[8:9]
.LBB14_176:
	s_or_b64 exec, exec, s[6:7]
	v_mov_b32_e32 v36, 0
	ds_read_b64 v[36:37], v36 offset:16
	s_waitcnt lgkmcnt(0)
	v_mul_f64 v[36:37], v[94:95], v[36:37]
.LBB14_177:
	s_or_b64 exec, exec, s[34:35]
	v_cmp_lt_u32_e64 s[2:3], 1, v0
	ds_write_b64 v97, v[34:35]
	s_waitcnt lgkmcnt(0)
	; wave barrier
	s_waitcnt lgkmcnt(0)
	s_and_saveexec_b64 s[34:35], s[2:3]
	s_cbranch_execz .LBB14_193
; %bb.178:
	s_andn2_b64 vcc, exec, s[30:31]
	s_cbranch_vccnz .LBB14_180
; %bb.179:
	v_cmp_eq_u32_e32 vcc, 1, v0
	v_cndmask_b32_e32 v94, v33, v35, vcc
	v_cmp_eq_u32_e64 s[4:5], 2, v0
	v_cndmask_b32_e64 v94, v94, v37, s[4:5]
	v_cmp_eq_u32_e64 s[6:7], 3, v0
	v_cndmask_b32_e64 v94, v94, v39, s[6:7]
	;; [unrolled: 2-line block ×13, first 2 shown]
	v_cndmask_b32_e32 v94, v32, v34, vcc
	v_cndmask_b32_e64 v94, v94, v36, s[4:5]
	v_cndmask_b32_e64 v94, v94, v38, s[6:7]
	;; [unrolled: 1-line block ×9, first 2 shown]
	ds_read_b64 v[98:99], v97
	v_cndmask_b32_e64 v94, v94, v54, s[22:23]
	v_cndmask_b32_e64 v94, v94, v56, s[24:25]
	;; [unrolled: 1-line block ×4, first 2 shown]
	s_waitcnt lgkmcnt(0)
	v_mul_f64 v[94:95], v[94:95], v[98:99]
	s_cbranch_execz .LBB14_181
	s_branch .LBB14_182
.LBB14_180:
                                        ; implicit-def: $vgpr94_vgpr95
.LBB14_181:
	ds_read_b64 v[94:95], v97
.LBB14_182:
	s_and_saveexec_b64 s[6:7], s[0:1]
	s_cbranch_execz .LBB14_192
; %bb.183:
	v_add_u32_e32 v96, -3, v0
	v_add_u32_e32 v99, -2, v0
	v_cmp_lt_u32_e32 vcc, 6, v96
	v_mov_b32_e32 v96, 2
	s_and_saveexec_b64 s[0:1], vcc
	s_cbranch_execz .LBB14_187
; %bb.184:
	v_and_b32_e32 v96, -8, v99
	v_sub_u32_e32 v98, 0, v96
	s_mov_b64 s[4:5], 9
	s_movk_i32 s10, 0x90
	s_mov_b64 s[8:9], 0
.LBB14_185:                             ; =>This Inner Loop Header: Depth=1
	s_lshl_b32 s11, s4, 1
	s_add_i32 s12, s11, -13
	s_add_i32 s13, s11, -14
	s_set_gpr_idx_on s12, gpr_idx(SRC0)
	v_mov_b32_e32 v117, v32
	s_set_gpr_idx_off
	v_mov_b32_e32 v96, s10
	s_add_i32 s14, s11, -11
	s_set_gpr_idx_on s13, gpr_idx(SRC0)
	v_mov_b32_e32 v116, v32
	s_set_gpr_idx_off
	s_add_i32 s15, s11, -12
	ds_read_b128 v[100:103], v96
	ds_read_b128 v[104:107], v96 offset:16
	ds_read_b128 v[108:111], v96 offset:32
	;; [unrolled: 1-line block ×3, first 2 shown]
	s_set_gpr_idx_on s14, gpr_idx(SRC0)
	v_mov_b32_e32 v119, v32
	s_set_gpr_idx_off
	s_add_i32 s16, s11, -9
	s_set_gpr_idx_on s15, gpr_idx(SRC0)
	v_mov_b32_e32 v118, v32
	s_set_gpr_idx_off
	s_add_i32 s17, s11, -10
	;; [unrolled: 4-line block ×4, first 2 shown]
	s_waitcnt lgkmcnt(3)
	v_fmac_f64_e32 v[94:95], v[116:117], v[100:101]
	s_set_gpr_idx_on s18, gpr_idx(SRC0)
	v_mov_b32_e32 v101, v32
	s_set_gpr_idx_off
	s_add_i32 s20, s11, -5
	v_fmac_f64_e32 v[94:95], v[118:119], v[102:103]
	s_set_gpr_idx_on s19, gpr_idx(SRC0)
	v_mov_b32_e32 v100, v32
	s_set_gpr_idx_off
	s_add_i32 s21, s11, -6
	s_waitcnt lgkmcnt(2)
	v_fmac_f64_e32 v[94:95], v[120:121], v[104:105]
	s_set_gpr_idx_on s20, gpr_idx(SRC0)
	v_mov_b32_e32 v103, v32
	s_set_gpr_idx_off
	s_add_i32 s22, s11, -3
	v_fmac_f64_e32 v[94:95], v[100:101], v[106:107]
	s_set_gpr_idx_on s21, gpr_idx(SRC0)
	v_mov_b32_e32 v102, v32
	s_set_gpr_idx_off
	s_add_i32 s23, s11, -4
	s_waitcnt lgkmcnt(1)
	v_fmac_f64_e32 v[94:95], v[102:103], v[108:109]
	s_set_gpr_idx_on s22, gpr_idx(SRC0)
	v_mov_b32_e32 v101, v32
	s_set_gpr_idx_off
	s_add_i32 s24, s11, -1
	s_set_gpr_idx_on s23, gpr_idx(SRC0)
	v_mov_b32_e32 v100, v32
	s_set_gpr_idx_off
	s_add_i32 s25, s11, -2
	v_fmac_f64_e32 v[94:95], v[100:101], v[110:111]
	s_set_gpr_idx_on s24, gpr_idx(SRC0)
	v_mov_b32_e32 v101, v32
	s_set_gpr_idx_off
	s_add_u32 s4, s4, 8
	s_set_gpr_idx_on s25, gpr_idx(SRC0)
	v_mov_b32_e32 v100, v32
	s_set_gpr_idx_off
	v_add_u32_e32 v96, s4, v98
	s_waitcnt lgkmcnt(0)
	v_fmac_f64_e32 v[94:95], v[100:101], v[112:113]
	s_set_gpr_idx_on s11, gpr_idx(SRC0)
	v_mov_b32_e32 v101, v33
	s_set_gpr_idx_off
	s_addc_u32 s5, s5, 0
	s_add_i32 s10, s10, 64
	s_add_i32 s12, s4, -7
	v_cmp_eq_u32_e32 vcc, 9, v96
	s_set_gpr_idx_on s11, gpr_idx(SRC0)
	v_mov_b32_e32 v100, v32
	s_set_gpr_idx_off
	v_mov_b32_e32 v96, s12
	s_or_b64 s[8:9], vcc, s[8:9]
	v_fmac_f64_e32 v[94:95], v[100:101], v[114:115]
	s_andn2_b64 exec, exec, s[8:9]
	s_cbranch_execnz .LBB14_185
; %bb.186:
	s_or_b64 exec, exec, s[8:9]
.LBB14_187:
	s_or_b64 exec, exec, s[0:1]
	v_and_b32_e32 v62, 7, v99
	v_cmp_ne_u32_e32 vcc, 0, v62
	s_and_saveexec_b64 s[8:9], vcc
	s_cbranch_execz .LBB14_191
; %bb.188:
	v_mov_b32_e32 v63, 0x80
	v_lshl_add_u32 v98, v96, 3, v63
	v_mov_b32_e32 v63, 0
	s_mov_b64 s[10:11], 0
.LBB14_189:                             ; =>This Inner Loop Header: Depth=1
	v_cmp_eq_u32_e32 vcc, 1, v96
	v_cndmask_b32_e32 v99, v33, v35, vcc
	v_add_u32_e32 v62, -1, v62
	v_cmp_eq_u32_e64 s[0:1], 2, v96
	v_cndmask_b32_e64 v99, v99, v37, s[0:1]
	v_cndmask_b32_e32 v102, v32, v34, vcc
	v_cmp_eq_u32_e32 vcc, 0, v62
	v_cmp_eq_u32_e64 s[4:5], 3, v96
	v_cndmask_b32_e64 v99, v99, v39, s[4:5]
	v_cndmask_b32_e64 v102, v102, v36, s[0:1]
	s_or_b64 s[10:11], vcc, s[10:11]
	v_cmp_eq_u32_e32 vcc, 4, v96
	v_cndmask_b32_e32 v99, v99, v41, vcc
	v_cndmask_b32_e64 v102, v102, v38, s[4:5]
	v_cmp_eq_u32_e64 s[0:1], 5, v96
	v_cndmask_b32_e64 v99, v99, v43, s[0:1]
	v_cndmask_b32_e32 v102, v102, v40, vcc
	v_cmp_eq_u32_e32 vcc, 6, v96
	v_cndmask_b32_e32 v99, v99, v45, vcc
	v_cndmask_b32_e64 v102, v102, v42, s[0:1]
	v_cmp_eq_u32_e64 s[0:1], 7, v96
	v_cndmask_b32_e64 v99, v99, v47, s[0:1]
	v_cndmask_b32_e32 v102, v102, v44, vcc
	;; [unrolled: 6-line block ×3, first 2 shown]
	v_cmp_eq_u32_e32 vcc, 10, v96
	v_cndmask_b32_e32 v99, v99, v53, vcc
	v_cndmask_b32_e64 v102, v102, v50, s[0:1]
	v_cmp_eq_u32_e64 s[0:1], 11, v96
	ds_read_b64 v[100:101], v98
	v_cndmask_b32_e64 v99, v99, v55, s[0:1]
	v_cndmask_b32_e32 v102, v102, v52, vcc
	v_cmp_eq_u32_e32 vcc, 12, v96
	v_cndmask_b32_e32 v99, v99, v57, vcc
	v_cndmask_b32_e64 v102, v102, v54, s[0:1]
	v_cmp_eq_u32_e64 s[0:1], 13, v96
	v_cndmask_b32_e64 v99, v99, v59, s[0:1]
	v_cmp_eq_u32_e64 s[4:5], 14, v96
	v_cndmask_b32_e32 v102, v102, v56, vcc
	v_cndmask_b32_e64 v103, v99, v61, s[4:5]
	v_cndmask_b32_e64 v99, v102, v58, s[0:1]
	v_add_co_u32_e32 v96, vcc, 1, v96
	v_cndmask_b32_e64 v102, v99, v60, s[4:5]
	v_add_u32_e32 v98, 8, v98
	v_addc_co_u32_e32 v63, vcc, 0, v63, vcc
	s_waitcnt lgkmcnt(0)
	v_fmac_f64_e32 v[94:95], v[102:103], v[100:101]
	s_andn2_b64 exec, exec, s[10:11]
	s_cbranch_execnz .LBB14_189
; %bb.190:
	s_or_b64 exec, exec, s[10:11]
.LBB14_191:
	s_or_b64 exec, exec, s[8:9]
.LBB14_192:
	s_or_b64 exec, exec, s[6:7]
	v_mov_b32_e32 v34, 0
	ds_read_b64 v[34:35], v34 offset:8
	s_waitcnt lgkmcnt(0)
	v_mul_f64 v[34:35], v[94:95], v[34:35]
.LBB14_193:
	s_or_b64 exec, exec, s[34:35]
	v_cmp_ne_u32_e32 vcc, 0, v0
	ds_write_b64 v97, v[32:33]
	s_waitcnt lgkmcnt(0)
	; wave barrier
	s_waitcnt lgkmcnt(0)
	s_and_saveexec_b64 s[28:29], vcc
	s_cbranch_execz .LBB14_209
; %bb.194:
	s_andn2_b64 vcc, exec, s[30:31]
	s_cbranch_vccnz .LBB14_196
; %bb.195:
	v_cmp_eq_u32_e32 vcc, 1, v0
	v_cndmask_b32_e32 v94, v33, v35, vcc
	v_cmp_eq_u32_e64 s[0:1], 2, v0
	v_cndmask_b32_e64 v94, v94, v37, s[0:1]
	v_cmp_eq_u32_e64 s[4:5], 3, v0
	v_cndmask_b32_e64 v94, v94, v39, s[4:5]
	;; [unrolled: 2-line block ×13, first 2 shown]
	v_cndmask_b32_e32 v94, v32, v34, vcc
	v_cndmask_b32_e64 v94, v94, v36, s[0:1]
	v_cndmask_b32_e64 v94, v94, v38, s[4:5]
	;; [unrolled: 1-line block ×9, first 2 shown]
	ds_read_b64 v[98:99], v97
	v_cndmask_b32_e64 v94, v94, v54, s[20:21]
	v_cndmask_b32_e64 v94, v94, v56, s[22:23]
	;; [unrolled: 1-line block ×4, first 2 shown]
	s_waitcnt lgkmcnt(0)
	v_mul_f64 v[94:95], v[94:95], v[98:99]
	s_cbranch_execz .LBB14_197
	s_branch .LBB14_198
.LBB14_196:
                                        ; implicit-def: $vgpr94_vgpr95
.LBB14_197:
	ds_read_b64 v[94:95], v97
.LBB14_198:
	s_and_saveexec_b64 s[4:5], s[2:3]
	s_cbranch_execz .LBB14_208
; %bb.199:
	v_add_u32_e32 v96, -2, v0
	v_add_u32_e32 v99, -1, v0
	v_cmp_lt_u32_e32 vcc, 6, v96
	v_mov_b32_e32 v96, 1
	s_and_saveexec_b64 s[0:1], vcc
	s_cbranch_execz .LBB14_203
; %bb.200:
	v_and_b32_e32 v96, -8, v99
	v_sub_u32_e32 v98, 0, v96
	s_mov_b64 s[2:3], 8
	s_movk_i32 s8, 0x88
	s_mov_b64 s[6:7], 0
.LBB14_201:                             ; =>This Inner Loop Header: Depth=1
	s_lshl_b32 s9, s2, 1
	s_add_i32 s10, s9, -13
	v_mov_b32_e32 v114, s8
	s_add_i32 s11, s9, -14
	s_set_gpr_idx_on s10, gpr_idx(SRC0)
	v_mov_b32_e32 v109, v32
	s_set_gpr_idx_off
	s_add_i32 s12, s9, -11
	s_set_gpr_idx_on s11, gpr_idx(SRC0)
	v_mov_b32_e32 v108, v32
	s_set_gpr_idx_off
	ds_read2_b64 v[100:103], v114 offset1:1
	s_add_i32 s13, s9, -12
	s_set_gpr_idx_on s12, gpr_idx(SRC0)
	v_mov_b32_e32 v111, v32
	s_set_gpr_idx_off
	s_add_i32 s14, s9, -9
	s_set_gpr_idx_on s13, gpr_idx(SRC0)
	v_mov_b32_e32 v110, v32
	s_set_gpr_idx_off
	;; [unrolled: 4-line block ×4, first 2 shown]
	ds_read2_b64 v[104:107], v114 offset0:2 offset1:3
	s_add_i32 s17, s9, -8
	s_waitcnt lgkmcnt(1)
	v_fmac_f64_e32 v[94:95], v[108:109], v[100:101]
	s_set_gpr_idx_on s16, gpr_idx(SRC0)
	v_mov_b32_e32 v109, v32
	s_set_gpr_idx_off
	s_add_i32 s18, s9, -5
	v_fmac_f64_e32 v[94:95], v[110:111], v[102:103]
	s_set_gpr_idx_on s17, gpr_idx(SRC0)
	v_mov_b32_e32 v108, v32
	s_set_gpr_idx_off
	s_add_i32 s19, s9, -6
	s_set_gpr_idx_on s18, gpr_idx(SRC0)
	v_mov_b32_e32 v111, v32
	s_set_gpr_idx_off
	s_add_i32 s20, s9, -3
	;; [unrolled: 4-line block ×3, first 2 shown]
	ds_read2_b64 v[100:103], v114 offset0:4 offset1:5
	s_waitcnt lgkmcnt(1)
	v_fmac_f64_e32 v[94:95], v[112:113], v[104:105]
	s_set_gpr_idx_on s20, gpr_idx(SRC0)
	v_mov_b32_e32 v113, v32
	s_set_gpr_idx_off
	s_add_i32 s22, s9, -1
	v_fmac_f64_e32 v[94:95], v[108:109], v[106:107]
	s_set_gpr_idx_on s21, gpr_idx(SRC0)
	v_mov_b32_e32 v112, v32
	s_set_gpr_idx_off
	s_add_i32 s23, s9, -2
	s_set_gpr_idx_on s22, gpr_idx(SRC0)
	v_mov_b32_e32 v109, v32
	s_set_gpr_idx_off
	s_set_gpr_idx_on s23, gpr_idx(SRC0)
	v_mov_b32_e32 v108, v32
	s_set_gpr_idx_off
	ds_read2_b64 v[104:107], v114 offset0:6 offset1:7
	s_add_u32 s2, s2, 8
	s_waitcnt lgkmcnt(1)
	v_fmac_f64_e32 v[94:95], v[110:111], v[100:101]
	s_set_gpr_idx_on s9, gpr_idx(SRC0)
	v_mov_b32_e32 v101, v33
	s_set_gpr_idx_off
	v_add_u32_e32 v96, s2, v98
	v_fmac_f64_e32 v[94:95], v[112:113], v[102:103]
	s_set_gpr_idx_on s9, gpr_idx(SRC0)
	v_mov_b32_e32 v100, v32
	s_set_gpr_idx_off
	s_addc_u32 s3, s3, 0
	s_add_i32 s8, s8, 64
	s_add_i32 s10, s2, -7
	v_cmp_eq_u32_e32 vcc, 8, v96
	s_waitcnt lgkmcnt(0)
	v_fmac_f64_e32 v[94:95], v[108:109], v[104:105]
	v_mov_b32_e32 v96, s10
	s_or_b64 s[6:7], vcc, s[6:7]
	v_fmac_f64_e32 v[94:95], v[100:101], v[106:107]
	s_andn2_b64 exec, exec, s[6:7]
	s_cbranch_execnz .LBB14_201
; %bb.202:
	s_or_b64 exec, exec, s[6:7]
.LBB14_203:
	s_or_b64 exec, exec, s[0:1]
	v_and_b32_e32 v62, 7, v99
	v_cmp_ne_u32_e32 vcc, 0, v62
	s_and_saveexec_b64 s[6:7], vcc
	s_cbranch_execz .LBB14_207
; %bb.204:
	v_mov_b32_e32 v63, 0x80
	v_lshl_add_u32 v98, v96, 3, v63
	v_mov_b32_e32 v63, 0
	s_mov_b64 s[8:9], 0
.LBB14_205:                             ; =>This Inner Loop Header: Depth=1
	v_cmp_eq_u32_e32 vcc, 1, v96
	v_cndmask_b32_e32 v99, v33, v35, vcc
	v_add_u32_e32 v62, -1, v62
	v_cmp_eq_u32_e64 s[0:1], 2, v96
	v_cndmask_b32_e64 v99, v99, v37, s[0:1]
	v_cndmask_b32_e32 v102, v32, v34, vcc
	v_cmp_eq_u32_e32 vcc, 0, v62
	v_cmp_eq_u32_e64 s[2:3], 3, v96
	v_cndmask_b32_e64 v99, v99, v39, s[2:3]
	v_cndmask_b32_e64 v102, v102, v36, s[0:1]
	s_or_b64 s[8:9], vcc, s[8:9]
	v_cmp_eq_u32_e32 vcc, 4, v96
	v_cndmask_b32_e32 v99, v99, v41, vcc
	v_cndmask_b32_e64 v102, v102, v38, s[2:3]
	v_cmp_eq_u32_e64 s[0:1], 5, v96
	v_cndmask_b32_e64 v99, v99, v43, s[0:1]
	v_cndmask_b32_e32 v102, v102, v40, vcc
	v_cmp_eq_u32_e32 vcc, 6, v96
	v_cndmask_b32_e32 v99, v99, v45, vcc
	v_cndmask_b32_e64 v102, v102, v42, s[0:1]
	v_cmp_eq_u32_e64 s[0:1], 7, v96
	v_cndmask_b32_e64 v99, v99, v47, s[0:1]
	v_cndmask_b32_e32 v102, v102, v44, vcc
	;; [unrolled: 6-line block ×3, first 2 shown]
	v_cmp_eq_u32_e32 vcc, 10, v96
	v_cndmask_b32_e32 v99, v99, v53, vcc
	v_cndmask_b32_e64 v102, v102, v50, s[0:1]
	v_cmp_eq_u32_e64 s[0:1], 11, v96
	ds_read_b64 v[100:101], v98
	v_cndmask_b32_e64 v99, v99, v55, s[0:1]
	v_cndmask_b32_e32 v102, v102, v52, vcc
	v_cmp_eq_u32_e32 vcc, 12, v96
	v_cndmask_b32_e32 v99, v99, v57, vcc
	v_cndmask_b32_e64 v102, v102, v54, s[0:1]
	v_cmp_eq_u32_e64 s[0:1], 13, v96
	v_cndmask_b32_e64 v99, v99, v59, s[0:1]
	v_cmp_eq_u32_e64 s[2:3], 14, v96
	v_cndmask_b32_e32 v102, v102, v56, vcc
	v_cndmask_b32_e64 v103, v99, v61, s[2:3]
	v_cndmask_b32_e64 v99, v102, v58, s[0:1]
	v_add_co_u32_e32 v96, vcc, 1, v96
	v_cndmask_b32_e64 v102, v99, v60, s[2:3]
	v_add_u32_e32 v98, 8, v98
	v_addc_co_u32_e32 v63, vcc, 0, v63, vcc
	s_waitcnt lgkmcnt(0)
	v_fmac_f64_e32 v[94:95], v[102:103], v[100:101]
	s_andn2_b64 exec, exec, s[8:9]
	s_cbranch_execnz .LBB14_205
; %bb.206:
	s_or_b64 exec, exec, s[8:9]
.LBB14_207:
	s_or_b64 exec, exec, s[6:7]
.LBB14_208:
	s_or_b64 exec, exec, s[4:5]
	v_mov_b32_e32 v32, 0
	ds_read_b64 v[32:33], v32
	s_waitcnt lgkmcnt(0)
	v_mul_f64 v[32:33], v[94:95], v[32:33]
.LBB14_209:
	s_or_b64 exec, exec, s[28:29]
	s_branch .LBB14_355
.LBB14_210:
	v_cmp_eq_u32_e64 s[2:3], 0, v0
	s_waitcnt vmcnt(14)
	ds_write_b64 v97, v[4:5]
	s_waitcnt lgkmcnt(0)
	; wave barrier
	s_waitcnt lgkmcnt(0)
	s_and_saveexec_b64 s[28:29], s[2:3]
	s_cbranch_execz .LBB14_216
; %bb.211:
	s_and_b64 vcc, exec, s[30:31]
	s_cbranch_vccz .LBB14_213
; %bb.212:
	v_cmp_eq_u32_e32 vcc, 1, v0
	s_waitcnt vmcnt(1)
	v_cndmask_b32_e32 v5, v3, v5, vcc
	v_cmp_eq_u32_e64 s[0:1], 2, v0
	v_cndmask_b32_e32 v4, v2, v4, vcc
	v_cndmask_b32_e64 v5, v5, v7, s[0:1]
	v_cmp_eq_u32_e64 s[4:5], 3, v0
	v_cndmask_b32_e64 v4, v4, v6, s[0:1]
	v_cndmask_b32_e64 v5, v5, v9, s[4:5]
	v_cmp_eq_u32_e64 s[6:7], 4, v0
	v_cndmask_b32_e64 v4, v4, v8, s[4:5]
	;; [unrolled: 3-line block ×9, first 2 shown]
	ds_read_b64 v[32:33], v97
	v_cndmask_b32_e64 v5, v5, v25, s[20:21]
	v_cmp_eq_u32_e64 s[22:23], 12, v0
	v_cndmask_b32_e64 v4, v4, v24, s[20:21]
	v_cndmask_b32_e64 v5, v5, v27, s[22:23]
	v_cmp_eq_u32_e64 s[24:25], 13, v0
	v_cndmask_b32_e64 v4, v4, v26, s[22:23]
	;; [unrolled: 3-line block ×3, first 2 shown]
	s_waitcnt vmcnt(0)
	v_cndmask_b32_e64 v5, v5, v31, s[26:27]
	v_cndmask_b32_e64 v4, v4, v30, s[26:27]
	s_waitcnt lgkmcnt(0)
	v_mul_f64 v[4:5], v[4:5], v[32:33]
	s_cbranch_execz .LBB14_214
	s_branch .LBB14_215
.LBB14_213:
                                        ; implicit-def: $vgpr4_vgpr5
.LBB14_214:
	ds_read_b64 v[4:5], v97
.LBB14_215:
	v_mov_b32_e32 v32, 0
	ds_read_b64 v[32:33], v32 offset:8
	s_waitcnt lgkmcnt(0)
	v_mul_f64 v[4:5], v[4:5], v[32:33]
.LBB14_216:
	s_or_b64 exec, exec, s[28:29]
	v_cndmask_b32_e64 v32, 0, 1, s[30:31]
	v_add_u32_e32 v36, 1, v0
	v_cmp_gt_u32_e32 vcc, 2, v0
	v_cmp_ne_u32_e64 s[0:1], 1, v32
	s_waitcnt vmcnt(13)
	ds_write_b64 v97, v[6:7]
	s_waitcnt lgkmcnt(0)
	; wave barrier
	s_waitcnt lgkmcnt(0)
	s_and_saveexec_b64 s[30:31], vcc
	s_cbranch_execz .LBB14_224
; %bb.217:
	s_and_b64 vcc, exec, s[0:1]
	s_cbranch_vccnz .LBB14_219
; %bb.218:
	v_cmp_eq_u32_e32 vcc, 1, v0
	s_waitcnt vmcnt(1)
	v_cndmask_b32_e32 v32, v3, v5, vcc
	v_cmp_eq_u32_e64 s[4:5], 2, v0
	v_cndmask_b32_e64 v32, v32, v7, s[4:5]
	v_cmp_eq_u32_e64 s[6:7], 3, v0
	v_cndmask_b32_e64 v32, v32, v9, s[6:7]
	;; [unrolled: 2-line block ×12, first 2 shown]
	v_cmp_eq_u32_e64 s[28:29], 14, v0
	s_waitcnt vmcnt(0)
	v_cndmask_b32_e64 v33, v32, v31, s[28:29]
	v_cndmask_b32_e32 v32, v2, v4, vcc
	v_cndmask_b32_e64 v32, v32, v6, s[4:5]
	v_cndmask_b32_e64 v32, v32, v8, s[6:7]
	;; [unrolled: 1-line block ×9, first 2 shown]
	ds_read_b64 v[34:35], v97
	v_cndmask_b32_e64 v32, v32, v24, s[22:23]
	v_cndmask_b32_e64 v32, v32, v26, s[24:25]
	v_cndmask_b32_e64 v32, v32, v28, s[26:27]
	v_cndmask_b32_e64 v32, v32, v30, s[28:29]
	s_waitcnt lgkmcnt(0)
	v_mul_f64 v[32:33], v[32:33], v[34:35]
	s_cbranch_execz .LBB14_220
	s_branch .LBB14_221
.LBB14_219:
                                        ; implicit-def: $vgpr32_vgpr33
.LBB14_220:
	ds_read_b64 v[32:33], v97
.LBB14_221:
	s_and_saveexec_b64 s[34:35], s[2:3]
	s_cbranch_execz .LBB14_223
; %bb.222:
	v_cmp_eq_u32_e32 vcc, 1, v36
	s_waitcnt vmcnt(1)
	v_cndmask_b32_e32 v34, v3, v5, vcc
	v_cmp_eq_u32_e64 s[4:5], 2, v36
	v_cndmask_b32_e64 v7, v34, v7, s[4:5]
	v_cndmask_b32_e32 v34, v2, v4, vcc
	v_cmp_eq_u32_e64 s[6:7], 3, v36
	v_cndmask_b32_e64 v6, v34, v6, s[4:5]
	v_cndmask_b32_e64 v7, v7, v9, s[6:7]
	v_cmp_eq_u32_e64 s[8:9], 4, v36
	v_cndmask_b32_e64 v6, v6, v8, s[6:7]
	v_cndmask_b32_e64 v7, v7, v11, s[8:9]
	;; [unrolled: 3-line block ×8, first 2 shown]
	v_cmp_eq_u32_e64 s[22:23], 11, v36
	v_cndmask_b32_e64 v6, v6, v22, s[20:21]
	ds_read_b64 v[34:35], v97 offset:8
	v_cndmask_b32_e64 v7, v7, v25, s[22:23]
	v_cmp_eq_u32_e64 s[24:25], 12, v36
	v_cndmask_b32_e64 v6, v6, v24, s[22:23]
	v_cndmask_b32_e64 v7, v7, v27, s[24:25]
	v_cmp_eq_u32_e64 s[26:27], 13, v36
	v_cndmask_b32_e64 v6, v6, v26, s[24:25]
	;; [unrolled: 3-line block ×3, first 2 shown]
	s_waitcnt vmcnt(0)
	v_cndmask_b32_e64 v7, v7, v31, s[28:29]
	v_cndmask_b32_e64 v6, v6, v30, s[28:29]
	s_waitcnt lgkmcnt(0)
	v_fmac_f64_e32 v[32:33], v[6:7], v[34:35]
.LBB14_223:
	s_or_b64 exec, exec, s[34:35]
	v_mov_b32_e32 v6, 0
	ds_read_b64 v[6:7], v6 offset:16
	s_waitcnt lgkmcnt(0)
	v_mul_f64 v[6:7], v[32:33], v[6:7]
.LBB14_224:
	s_or_b64 exec, exec, s[30:31]
	v_cmp_gt_u32_e64 s[4:5], 3, v0
	s_waitcnt vmcnt(12)
	ds_write_b64 v97, v[8:9]
	s_waitcnt lgkmcnt(0)
	; wave barrier
	s_waitcnt lgkmcnt(0)
	s_and_saveexec_b64 s[34:35], s[4:5]
	s_cbranch_execz .LBB14_232
; %bb.225:
	s_and_b64 vcc, exec, s[0:1]
	s_cbranch_vccnz .LBB14_227
; %bb.226:
	v_cmp_eq_u32_e32 vcc, 1, v0
	s_waitcnt vmcnt(1)
	v_cndmask_b32_e32 v32, v3, v5, vcc
	v_cmp_eq_u32_e64 s[6:7], 2, v0
	v_cndmask_b32_e64 v32, v32, v7, s[6:7]
	v_cmp_eq_u32_e64 s[8:9], 3, v0
	v_cndmask_b32_e64 v32, v32, v9, s[8:9]
	;; [unrolled: 2-line block ×12, first 2 shown]
	v_cmp_eq_u32_e64 s[30:31], 14, v0
	s_waitcnt vmcnt(0)
	v_cndmask_b32_e64 v33, v32, v31, s[30:31]
	v_cndmask_b32_e32 v32, v2, v4, vcc
	v_cndmask_b32_e64 v32, v32, v6, s[6:7]
	v_cndmask_b32_e64 v32, v32, v8, s[8:9]
	;; [unrolled: 1-line block ×9, first 2 shown]
	ds_read_b64 v[34:35], v97
	v_cndmask_b32_e64 v32, v32, v24, s[24:25]
	v_cndmask_b32_e64 v32, v32, v26, s[26:27]
	;; [unrolled: 1-line block ×4, first 2 shown]
	s_waitcnt lgkmcnt(0)
	v_mul_f64 v[32:33], v[32:33], v[34:35]
	s_cbranch_execz .LBB14_228
	s_branch .LBB14_229
.LBB14_227:
                                        ; implicit-def: $vgpr32_vgpr33
.LBB14_228:
	ds_read_b64 v[32:33], v97
.LBB14_229:
	v_cmp_ne_u32_e32 vcc, 2, v0
	s_and_saveexec_b64 s[36:37], vcc
	s_cbranch_execz .LBB14_231
; %bb.230:
	v_cmp_eq_u32_e32 vcc, 1, v36
	s_waitcnt vmcnt(1)
	v_cndmask_b32_e32 v34, v3, v5, vcc
	v_cmp_eq_u32_e64 s[6:7], 2, v36
	v_cndmask_b32_e64 v34, v34, v7, s[6:7]
	v_cmp_eq_u32_e64 s[8:9], 3, v36
	v_cndmask_b32_e64 v9, v34, v9, s[8:9]
	v_cndmask_b32_e32 v34, v2, v4, vcc
	v_cndmask_b32_e64 v34, v34, v6, s[6:7]
	v_cmp_eq_u32_e64 s[10:11], 4, v36
	v_cndmask_b32_e64 v8, v34, v8, s[8:9]
	v_cndmask_b32_e64 v9, v9, v11, s[10:11]
	v_cmp_eq_u32_e64 s[12:13], 5, v36
	v_cndmask_b32_e64 v8, v8, v10, s[10:11]
	;; [unrolled: 3-line block ×9, first 2 shown]
	v_mov_b32_e32 v37, 0
	ds_read_b64 v[34:35], v97 offset:8
	ds_read_b64 v[38:39], v37 offset:144
	v_cndmask_b32_e64 v9, v9, v27, s[26:27]
	v_cmp_eq_u32_e64 s[28:29], 13, v36
	v_cndmask_b32_e64 v8, v8, v26, s[26:27]
	v_cndmask_b32_e64 v9, v9, v29, s[28:29]
	v_cmp_eq_u32_e64 s[30:31], 14, v36
	v_cndmask_b32_e64 v8, v8, v28, s[28:29]
	s_waitcnt vmcnt(0)
	v_cndmask_b32_e64 v9, v9, v31, s[30:31]
	v_cndmask_b32_e64 v8, v8, v30, s[30:31]
	s_waitcnt lgkmcnt(1)
	v_fmac_f64_e32 v[32:33], v[8:9], v[34:35]
	s_waitcnt lgkmcnt(0)
	v_fma_f64 v[8:9], v[6:7], v[38:39], v[32:33]
	v_cndmask_b32_e64 v33, v33, v9, s[2:3]
	v_cndmask_b32_e64 v32, v32, v8, s[2:3]
.LBB14_231:
	s_or_b64 exec, exec, s[36:37]
	v_mov_b32_e32 v8, 0
	ds_read_b64 v[8:9], v8 offset:24
	s_waitcnt lgkmcnt(0)
	v_mul_f64 v[8:9], v[32:33], v[8:9]
.LBB14_232:
	s_or_b64 exec, exec, s[34:35]
	v_cmp_gt_u32_e32 vcc, 4, v0
	s_waitcnt vmcnt(11)
	ds_write_b64 v97, v[10:11]
	s_waitcnt lgkmcnt(0)
	; wave barrier
	s_waitcnt lgkmcnt(0)
	s_and_saveexec_b64 s[34:35], vcc
	s_cbranch_execz .LBB14_242
; %bb.233:
	s_and_b64 vcc, exec, s[0:1]
	s_cbranch_vccnz .LBB14_235
; %bb.234:
	v_cmp_eq_u32_e32 vcc, 1, v0
	s_waitcnt vmcnt(1)
	v_cndmask_b32_e32 v32, v3, v5, vcc
	v_cmp_eq_u32_e64 s[6:7], 2, v0
	v_cndmask_b32_e64 v32, v32, v7, s[6:7]
	v_cmp_eq_u32_e64 s[8:9], 3, v0
	v_cndmask_b32_e64 v32, v32, v9, s[8:9]
	;; [unrolled: 2-line block ×12, first 2 shown]
	v_cmp_eq_u32_e64 s[30:31], 14, v0
	s_waitcnt vmcnt(0)
	v_cndmask_b32_e64 v33, v32, v31, s[30:31]
	v_cndmask_b32_e32 v32, v2, v4, vcc
	v_cndmask_b32_e64 v32, v32, v6, s[6:7]
	v_cndmask_b32_e64 v32, v32, v8, s[8:9]
	;; [unrolled: 1-line block ×9, first 2 shown]
	ds_read_b64 v[34:35], v97
	v_cndmask_b32_e64 v32, v32, v24, s[24:25]
	v_cndmask_b32_e64 v32, v32, v26, s[26:27]
	;; [unrolled: 1-line block ×4, first 2 shown]
	s_waitcnt lgkmcnt(0)
	v_mul_f64 v[32:33], v[32:33], v[34:35]
	s_cbranch_execz .LBB14_236
	s_branch .LBB14_237
.LBB14_235:
                                        ; implicit-def: $vgpr32_vgpr33
.LBB14_236:
	ds_read_b64 v[32:33], v97
.LBB14_237:
	v_cmp_ne_u32_e32 vcc, 3, v0
	s_and_saveexec_b64 s[10:11], vcc
	s_cbranch_execz .LBB14_241
; %bb.238:
	v_mov_b32_e32 v34, 0x88
	v_lshl_add_u32 v37, v0, 3, v34
	s_mov_b64 s[12:13], 0
	v_pk_mov_b32 v[34:35], v[0:1], v[0:1] op_sel:[0,1]
.LBB14_239:                             ; =>This Inner Loop Header: Depth=1
	v_add_co_u32_e32 v34, vcc, 1, v34
	v_addc_co_u32_e32 v35, vcc, 0, v35, vcc
	v_cmp_eq_u32_e32 vcc, 1, v34
	s_waitcnt vmcnt(1)
	v_cndmask_b32_e32 v40, v3, v5, vcc
	v_cmp_eq_u32_e64 s[8:9], 2, v34
	v_cmp_lt_u32_e64 s[6:7], 2, v34
	v_cndmask_b32_e64 v40, v40, v7, s[8:9]
	v_cndmask_b32_e32 v41, v2, v4, vcc
	v_cmp_eq_u32_e32 vcc, 3, v34
	s_or_b64 s[12:13], s[6:7], s[12:13]
	v_cndmask_b32_e32 v40, v40, v9, vcc
	v_cndmask_b32_e64 v41, v41, v6, s[8:9]
	v_cmp_eq_u32_e64 s[6:7], 4, v34
	v_cndmask_b32_e64 v40, v40, v11, s[6:7]
	v_cndmask_b32_e32 v41, v41, v8, vcc
	v_cmp_eq_u32_e32 vcc, 5, v34
	v_cndmask_b32_e32 v40, v40, v13, vcc
	v_cndmask_b32_e64 v41, v41, v10, s[6:7]
	v_cmp_eq_u32_e64 s[6:7], 6, v34
	v_cndmask_b32_e64 v40, v40, v15, s[6:7]
	v_cndmask_b32_e32 v41, v41, v12, vcc
	v_cmp_eq_u32_e32 vcc, 7, v34
	;; [unrolled: 6-line block ×4, first 2 shown]
	ds_read_b64 v[38:39], v37
	v_cndmask_b32_e32 v40, v40, v25, vcc
	v_cndmask_b32_e64 v41, v41, v22, s[6:7]
	v_cmp_eq_u32_e64 s[6:7], 12, v34
	v_cndmask_b32_e64 v40, v40, v27, s[6:7]
	v_cndmask_b32_e32 v41, v41, v24, vcc
	v_cmp_eq_u32_e32 vcc, 13, v34
	v_cndmask_b32_e32 v40, v40, v29, vcc
	v_cndmask_b32_e64 v42, v41, v26, s[6:7]
	v_cmp_eq_u32_e64 s[6:7], 14, v34
	s_waitcnt vmcnt(0)
	v_cndmask_b32_e64 v41, v40, v31, s[6:7]
	v_cndmask_b32_e32 v40, v42, v28, vcc
	v_cndmask_b32_e64 v40, v40, v30, s[6:7]
	v_add_u32_e32 v37, 8, v37
	s_waitcnt lgkmcnt(0)
	v_fmac_f64_e32 v[32:33], v[40:41], v[38:39]
	s_andn2_b64 exec, exec, s[12:13]
	s_cbranch_execnz .LBB14_239
; %bb.240:
	s_or_b64 exec, exec, s[12:13]
.LBB14_241:
	s_or_b64 exec, exec, s[10:11]
	v_mov_b32_e32 v10, 0
	ds_read_b64 v[10:11], v10 offset:32
	s_waitcnt lgkmcnt(0)
	v_mul_f64 v[10:11], v[32:33], v[10:11]
.LBB14_242:
	s_or_b64 exec, exec, s[34:35]
	v_cmp_gt_u32_e64 s[6:7], 5, v0
	s_waitcnt vmcnt(10)
	ds_write_b64 v97, v[12:13]
	s_waitcnt lgkmcnt(0)
	; wave barrier
	s_waitcnt lgkmcnt(0)
	s_and_saveexec_b64 s[36:37], s[6:7]
	s_cbranch_execz .LBB14_252
; %bb.243:
	s_and_b64 vcc, exec, s[0:1]
	s_cbranch_vccnz .LBB14_245
; %bb.244:
	v_cmp_eq_u32_e32 vcc, 1, v0
	s_waitcnt vmcnt(1)
	v_cndmask_b32_e32 v32, v3, v5, vcc
	v_cmp_eq_u32_e64 s[8:9], 2, v0
	v_cndmask_b32_e64 v32, v32, v7, s[8:9]
	v_cmp_eq_u32_e64 s[10:11], 3, v0
	v_cndmask_b32_e64 v32, v32, v9, s[10:11]
	;; [unrolled: 2-line block ×12, first 2 shown]
	v_cmp_eq_u32_e64 s[34:35], 14, v0
	s_waitcnt vmcnt(0)
	v_cndmask_b32_e64 v33, v32, v31, s[34:35]
	v_cndmask_b32_e32 v32, v2, v4, vcc
	v_cndmask_b32_e64 v32, v32, v6, s[8:9]
	v_cndmask_b32_e64 v32, v32, v8, s[10:11]
	;; [unrolled: 1-line block ×9, first 2 shown]
	ds_read_b64 v[34:35], v97
	v_cndmask_b32_e64 v32, v32, v24, s[26:27]
	v_cndmask_b32_e64 v32, v32, v26, s[28:29]
	;; [unrolled: 1-line block ×4, first 2 shown]
	s_waitcnt lgkmcnt(0)
	v_mul_f64 v[32:33], v[32:33], v[34:35]
	s_cbranch_execz .LBB14_246
	s_branch .LBB14_247
.LBB14_245:
                                        ; implicit-def: $vgpr32_vgpr33
.LBB14_246:
	ds_read_b64 v[32:33], v97
.LBB14_247:
	v_cmp_ne_u32_e32 vcc, 4, v0
	s_and_saveexec_b64 s[12:13], vcc
	s_cbranch_execz .LBB14_251
; %bb.248:
	v_mov_b32_e32 v34, 0x88
	v_lshl_add_u32 v37, v0, 3, v34
	s_mov_b64 s[14:15], 0
	v_pk_mov_b32 v[34:35], v[0:1], v[0:1] op_sel:[0,1]
.LBB14_249:                             ; =>This Inner Loop Header: Depth=1
	v_add_co_u32_e32 v34, vcc, 1, v34
	v_addc_co_u32_e32 v35, vcc, 0, v35, vcc
	v_cmp_eq_u32_e32 vcc, 1, v34
	s_waitcnt vmcnt(1)
	v_cndmask_b32_e32 v40, v3, v5, vcc
	v_cmp_eq_u32_e64 s[10:11], 2, v34
	v_cmp_lt_u32_e64 s[8:9], 3, v34
	v_cndmask_b32_e64 v40, v40, v7, s[10:11]
	v_cndmask_b32_e32 v41, v2, v4, vcc
	v_cmp_eq_u32_e32 vcc, 3, v34
	s_or_b64 s[14:15], s[8:9], s[14:15]
	v_cndmask_b32_e32 v40, v40, v9, vcc
	v_cndmask_b32_e64 v41, v41, v6, s[10:11]
	v_cmp_eq_u32_e64 s[8:9], 4, v34
	v_cndmask_b32_e64 v40, v40, v11, s[8:9]
	v_cndmask_b32_e32 v41, v41, v8, vcc
	v_cmp_eq_u32_e32 vcc, 5, v34
	v_cndmask_b32_e32 v40, v40, v13, vcc
	v_cndmask_b32_e64 v41, v41, v10, s[8:9]
	v_cmp_eq_u32_e64 s[8:9], 6, v34
	v_cndmask_b32_e64 v40, v40, v15, s[8:9]
	v_cndmask_b32_e32 v41, v41, v12, vcc
	v_cmp_eq_u32_e32 vcc, 7, v34
	;; [unrolled: 6-line block ×4, first 2 shown]
	ds_read_b64 v[38:39], v37
	v_cndmask_b32_e32 v40, v40, v25, vcc
	v_cndmask_b32_e64 v41, v41, v22, s[8:9]
	v_cmp_eq_u32_e64 s[8:9], 12, v34
	v_cndmask_b32_e64 v40, v40, v27, s[8:9]
	v_cndmask_b32_e32 v41, v41, v24, vcc
	v_cmp_eq_u32_e32 vcc, 13, v34
	v_cndmask_b32_e32 v40, v40, v29, vcc
	v_cndmask_b32_e64 v42, v41, v26, s[8:9]
	v_cmp_eq_u32_e64 s[8:9], 14, v34
	s_waitcnt vmcnt(0)
	v_cndmask_b32_e64 v41, v40, v31, s[8:9]
	v_cndmask_b32_e32 v40, v42, v28, vcc
	v_cndmask_b32_e64 v40, v40, v30, s[8:9]
	v_add_u32_e32 v37, 8, v37
	s_waitcnt lgkmcnt(0)
	v_fmac_f64_e32 v[32:33], v[40:41], v[38:39]
	s_andn2_b64 exec, exec, s[14:15]
	s_cbranch_execnz .LBB14_249
; %bb.250:
	s_or_b64 exec, exec, s[14:15]
.LBB14_251:
	s_or_b64 exec, exec, s[12:13]
	v_mov_b32_e32 v12, 0
	ds_read_b64 v[12:13], v12 offset:40
	s_waitcnt lgkmcnt(0)
	v_mul_f64 v[12:13], v[32:33], v[12:13]
.LBB14_252:
	s_or_b64 exec, exec, s[36:37]
	v_cmp_gt_u32_e32 vcc, 6, v0
	s_waitcnt vmcnt(9)
	ds_write_b64 v97, v[14:15]
	s_waitcnt lgkmcnt(0)
	; wave barrier
	s_waitcnt lgkmcnt(0)
	s_and_saveexec_b64 s[36:37], vcc
	s_cbranch_execz .LBB14_262
; %bb.253:
	s_and_b64 vcc, exec, s[0:1]
	s_cbranch_vccnz .LBB14_255
; %bb.254:
	v_cmp_eq_u32_e32 vcc, 1, v0
	s_waitcnt vmcnt(1)
	v_cndmask_b32_e32 v32, v3, v5, vcc
	v_cmp_eq_u32_e64 s[8:9], 2, v0
	v_cndmask_b32_e64 v32, v32, v7, s[8:9]
	v_cmp_eq_u32_e64 s[10:11], 3, v0
	v_cndmask_b32_e64 v32, v32, v9, s[10:11]
	;; [unrolled: 2-line block ×12, first 2 shown]
	v_cmp_eq_u32_e64 s[34:35], 14, v0
	s_waitcnt vmcnt(0)
	v_cndmask_b32_e64 v33, v32, v31, s[34:35]
	v_cndmask_b32_e32 v32, v2, v4, vcc
	v_cndmask_b32_e64 v32, v32, v6, s[8:9]
	v_cndmask_b32_e64 v32, v32, v8, s[10:11]
	;; [unrolled: 1-line block ×9, first 2 shown]
	ds_read_b64 v[34:35], v97
	v_cndmask_b32_e64 v32, v32, v24, s[26:27]
	v_cndmask_b32_e64 v32, v32, v26, s[28:29]
	;; [unrolled: 1-line block ×4, first 2 shown]
	s_waitcnt lgkmcnt(0)
	v_mul_f64 v[32:33], v[32:33], v[34:35]
	s_cbranch_execz .LBB14_256
	s_branch .LBB14_257
.LBB14_255:
                                        ; implicit-def: $vgpr32_vgpr33
.LBB14_256:
	ds_read_b64 v[32:33], v97
.LBB14_257:
	v_cmp_ne_u32_e32 vcc, 5, v0
	s_and_saveexec_b64 s[12:13], vcc
	s_cbranch_execz .LBB14_261
; %bb.258:
	v_mov_b32_e32 v34, 0x88
	v_lshl_add_u32 v37, v0, 3, v34
	s_mov_b64 s[14:15], 0
	v_pk_mov_b32 v[34:35], v[0:1], v[0:1] op_sel:[0,1]
.LBB14_259:                             ; =>This Inner Loop Header: Depth=1
	v_add_co_u32_e32 v34, vcc, 1, v34
	v_addc_co_u32_e32 v35, vcc, 0, v35, vcc
	v_cmp_eq_u32_e32 vcc, 1, v34
	s_waitcnt vmcnt(1)
	v_cndmask_b32_e32 v40, v3, v5, vcc
	v_cmp_eq_u32_e64 s[10:11], 2, v34
	v_cmp_lt_u32_e64 s[8:9], 4, v34
	v_cndmask_b32_e64 v40, v40, v7, s[10:11]
	v_cndmask_b32_e32 v41, v2, v4, vcc
	v_cmp_eq_u32_e32 vcc, 3, v34
	s_or_b64 s[14:15], s[8:9], s[14:15]
	v_cndmask_b32_e32 v40, v40, v9, vcc
	v_cndmask_b32_e64 v41, v41, v6, s[10:11]
	v_cmp_eq_u32_e64 s[8:9], 4, v34
	v_cndmask_b32_e64 v40, v40, v11, s[8:9]
	v_cndmask_b32_e32 v41, v41, v8, vcc
	v_cmp_eq_u32_e32 vcc, 5, v34
	v_cndmask_b32_e32 v40, v40, v13, vcc
	v_cndmask_b32_e64 v41, v41, v10, s[8:9]
	v_cmp_eq_u32_e64 s[8:9], 6, v34
	v_cndmask_b32_e64 v40, v40, v15, s[8:9]
	v_cndmask_b32_e32 v41, v41, v12, vcc
	v_cmp_eq_u32_e32 vcc, 7, v34
	;; [unrolled: 6-line block ×4, first 2 shown]
	ds_read_b64 v[38:39], v37
	v_cndmask_b32_e32 v40, v40, v25, vcc
	v_cndmask_b32_e64 v41, v41, v22, s[8:9]
	v_cmp_eq_u32_e64 s[8:9], 12, v34
	v_cndmask_b32_e64 v40, v40, v27, s[8:9]
	v_cndmask_b32_e32 v41, v41, v24, vcc
	v_cmp_eq_u32_e32 vcc, 13, v34
	v_cndmask_b32_e32 v40, v40, v29, vcc
	v_cndmask_b32_e64 v42, v41, v26, s[8:9]
	v_cmp_eq_u32_e64 s[8:9], 14, v34
	s_waitcnt vmcnt(0)
	v_cndmask_b32_e64 v41, v40, v31, s[8:9]
	v_cndmask_b32_e32 v40, v42, v28, vcc
	v_cndmask_b32_e64 v40, v40, v30, s[8:9]
	v_add_u32_e32 v37, 8, v37
	s_waitcnt lgkmcnt(0)
	v_fmac_f64_e32 v[32:33], v[40:41], v[38:39]
	s_andn2_b64 exec, exec, s[14:15]
	s_cbranch_execnz .LBB14_259
; %bb.260:
	s_or_b64 exec, exec, s[14:15]
.LBB14_261:
	s_or_b64 exec, exec, s[12:13]
	v_mov_b32_e32 v14, 0
	ds_read_b64 v[14:15], v14 offset:48
	s_waitcnt lgkmcnt(0)
	v_mul_f64 v[14:15], v[32:33], v[14:15]
.LBB14_262:
	s_or_b64 exec, exec, s[36:37]
	v_cmp_gt_u32_e64 s[8:9], 7, v0
	s_waitcnt vmcnt(8)
	ds_write_b64 v97, v[16:17]
	s_waitcnt lgkmcnt(0)
	; wave barrier
	s_waitcnt lgkmcnt(0)
	s_and_saveexec_b64 s[38:39], s[8:9]
	s_cbranch_execz .LBB14_272
; %bb.263:
	s_and_b64 vcc, exec, s[0:1]
	s_cbranch_vccnz .LBB14_265
; %bb.264:
	v_cmp_eq_u32_e32 vcc, 1, v0
	s_waitcnt vmcnt(1)
	v_cndmask_b32_e32 v32, v3, v5, vcc
	v_cmp_eq_u32_e64 s[10:11], 2, v0
	v_cndmask_b32_e64 v32, v32, v7, s[10:11]
	v_cmp_eq_u32_e64 s[12:13], 3, v0
	v_cndmask_b32_e64 v32, v32, v9, s[12:13]
	;; [unrolled: 2-line block ×12, first 2 shown]
	v_cmp_eq_u32_e64 s[36:37], 14, v0
	s_waitcnt vmcnt(0)
	v_cndmask_b32_e64 v33, v32, v31, s[36:37]
	v_cndmask_b32_e32 v32, v2, v4, vcc
	v_cndmask_b32_e64 v32, v32, v6, s[10:11]
	v_cndmask_b32_e64 v32, v32, v8, s[12:13]
	;; [unrolled: 1-line block ×9, first 2 shown]
	ds_read_b64 v[34:35], v97
	v_cndmask_b32_e64 v32, v32, v24, s[28:29]
	v_cndmask_b32_e64 v32, v32, v26, s[30:31]
	;; [unrolled: 1-line block ×4, first 2 shown]
	s_waitcnt lgkmcnt(0)
	v_mul_f64 v[32:33], v[32:33], v[34:35]
	s_cbranch_execz .LBB14_266
	s_branch .LBB14_267
.LBB14_265:
                                        ; implicit-def: $vgpr32_vgpr33
.LBB14_266:
	ds_read_b64 v[32:33], v97
.LBB14_267:
	v_cmp_ne_u32_e32 vcc, 6, v0
	s_and_saveexec_b64 s[14:15], vcc
	s_cbranch_execz .LBB14_271
; %bb.268:
	v_mov_b32_e32 v34, 0x88
	v_lshl_add_u32 v37, v0, 3, v34
	s_mov_b64 s[16:17], 0
	v_pk_mov_b32 v[34:35], v[0:1], v[0:1] op_sel:[0,1]
.LBB14_269:                             ; =>This Inner Loop Header: Depth=1
	v_add_co_u32_e32 v34, vcc, 1, v34
	v_addc_co_u32_e32 v35, vcc, 0, v35, vcc
	v_cmp_eq_u32_e32 vcc, 1, v34
	s_waitcnt vmcnt(1)
	v_cndmask_b32_e32 v40, v3, v5, vcc
	v_cmp_eq_u32_e64 s[12:13], 2, v34
	v_cmp_lt_u32_e64 s[10:11], 5, v34
	v_cndmask_b32_e64 v40, v40, v7, s[12:13]
	v_cndmask_b32_e32 v41, v2, v4, vcc
	v_cmp_eq_u32_e32 vcc, 3, v34
	s_or_b64 s[16:17], s[10:11], s[16:17]
	v_cndmask_b32_e32 v40, v40, v9, vcc
	v_cndmask_b32_e64 v41, v41, v6, s[12:13]
	v_cmp_eq_u32_e64 s[10:11], 4, v34
	v_cndmask_b32_e64 v40, v40, v11, s[10:11]
	v_cndmask_b32_e32 v41, v41, v8, vcc
	v_cmp_eq_u32_e32 vcc, 5, v34
	v_cndmask_b32_e32 v40, v40, v13, vcc
	v_cndmask_b32_e64 v41, v41, v10, s[10:11]
	v_cmp_eq_u32_e64 s[10:11], 6, v34
	v_cndmask_b32_e64 v40, v40, v15, s[10:11]
	v_cndmask_b32_e32 v41, v41, v12, vcc
	v_cmp_eq_u32_e32 vcc, 7, v34
	;; [unrolled: 6-line block ×4, first 2 shown]
	ds_read_b64 v[38:39], v37
	v_cndmask_b32_e32 v40, v40, v25, vcc
	v_cndmask_b32_e64 v41, v41, v22, s[10:11]
	v_cmp_eq_u32_e64 s[10:11], 12, v34
	v_cndmask_b32_e64 v40, v40, v27, s[10:11]
	v_cndmask_b32_e32 v41, v41, v24, vcc
	v_cmp_eq_u32_e32 vcc, 13, v34
	v_cndmask_b32_e32 v40, v40, v29, vcc
	v_cndmask_b32_e64 v42, v41, v26, s[10:11]
	v_cmp_eq_u32_e64 s[10:11], 14, v34
	s_waitcnt vmcnt(0)
	v_cndmask_b32_e64 v41, v40, v31, s[10:11]
	v_cndmask_b32_e32 v40, v42, v28, vcc
	v_cndmask_b32_e64 v40, v40, v30, s[10:11]
	v_add_u32_e32 v37, 8, v37
	s_waitcnt lgkmcnt(0)
	v_fmac_f64_e32 v[32:33], v[40:41], v[38:39]
	s_andn2_b64 exec, exec, s[16:17]
	s_cbranch_execnz .LBB14_269
; %bb.270:
	s_or_b64 exec, exec, s[16:17]
.LBB14_271:
	s_or_b64 exec, exec, s[14:15]
	v_mov_b32_e32 v16, 0
	ds_read_b64 v[16:17], v16 offset:56
	s_waitcnt lgkmcnt(0)
	v_mul_f64 v[16:17], v[32:33], v[16:17]
.LBB14_272:
	s_or_b64 exec, exec, s[38:39]
	v_cmp_gt_u32_e32 vcc, 8, v0
	s_waitcnt vmcnt(7)
	ds_write_b64 v97, v[18:19]
	s_waitcnt lgkmcnt(0)
	; wave barrier
	s_waitcnt lgkmcnt(0)
	s_and_saveexec_b64 s[38:39], vcc
	s_cbranch_execz .LBB14_282
; %bb.273:
	s_and_b64 vcc, exec, s[0:1]
	s_cbranch_vccnz .LBB14_275
; %bb.274:
	v_cmp_eq_u32_e32 vcc, 1, v0
	s_waitcnt vmcnt(1)
	v_cndmask_b32_e32 v32, v3, v5, vcc
	v_cmp_eq_u32_e64 s[10:11], 2, v0
	v_cndmask_b32_e64 v32, v32, v7, s[10:11]
	v_cmp_eq_u32_e64 s[12:13], 3, v0
	v_cndmask_b32_e64 v32, v32, v9, s[12:13]
	;; [unrolled: 2-line block ×12, first 2 shown]
	v_cmp_eq_u32_e64 s[36:37], 14, v0
	s_waitcnt vmcnt(0)
	v_cndmask_b32_e64 v33, v32, v31, s[36:37]
	v_cndmask_b32_e32 v32, v2, v4, vcc
	v_cndmask_b32_e64 v32, v32, v6, s[10:11]
	v_cndmask_b32_e64 v32, v32, v8, s[12:13]
	;; [unrolled: 1-line block ×9, first 2 shown]
	ds_read_b64 v[34:35], v97
	v_cndmask_b32_e64 v32, v32, v24, s[28:29]
	v_cndmask_b32_e64 v32, v32, v26, s[30:31]
	;; [unrolled: 1-line block ×4, first 2 shown]
	s_waitcnt lgkmcnt(0)
	v_mul_f64 v[32:33], v[32:33], v[34:35]
	s_cbranch_execz .LBB14_276
	s_branch .LBB14_277
.LBB14_275:
                                        ; implicit-def: $vgpr32_vgpr33
.LBB14_276:
	ds_read_b64 v[32:33], v97
.LBB14_277:
	v_cmp_ne_u32_e32 vcc, 7, v0
	s_and_saveexec_b64 s[14:15], vcc
	s_cbranch_execz .LBB14_281
; %bb.278:
	v_mov_b32_e32 v34, 0x88
	v_lshl_add_u32 v37, v0, 3, v34
	s_mov_b64 s[16:17], 0
	v_pk_mov_b32 v[34:35], v[0:1], v[0:1] op_sel:[0,1]
.LBB14_279:                             ; =>This Inner Loop Header: Depth=1
	v_add_co_u32_e32 v34, vcc, 1, v34
	v_addc_co_u32_e32 v35, vcc, 0, v35, vcc
	v_cmp_eq_u32_e32 vcc, 1, v34
	s_waitcnt vmcnt(1)
	v_cndmask_b32_e32 v40, v3, v5, vcc
	v_cmp_eq_u32_e64 s[12:13], 2, v34
	v_cmp_lt_u32_e64 s[10:11], 6, v34
	v_cndmask_b32_e64 v40, v40, v7, s[12:13]
	v_cndmask_b32_e32 v41, v2, v4, vcc
	v_cmp_eq_u32_e32 vcc, 3, v34
	s_or_b64 s[16:17], s[10:11], s[16:17]
	v_cndmask_b32_e32 v40, v40, v9, vcc
	v_cndmask_b32_e64 v41, v41, v6, s[12:13]
	v_cmp_eq_u32_e64 s[10:11], 4, v34
	v_cndmask_b32_e64 v40, v40, v11, s[10:11]
	v_cndmask_b32_e32 v41, v41, v8, vcc
	v_cmp_eq_u32_e32 vcc, 5, v34
	v_cndmask_b32_e32 v40, v40, v13, vcc
	v_cndmask_b32_e64 v41, v41, v10, s[10:11]
	v_cmp_eq_u32_e64 s[10:11], 6, v34
	v_cndmask_b32_e64 v40, v40, v15, s[10:11]
	v_cndmask_b32_e32 v41, v41, v12, vcc
	v_cmp_eq_u32_e32 vcc, 7, v34
	;; [unrolled: 6-line block ×4, first 2 shown]
	ds_read_b64 v[38:39], v37
	v_cndmask_b32_e32 v40, v40, v25, vcc
	v_cndmask_b32_e64 v41, v41, v22, s[10:11]
	v_cmp_eq_u32_e64 s[10:11], 12, v34
	v_cndmask_b32_e64 v40, v40, v27, s[10:11]
	v_cndmask_b32_e32 v41, v41, v24, vcc
	v_cmp_eq_u32_e32 vcc, 13, v34
	v_cndmask_b32_e32 v40, v40, v29, vcc
	v_cndmask_b32_e64 v42, v41, v26, s[10:11]
	v_cmp_eq_u32_e64 s[10:11], 14, v34
	s_waitcnt vmcnt(0)
	v_cndmask_b32_e64 v41, v40, v31, s[10:11]
	v_cndmask_b32_e32 v40, v42, v28, vcc
	v_cndmask_b32_e64 v40, v40, v30, s[10:11]
	v_add_u32_e32 v37, 8, v37
	s_waitcnt lgkmcnt(0)
	v_fmac_f64_e32 v[32:33], v[40:41], v[38:39]
	s_andn2_b64 exec, exec, s[16:17]
	s_cbranch_execnz .LBB14_279
; %bb.280:
	s_or_b64 exec, exec, s[16:17]
.LBB14_281:
	s_or_b64 exec, exec, s[14:15]
	v_mov_b32_e32 v18, 0
	ds_read_b64 v[18:19], v18 offset:64
	s_waitcnt lgkmcnt(0)
	v_mul_f64 v[18:19], v[32:33], v[18:19]
.LBB14_282:
	s_or_b64 exec, exec, s[38:39]
	v_cmp_gt_u32_e32 vcc, 9, v0
	s_waitcnt vmcnt(6)
	ds_write_b64 v97, v[20:21]
	s_waitcnt lgkmcnt(0)
	; wave barrier
	s_waitcnt lgkmcnt(0)
	s_and_saveexec_b64 s[38:39], vcc
	s_cbranch_execz .LBB14_304
; %bb.283:
	s_and_b64 vcc, exec, s[0:1]
	s_cbranch_vccnz .LBB14_285
; %bb.284:
	v_cmp_eq_u32_e32 vcc, 1, v0
	s_waitcnt vmcnt(1)
	v_cndmask_b32_e32 v32, v3, v5, vcc
	v_cmp_eq_u32_e64 s[10:11], 2, v0
	v_cndmask_b32_e64 v32, v32, v7, s[10:11]
	v_cmp_eq_u32_e64 s[12:13], 3, v0
	v_cndmask_b32_e64 v32, v32, v9, s[12:13]
	;; [unrolled: 2-line block ×12, first 2 shown]
	v_cmp_eq_u32_e64 s[36:37], 14, v0
	s_waitcnt vmcnt(0)
	v_cndmask_b32_e64 v33, v32, v31, s[36:37]
	v_cndmask_b32_e32 v32, v2, v4, vcc
	v_cndmask_b32_e64 v32, v32, v6, s[10:11]
	v_cndmask_b32_e64 v32, v32, v8, s[12:13]
	v_cndmask_b32_e64 v32, v32, v10, s[14:15]
	v_cndmask_b32_e64 v32, v32, v12, s[16:17]
	v_cndmask_b32_e64 v32, v32, v14, s[18:19]
	v_cndmask_b32_e64 v32, v32, v16, s[20:21]
	v_cndmask_b32_e64 v32, v32, v18, s[22:23]
	v_cndmask_b32_e64 v32, v32, v20, s[24:25]
	v_cndmask_b32_e64 v32, v32, v22, s[26:27]
	ds_read_b64 v[34:35], v97
	v_cndmask_b32_e64 v32, v32, v24, s[28:29]
	v_cndmask_b32_e64 v32, v32, v26, s[30:31]
	v_cndmask_b32_e64 v32, v32, v28, s[34:35]
	v_cndmask_b32_e64 v32, v32, v30, s[36:37]
	s_waitcnt lgkmcnt(0)
	v_mul_f64 v[32:33], v[32:33], v[34:35]
	s_cbranch_execz .LBB14_286
	s_branch .LBB14_287
.LBB14_285:
                                        ; implicit-def: $vgpr32_vgpr33
.LBB14_286:
	ds_read_b64 v[32:33], v97
.LBB14_287:
	v_cmp_ne_u32_e32 vcc, 8, v0
	s_and_saveexec_b64 s[40:41], vcc
	s_cbranch_execz .LBB14_303
; %bb.288:
	v_cmp_eq_u32_e32 vcc, 1, v36
	s_waitcnt vmcnt(1)
	v_cndmask_b32_e32 v34, v3, v5, vcc
	v_cmp_eq_u32_e64 s[10:11], 2, v36
	v_cndmask_b32_e64 v34, v34, v7, s[10:11]
	v_cmp_eq_u32_e64 s[12:13], 3, v36
	v_cndmask_b32_e64 v34, v34, v9, s[12:13]
	;; [unrolled: 2-line block ×12, first 2 shown]
	v_cmp_eq_u32_e64 s[36:37], 14, v36
	s_waitcnt vmcnt(0)
	v_cndmask_b32_e64 v35, v34, v31, s[36:37]
	v_cndmask_b32_e32 v34, v2, v4, vcc
	v_cndmask_b32_e64 v34, v34, v6, s[10:11]
	v_cndmask_b32_e64 v34, v34, v8, s[12:13]
	;; [unrolled: 1-line block ×9, first 2 shown]
	ds_read_b64 v[36:37], v97 offset:8
	v_cndmask_b32_e64 v34, v34, v24, s[28:29]
	v_cndmask_b32_e64 v34, v34, v26, s[30:31]
	;; [unrolled: 1-line block ×4, first 2 shown]
	s_waitcnt lgkmcnt(0)
	v_fmac_f64_e32 v[32:33], v[34:35], v[36:37]
	s_and_saveexec_b64 s[36:37], s[8:9]
	s_cbranch_execz .LBB14_302
; %bb.289:
	v_add_u32_e32 v34, 2, v0
	v_cmp_eq_u32_e32 vcc, 1, v34
	v_cndmask_b32_e32 v35, v3, v5, vcc
	v_cmp_eq_u32_e64 s[8:9], 2, v34
	v_cmp_eq_u32_e64 s[10:11], 3, v34
	;; [unrolled: 1-line block ×13, first 2 shown]
	v_cndmask_b32_e32 v34, v2, v4, vcc
	v_cndmask_b32_e64 v35, v35, v7, s[8:9]
	v_cndmask_b32_e64 v34, v34, v6, s[8:9]
	;; [unrolled: 1-line block ×18, first 2 shown]
	ds_read_b64 v[36:37], v97 offset:16
	v_cndmask_b32_e64 v35, v35, v25, s[26:27]
	v_cndmask_b32_e64 v34, v34, v24, s[26:27]
	;; [unrolled: 1-line block ×8, first 2 shown]
	s_waitcnt lgkmcnt(0)
	v_fmac_f64_e32 v[32:33], v[34:35], v[36:37]
	v_cmp_ne_u32_e32 vcc, 6, v0
	s_and_saveexec_b64 s[42:43], vcc
	s_cbranch_execz .LBB14_301
; %bb.290:
	v_add_u32_e32 v34, 3, v0
	v_cmp_eq_u32_e32 vcc, 1, v34
	v_cndmask_b32_e32 v35, v3, v5, vcc
	v_cmp_eq_u32_e64 s[8:9], 2, v34
	v_cmp_eq_u32_e64 s[10:11], 3, v34
	;; [unrolled: 1-line block ×13, first 2 shown]
	v_cndmask_b32_e32 v34, v2, v4, vcc
	v_cndmask_b32_e64 v35, v35, v7, s[8:9]
	v_cndmask_b32_e64 v34, v34, v6, s[8:9]
	;; [unrolled: 1-line block ×18, first 2 shown]
	ds_read_b64 v[36:37], v97 offset:24
	v_cndmask_b32_e64 v35, v35, v25, s[26:27]
	v_cndmask_b32_e64 v34, v34, v24, s[26:27]
	v_cndmask_b32_e64 v35, v35, v27, s[28:29]
	v_cndmask_b32_e64 v34, v34, v26, s[28:29]
	v_cndmask_b32_e64 v35, v35, v29, s[30:31]
	v_cndmask_b32_e64 v34, v34, v28, s[30:31]
	v_cndmask_b32_e64 v35, v35, v31, s[34:35]
	v_cndmask_b32_e64 v34, v34, v30, s[34:35]
	s_waitcnt lgkmcnt(0)
	v_fmac_f64_e32 v[32:33], v[34:35], v[36:37]
	s_and_saveexec_b64 s[34:35], s[6:7]
	s_cbranch_execz .LBB14_300
; %bb.291:
	v_add_u32_e32 v34, 4, v0
	v_cmp_eq_u32_e32 vcc, 1, v34
	v_cndmask_b32_e32 v35, v3, v5, vcc
	v_cmp_eq_u32_e64 s[6:7], 2, v34
	v_cmp_eq_u32_e64 s[8:9], 3, v34
	;; [unrolled: 1-line block ×13, first 2 shown]
	v_cndmask_b32_e32 v34, v2, v4, vcc
	v_cndmask_b32_e64 v35, v35, v7, s[6:7]
	v_cndmask_b32_e64 v34, v34, v6, s[6:7]
	;; [unrolled: 1-line block ×18, first 2 shown]
	ds_read_b64 v[36:37], v97 offset:32
	v_cndmask_b32_e64 v35, v35, v25, s[24:25]
	v_cndmask_b32_e64 v34, v34, v24, s[24:25]
	;; [unrolled: 1-line block ×8, first 2 shown]
	s_waitcnt lgkmcnt(0)
	v_fmac_f64_e32 v[32:33], v[34:35], v[36:37]
	v_cmp_ne_u32_e32 vcc, 4, v0
	s_and_saveexec_b64 s[44:45], vcc
	s_cbranch_execz .LBB14_299
; %bb.292:
	v_add_u32_e32 v34, 5, v0
	v_cmp_eq_u32_e32 vcc, 1, v34
	v_cndmask_b32_e32 v35, v3, v5, vcc
	v_cmp_eq_u32_e64 s[6:7], 2, v34
	v_cmp_eq_u32_e64 s[8:9], 3, v34
	;; [unrolled: 1-line block ×13, first 2 shown]
	v_cndmask_b32_e32 v34, v2, v4, vcc
	v_cndmask_b32_e64 v35, v35, v7, s[6:7]
	v_cndmask_b32_e64 v34, v34, v6, s[6:7]
	v_cndmask_b32_e64 v35, v35, v9, s[8:9]
	v_cndmask_b32_e64 v34, v34, v8, s[8:9]
	v_cndmask_b32_e64 v35, v35, v11, s[10:11]
	v_cndmask_b32_e64 v34, v34, v10, s[10:11]
	v_cndmask_b32_e64 v35, v35, v13, s[12:13]
	v_cndmask_b32_e64 v34, v34, v12, s[12:13]
	v_cndmask_b32_e64 v35, v35, v15, s[14:15]
	v_cndmask_b32_e64 v34, v34, v14, s[14:15]
	v_cndmask_b32_e64 v35, v35, v17, s[16:17]
	v_cndmask_b32_e64 v34, v34, v16, s[16:17]
	v_cndmask_b32_e64 v35, v35, v19, s[18:19]
	v_cndmask_b32_e64 v34, v34, v18, s[18:19]
	v_cndmask_b32_e64 v35, v35, v21, s[20:21]
	v_cndmask_b32_e64 v34, v34, v20, s[20:21]
	v_cndmask_b32_e64 v35, v35, v23, s[22:23]
	v_cndmask_b32_e64 v34, v34, v22, s[22:23]
	ds_read_b64 v[36:37], v97 offset:40
	v_cndmask_b32_e64 v35, v35, v25, s[24:25]
	v_cndmask_b32_e64 v34, v34, v24, s[24:25]
	;; [unrolled: 1-line block ×8, first 2 shown]
	s_waitcnt lgkmcnt(0)
	v_fmac_f64_e32 v[32:33], v[34:35], v[36:37]
	s_and_saveexec_b64 s[30:31], s[4:5]
	s_cbranch_execz .LBB14_298
; %bb.293:
	v_add_u32_e32 v34, 6, v0
	v_cmp_eq_u32_e32 vcc, 1, v34
	v_cndmask_b32_e32 v35, v3, v5, vcc
	v_cmp_eq_u32_e64 s[4:5], 2, v34
	v_cmp_eq_u32_e64 s[6:7], 3, v34
	;; [unrolled: 1-line block ×13, first 2 shown]
	v_cndmask_b32_e32 v34, v2, v4, vcc
	v_cndmask_b32_e64 v35, v35, v7, s[4:5]
	v_cndmask_b32_e64 v34, v34, v6, s[4:5]
	;; [unrolled: 1-line block ×18, first 2 shown]
	ds_read_b64 v[36:37], v97 offset:48
	v_cndmask_b32_e64 v35, v35, v25, s[22:23]
	v_cndmask_b32_e64 v34, v34, v24, s[22:23]
	;; [unrolled: 1-line block ×8, first 2 shown]
	s_waitcnt lgkmcnt(0)
	v_fmac_f64_e32 v[32:33], v[34:35], v[36:37]
	v_cmp_ne_u32_e32 vcc, 2, v0
	s_and_saveexec_b64 s[46:47], vcc
	s_cbranch_execz .LBB14_297
; %bb.294:
	v_add_u32_e32 v34, 7, v0
	v_cmp_eq_u32_e32 vcc, 1, v34
	v_cndmask_b32_e32 v35, v3, v5, vcc
	v_cmp_eq_u32_e64 s[4:5], 2, v34
	v_cmp_eq_u32_e64 s[6:7], 3, v34
	;; [unrolled: 1-line block ×13, first 2 shown]
	v_cndmask_b32_e32 v34, v2, v4, vcc
	v_cndmask_b32_e64 v35, v35, v7, s[4:5]
	v_cndmask_b32_e64 v34, v34, v6, s[4:5]
	;; [unrolled: 1-line block ×18, first 2 shown]
	ds_read_b64 v[34:35], v97 offset:56
	v_cndmask_b32_e64 v21, v21, v25, s[22:23]
	v_cndmask_b32_e64 v20, v20, v24, s[22:23]
	v_cndmask_b32_e64 v21, v21, v27, s[24:25]
	v_cndmask_b32_e64 v20, v20, v26, s[24:25]
	v_cndmask_b32_e64 v21, v21, v29, s[26:27]
	v_cndmask_b32_e64 v20, v20, v28, s[26:27]
	v_cndmask_b32_e64 v21, v21, v31, s[28:29]
	v_cndmask_b32_e64 v20, v20, v30, s[28:29]
	s_waitcnt lgkmcnt(0)
	v_fmac_f64_e32 v[32:33], v[20:21], v[34:35]
	s_and_saveexec_b64 s[4:5], s[2:3]
	s_cbranch_execz .LBB14_296
; %bb.295:
	ds_read_b64 v[20:21], v97 offset:64
	s_waitcnt lgkmcnt(0)
	v_fmac_f64_e32 v[32:33], v[18:19], v[20:21]
.LBB14_296:
	s_or_b64 exec, exec, s[4:5]
.LBB14_297:
	s_or_b64 exec, exec, s[46:47]
.LBB14_298:
	s_or_b64 exec, exec, s[30:31]
.LBB14_299:
	s_or_b64 exec, exec, s[44:45]
.LBB14_300:
	s_or_b64 exec, exec, s[34:35]
.LBB14_301:
	s_or_b64 exec, exec, s[42:43]
.LBB14_302:
	s_or_b64 exec, exec, s[36:37]
.LBB14_303:
	s_or_b64 exec, exec, s[40:41]
	v_mov_b32_e32 v20, 0
	ds_read_b64 v[20:21], v20 offset:72
	s_waitcnt lgkmcnt(0)
	v_mul_f64 v[20:21], v[32:33], v[20:21]
.LBB14_304:
	s_or_b64 exec, exec, s[38:39]
	v_cmp_gt_u32_e32 vcc, 10, v0
	s_waitcnt vmcnt(5)
	ds_write_b64 v97, v[22:23]
	s_waitcnt lgkmcnt(0)
	; wave barrier
	s_waitcnt lgkmcnt(0)
	s_and_saveexec_b64 s[28:29], vcc
	s_cbranch_execz .LBB14_314
; %bb.305:
	s_and_b64 vcc, exec, s[0:1]
	s_cbranch_vccnz .LBB14_307
; %bb.306:
	v_cmp_eq_u32_e32 vcc, 1, v0
	s_waitcnt vmcnt(1)
	v_cndmask_b32_e32 v32, v3, v5, vcc
	v_cmp_eq_u32_e64 s[2:3], 2, v0
	v_cndmask_b32_e64 v32, v32, v7, s[2:3]
	v_cmp_eq_u32_e64 s[4:5], 3, v0
	v_cndmask_b32_e64 v32, v32, v9, s[4:5]
	;; [unrolled: 2-line block ×12, first 2 shown]
	v_cmp_eq_u32_e64 s[26:27], 14, v0
	s_waitcnt vmcnt(0)
	v_cndmask_b32_e64 v33, v32, v31, s[26:27]
	v_cndmask_b32_e32 v32, v2, v4, vcc
	v_cndmask_b32_e64 v32, v32, v6, s[2:3]
	v_cndmask_b32_e64 v32, v32, v8, s[4:5]
	;; [unrolled: 1-line block ×9, first 2 shown]
	ds_read_b64 v[34:35], v97
	v_cndmask_b32_e64 v32, v32, v24, s[20:21]
	v_cndmask_b32_e64 v32, v32, v26, s[22:23]
	;; [unrolled: 1-line block ×4, first 2 shown]
	s_waitcnt lgkmcnt(0)
	v_mul_f64 v[32:33], v[32:33], v[34:35]
	s_cbranch_execz .LBB14_308
	s_branch .LBB14_309
.LBB14_307:
                                        ; implicit-def: $vgpr32_vgpr33
.LBB14_308:
	ds_read_b64 v[32:33], v97
.LBB14_309:
	v_cmp_ne_u32_e32 vcc, 9, v0
	s_and_saveexec_b64 s[6:7], vcc
	s_cbranch_execz .LBB14_313
; %bb.310:
	v_mov_b32_e32 v34, 0x88
	v_lshl_add_u32 v36, v0, 3, v34
	s_mov_b64 s[8:9], 0
	v_pk_mov_b32 v[34:35], v[0:1], v[0:1] op_sel:[0,1]
.LBB14_311:                             ; =>This Inner Loop Header: Depth=1
	v_add_co_u32_e32 v34, vcc, 1, v34
	v_addc_co_u32_e32 v35, vcc, 0, v35, vcc
	v_cmp_eq_u32_e32 vcc, 1, v34
	s_waitcnt vmcnt(1)
	v_cndmask_b32_e32 v37, v3, v5, vcc
	v_cmp_eq_u32_e64 s[4:5], 2, v34
	v_cmp_lt_u32_e64 s[2:3], 8, v34
	v_cndmask_b32_e64 v37, v37, v7, s[4:5]
	v_cndmask_b32_e32 v40, v2, v4, vcc
	v_cmp_eq_u32_e32 vcc, 3, v34
	s_or_b64 s[8:9], s[2:3], s[8:9]
	v_cndmask_b32_e32 v37, v37, v9, vcc
	v_cndmask_b32_e64 v40, v40, v6, s[4:5]
	v_cmp_eq_u32_e64 s[2:3], 4, v34
	v_cndmask_b32_e64 v37, v37, v11, s[2:3]
	v_cndmask_b32_e32 v40, v40, v8, vcc
	v_cmp_eq_u32_e32 vcc, 5, v34
	v_cndmask_b32_e32 v37, v37, v13, vcc
	v_cndmask_b32_e64 v40, v40, v10, s[2:3]
	v_cmp_eq_u32_e64 s[2:3], 6, v34
	v_cndmask_b32_e64 v37, v37, v15, s[2:3]
	v_cndmask_b32_e32 v40, v40, v12, vcc
	v_cmp_eq_u32_e32 vcc, 7, v34
	;; [unrolled: 6-line block ×4, first 2 shown]
	ds_read_b64 v[38:39], v36
	v_cndmask_b32_e32 v37, v37, v25, vcc
	v_cndmask_b32_e64 v40, v40, v22, s[2:3]
	v_cmp_eq_u32_e64 s[2:3], 12, v34
	v_cndmask_b32_e64 v37, v37, v27, s[2:3]
	v_cndmask_b32_e32 v40, v40, v24, vcc
	v_cmp_eq_u32_e32 vcc, 13, v34
	v_cndmask_b32_e32 v37, v37, v29, vcc
	v_cndmask_b32_e64 v40, v40, v26, s[2:3]
	v_cmp_eq_u32_e64 s[2:3], 14, v34
	s_waitcnt vmcnt(0)
	v_cndmask_b32_e64 v41, v37, v31, s[2:3]
	v_cndmask_b32_e32 v37, v40, v28, vcc
	v_cndmask_b32_e64 v40, v37, v30, s[2:3]
	v_add_u32_e32 v36, 8, v36
	s_waitcnt lgkmcnt(0)
	v_fmac_f64_e32 v[32:33], v[40:41], v[38:39]
	s_andn2_b64 exec, exec, s[8:9]
	s_cbranch_execnz .LBB14_311
; %bb.312:
	s_or_b64 exec, exec, s[8:9]
.LBB14_313:
	s_or_b64 exec, exec, s[6:7]
	v_mov_b32_e32 v22, 0
	ds_read_b64 v[22:23], v22 offset:80
	s_waitcnt lgkmcnt(0)
	v_mul_f64 v[22:23], v[32:33], v[22:23]
.LBB14_314:
	s_or_b64 exec, exec, s[28:29]
	v_cmp_gt_u32_e32 vcc, 11, v0
	s_waitcnt vmcnt(4)
	ds_write_b64 v97, v[24:25]
	s_waitcnt lgkmcnt(0)
	; wave barrier
	s_waitcnt lgkmcnt(0)
	s_and_saveexec_b64 s[28:29], vcc
	s_cbranch_execz .LBB14_324
; %bb.315:
	s_and_b64 vcc, exec, s[0:1]
	s_cbranch_vccnz .LBB14_317
; %bb.316:
	v_cmp_eq_u32_e32 vcc, 1, v0
	s_waitcnt vmcnt(1)
	v_cndmask_b32_e32 v32, v3, v5, vcc
	v_cmp_eq_u32_e64 s[2:3], 2, v0
	v_cndmask_b32_e64 v32, v32, v7, s[2:3]
	v_cmp_eq_u32_e64 s[4:5], 3, v0
	v_cndmask_b32_e64 v32, v32, v9, s[4:5]
	;; [unrolled: 2-line block ×12, first 2 shown]
	v_cmp_eq_u32_e64 s[26:27], 14, v0
	s_waitcnt vmcnt(0)
	v_cndmask_b32_e64 v33, v32, v31, s[26:27]
	v_cndmask_b32_e32 v32, v2, v4, vcc
	v_cndmask_b32_e64 v32, v32, v6, s[2:3]
	v_cndmask_b32_e64 v32, v32, v8, s[4:5]
	;; [unrolled: 1-line block ×9, first 2 shown]
	ds_read_b64 v[34:35], v97
	v_cndmask_b32_e64 v32, v32, v24, s[20:21]
	v_cndmask_b32_e64 v32, v32, v26, s[22:23]
	;; [unrolled: 1-line block ×4, first 2 shown]
	s_waitcnt lgkmcnt(0)
	v_mul_f64 v[32:33], v[32:33], v[34:35]
	s_cbranch_execz .LBB14_318
	s_branch .LBB14_319
.LBB14_317:
                                        ; implicit-def: $vgpr32_vgpr33
.LBB14_318:
	ds_read_b64 v[32:33], v97
.LBB14_319:
	v_cmp_ne_u32_e32 vcc, 10, v0
	s_and_saveexec_b64 s[6:7], vcc
	s_cbranch_execz .LBB14_323
; %bb.320:
	v_mov_b32_e32 v34, 0x88
	v_lshl_add_u32 v36, v0, 3, v34
	s_mov_b64 s[8:9], 0
	v_pk_mov_b32 v[34:35], v[0:1], v[0:1] op_sel:[0,1]
.LBB14_321:                             ; =>This Inner Loop Header: Depth=1
	v_add_co_u32_e32 v34, vcc, 1, v34
	v_addc_co_u32_e32 v35, vcc, 0, v35, vcc
	v_cmp_eq_u32_e32 vcc, 1, v34
	s_waitcnt vmcnt(1)
	v_cndmask_b32_e32 v37, v3, v5, vcc
	v_cmp_eq_u32_e64 s[4:5], 2, v34
	v_cmp_lt_u32_e64 s[2:3], 9, v34
	v_cndmask_b32_e64 v37, v37, v7, s[4:5]
	v_cndmask_b32_e32 v40, v2, v4, vcc
	v_cmp_eq_u32_e32 vcc, 3, v34
	s_or_b64 s[8:9], s[2:3], s[8:9]
	v_cndmask_b32_e32 v37, v37, v9, vcc
	v_cndmask_b32_e64 v40, v40, v6, s[4:5]
	v_cmp_eq_u32_e64 s[2:3], 4, v34
	v_cndmask_b32_e64 v37, v37, v11, s[2:3]
	v_cndmask_b32_e32 v40, v40, v8, vcc
	v_cmp_eq_u32_e32 vcc, 5, v34
	v_cndmask_b32_e32 v37, v37, v13, vcc
	v_cndmask_b32_e64 v40, v40, v10, s[2:3]
	v_cmp_eq_u32_e64 s[2:3], 6, v34
	v_cndmask_b32_e64 v37, v37, v15, s[2:3]
	v_cndmask_b32_e32 v40, v40, v12, vcc
	v_cmp_eq_u32_e32 vcc, 7, v34
	;; [unrolled: 6-line block ×4, first 2 shown]
	ds_read_b64 v[38:39], v36
	v_cndmask_b32_e32 v37, v37, v25, vcc
	v_cndmask_b32_e64 v40, v40, v22, s[2:3]
	v_cmp_eq_u32_e64 s[2:3], 12, v34
	v_cndmask_b32_e64 v37, v37, v27, s[2:3]
	v_cndmask_b32_e32 v40, v40, v24, vcc
	v_cmp_eq_u32_e32 vcc, 13, v34
	v_cndmask_b32_e32 v37, v37, v29, vcc
	v_cndmask_b32_e64 v40, v40, v26, s[2:3]
	v_cmp_eq_u32_e64 s[2:3], 14, v34
	s_waitcnt vmcnt(0)
	v_cndmask_b32_e64 v41, v37, v31, s[2:3]
	v_cndmask_b32_e32 v37, v40, v28, vcc
	v_cndmask_b32_e64 v40, v37, v30, s[2:3]
	v_add_u32_e32 v36, 8, v36
	s_waitcnt lgkmcnt(0)
	v_fmac_f64_e32 v[32:33], v[40:41], v[38:39]
	s_andn2_b64 exec, exec, s[8:9]
	s_cbranch_execnz .LBB14_321
; %bb.322:
	s_or_b64 exec, exec, s[8:9]
.LBB14_323:
	s_or_b64 exec, exec, s[6:7]
	v_mov_b32_e32 v24, 0
	ds_read_b64 v[24:25], v24 offset:88
	s_waitcnt lgkmcnt(0)
	v_mul_f64 v[24:25], v[32:33], v[24:25]
.LBB14_324:
	s_or_b64 exec, exec, s[28:29]
	v_cmp_gt_u32_e32 vcc, 12, v0
	s_waitcnt vmcnt(3)
	ds_write_b64 v97, v[26:27]
	s_waitcnt lgkmcnt(0)
	; wave barrier
	s_waitcnt lgkmcnt(0)
	s_and_saveexec_b64 s[28:29], vcc
	s_cbranch_execz .LBB14_334
; %bb.325:
	s_and_b64 vcc, exec, s[0:1]
	s_cbranch_vccnz .LBB14_327
; %bb.326:
	v_cmp_eq_u32_e32 vcc, 1, v0
	s_waitcnt vmcnt(1)
	v_cndmask_b32_e32 v32, v3, v5, vcc
	v_cmp_eq_u32_e64 s[2:3], 2, v0
	v_cndmask_b32_e64 v32, v32, v7, s[2:3]
	v_cmp_eq_u32_e64 s[4:5], 3, v0
	v_cndmask_b32_e64 v32, v32, v9, s[4:5]
	;; [unrolled: 2-line block ×12, first 2 shown]
	v_cmp_eq_u32_e64 s[26:27], 14, v0
	s_waitcnt vmcnt(0)
	v_cndmask_b32_e64 v33, v32, v31, s[26:27]
	v_cndmask_b32_e32 v32, v2, v4, vcc
	v_cndmask_b32_e64 v32, v32, v6, s[2:3]
	v_cndmask_b32_e64 v32, v32, v8, s[4:5]
	;; [unrolled: 1-line block ×9, first 2 shown]
	ds_read_b64 v[34:35], v97
	v_cndmask_b32_e64 v32, v32, v24, s[20:21]
	v_cndmask_b32_e64 v32, v32, v26, s[22:23]
	;; [unrolled: 1-line block ×4, first 2 shown]
	s_waitcnt lgkmcnt(0)
	v_mul_f64 v[32:33], v[32:33], v[34:35]
	s_cbranch_execz .LBB14_328
	s_branch .LBB14_329
.LBB14_327:
                                        ; implicit-def: $vgpr32_vgpr33
.LBB14_328:
	ds_read_b64 v[32:33], v97
.LBB14_329:
	v_cmp_ne_u32_e32 vcc, 11, v0
	s_and_saveexec_b64 s[6:7], vcc
	s_cbranch_execz .LBB14_333
; %bb.330:
	v_mov_b32_e32 v34, 0x88
	v_lshl_add_u32 v36, v0, 3, v34
	s_mov_b64 s[8:9], 0
	v_pk_mov_b32 v[34:35], v[0:1], v[0:1] op_sel:[0,1]
.LBB14_331:                             ; =>This Inner Loop Header: Depth=1
	v_add_co_u32_e32 v34, vcc, 1, v34
	v_addc_co_u32_e32 v35, vcc, 0, v35, vcc
	v_cmp_eq_u32_e32 vcc, 1, v34
	s_waitcnt vmcnt(1)
	v_cndmask_b32_e32 v37, v3, v5, vcc
	v_cmp_eq_u32_e64 s[4:5], 2, v34
	v_cmp_lt_u32_e64 s[2:3], 10, v34
	v_cndmask_b32_e64 v37, v37, v7, s[4:5]
	v_cndmask_b32_e32 v40, v2, v4, vcc
	v_cmp_eq_u32_e32 vcc, 3, v34
	s_or_b64 s[8:9], s[2:3], s[8:9]
	v_cndmask_b32_e32 v37, v37, v9, vcc
	v_cndmask_b32_e64 v40, v40, v6, s[4:5]
	v_cmp_eq_u32_e64 s[2:3], 4, v34
	v_cndmask_b32_e64 v37, v37, v11, s[2:3]
	v_cndmask_b32_e32 v40, v40, v8, vcc
	v_cmp_eq_u32_e32 vcc, 5, v34
	v_cndmask_b32_e32 v37, v37, v13, vcc
	v_cndmask_b32_e64 v40, v40, v10, s[2:3]
	v_cmp_eq_u32_e64 s[2:3], 6, v34
	v_cndmask_b32_e64 v37, v37, v15, s[2:3]
	v_cndmask_b32_e32 v40, v40, v12, vcc
	v_cmp_eq_u32_e32 vcc, 7, v34
	;; [unrolled: 6-line block ×4, first 2 shown]
	ds_read_b64 v[38:39], v36
	v_cndmask_b32_e32 v37, v37, v25, vcc
	v_cndmask_b32_e64 v40, v40, v22, s[2:3]
	v_cmp_eq_u32_e64 s[2:3], 12, v34
	v_cndmask_b32_e64 v37, v37, v27, s[2:3]
	v_cndmask_b32_e32 v40, v40, v24, vcc
	v_cmp_eq_u32_e32 vcc, 13, v34
	v_cndmask_b32_e32 v37, v37, v29, vcc
	v_cndmask_b32_e64 v40, v40, v26, s[2:3]
	v_cmp_eq_u32_e64 s[2:3], 14, v34
	s_waitcnt vmcnt(0)
	v_cndmask_b32_e64 v41, v37, v31, s[2:3]
	v_cndmask_b32_e32 v37, v40, v28, vcc
	v_cndmask_b32_e64 v40, v37, v30, s[2:3]
	v_add_u32_e32 v36, 8, v36
	s_waitcnt lgkmcnt(0)
	v_fmac_f64_e32 v[32:33], v[40:41], v[38:39]
	s_andn2_b64 exec, exec, s[8:9]
	s_cbranch_execnz .LBB14_331
; %bb.332:
	s_or_b64 exec, exec, s[8:9]
.LBB14_333:
	s_or_b64 exec, exec, s[6:7]
	v_mov_b32_e32 v26, 0
	ds_read_b64 v[26:27], v26 offset:96
	s_waitcnt lgkmcnt(0)
	v_mul_f64 v[26:27], v[32:33], v[26:27]
.LBB14_334:
	s_or_b64 exec, exec, s[28:29]
	v_cmp_gt_u32_e64 s[2:3], 13, v0
	s_waitcnt vmcnt(2)
	ds_write_b64 v97, v[28:29]
	s_waitcnt lgkmcnt(0)
	; wave barrier
	s_waitcnt lgkmcnt(0)
	s_and_saveexec_b64 s[30:31], s[2:3]
	s_cbranch_execz .LBB14_344
; %bb.335:
	s_and_b64 vcc, exec, s[0:1]
	s_cbranch_vccnz .LBB14_337
; %bb.336:
	v_cmp_eq_u32_e32 vcc, 1, v0
	s_waitcnt vmcnt(1)
	v_cndmask_b32_e32 v32, v3, v5, vcc
	v_cmp_eq_u32_e64 s[4:5], 2, v0
	v_cndmask_b32_e64 v32, v32, v7, s[4:5]
	v_cmp_eq_u32_e64 s[6:7], 3, v0
	v_cndmask_b32_e64 v32, v32, v9, s[6:7]
	;; [unrolled: 2-line block ×12, first 2 shown]
	v_cmp_eq_u32_e64 s[28:29], 14, v0
	s_waitcnt vmcnt(0)
	v_cndmask_b32_e64 v33, v32, v31, s[28:29]
	v_cndmask_b32_e32 v32, v2, v4, vcc
	v_cndmask_b32_e64 v32, v32, v6, s[4:5]
	v_cndmask_b32_e64 v32, v32, v8, s[6:7]
	v_cndmask_b32_e64 v32, v32, v10, s[8:9]
	v_cndmask_b32_e64 v32, v32, v12, s[10:11]
	v_cndmask_b32_e64 v32, v32, v14, s[12:13]
	v_cndmask_b32_e64 v32, v32, v16, s[14:15]
	v_cndmask_b32_e64 v32, v32, v18, s[16:17]
	v_cndmask_b32_e64 v32, v32, v20, s[18:19]
	v_cndmask_b32_e64 v32, v32, v22, s[20:21]
	ds_read_b64 v[34:35], v97
	v_cndmask_b32_e64 v32, v32, v24, s[22:23]
	v_cndmask_b32_e64 v32, v32, v26, s[24:25]
	;; [unrolled: 1-line block ×4, first 2 shown]
	s_waitcnt lgkmcnt(0)
	v_mul_f64 v[32:33], v[32:33], v[34:35]
	s_cbranch_execz .LBB14_338
	s_branch .LBB14_339
.LBB14_337:
                                        ; implicit-def: $vgpr32_vgpr33
.LBB14_338:
	ds_read_b64 v[32:33], v97
.LBB14_339:
	v_cmp_ne_u32_e32 vcc, 12, v0
	s_and_saveexec_b64 s[8:9], vcc
	s_cbranch_execz .LBB14_343
; %bb.340:
	v_mov_b32_e32 v34, 0x88
	v_lshl_add_u32 v36, v0, 3, v34
	s_mov_b64 s[10:11], 0
	v_pk_mov_b32 v[34:35], v[0:1], v[0:1] op_sel:[0,1]
.LBB14_341:                             ; =>This Inner Loop Header: Depth=1
	v_add_co_u32_e32 v34, vcc, 1, v34
	v_addc_co_u32_e32 v35, vcc, 0, v35, vcc
	v_cmp_eq_u32_e32 vcc, 1, v34
	s_waitcnt vmcnt(1)
	v_cndmask_b32_e32 v37, v3, v5, vcc
	v_cmp_eq_u32_e64 s[6:7], 2, v34
	v_cmp_lt_u32_e64 s[4:5], 11, v34
	v_cndmask_b32_e64 v37, v37, v7, s[6:7]
	v_cndmask_b32_e32 v40, v2, v4, vcc
	v_cmp_eq_u32_e32 vcc, 3, v34
	s_or_b64 s[10:11], s[4:5], s[10:11]
	v_cndmask_b32_e32 v37, v37, v9, vcc
	v_cndmask_b32_e64 v40, v40, v6, s[6:7]
	v_cmp_eq_u32_e64 s[4:5], 4, v34
	v_cndmask_b32_e64 v37, v37, v11, s[4:5]
	v_cndmask_b32_e32 v40, v40, v8, vcc
	v_cmp_eq_u32_e32 vcc, 5, v34
	v_cndmask_b32_e32 v37, v37, v13, vcc
	v_cndmask_b32_e64 v40, v40, v10, s[4:5]
	v_cmp_eq_u32_e64 s[4:5], 6, v34
	v_cndmask_b32_e64 v37, v37, v15, s[4:5]
	v_cndmask_b32_e32 v40, v40, v12, vcc
	v_cmp_eq_u32_e32 vcc, 7, v34
	;; [unrolled: 6-line block ×4, first 2 shown]
	ds_read_b64 v[38:39], v36
	v_cndmask_b32_e32 v37, v37, v25, vcc
	v_cndmask_b32_e64 v40, v40, v22, s[4:5]
	v_cmp_eq_u32_e64 s[4:5], 12, v34
	v_cndmask_b32_e64 v37, v37, v27, s[4:5]
	v_cndmask_b32_e32 v40, v40, v24, vcc
	v_cmp_eq_u32_e32 vcc, 13, v34
	v_cndmask_b32_e32 v37, v37, v29, vcc
	v_cndmask_b32_e64 v40, v40, v26, s[4:5]
	v_cmp_eq_u32_e64 s[4:5], 14, v34
	s_waitcnt vmcnt(0)
	v_cndmask_b32_e64 v41, v37, v31, s[4:5]
	v_cndmask_b32_e32 v37, v40, v28, vcc
	v_cndmask_b32_e64 v40, v37, v30, s[4:5]
	v_add_u32_e32 v36, 8, v36
	s_waitcnt lgkmcnt(0)
	v_fmac_f64_e32 v[32:33], v[40:41], v[38:39]
	s_andn2_b64 exec, exec, s[10:11]
	s_cbranch_execnz .LBB14_341
; %bb.342:
	s_or_b64 exec, exec, s[10:11]
.LBB14_343:
	s_or_b64 exec, exec, s[8:9]
	v_mov_b32_e32 v28, 0
	ds_read_b64 v[28:29], v28 offset:104
	s_waitcnt lgkmcnt(0)
	v_mul_f64 v[28:29], v[32:33], v[28:29]
.LBB14_344:
	s_or_b64 exec, exec, s[30:31]
	v_cmp_ne_u32_e32 vcc, 14, v0
	s_waitcnt vmcnt(0)
	ds_write_b64 v97, v[30:31]
	s_waitcnt lgkmcnt(0)
	; wave barrier
	s_waitcnt lgkmcnt(0)
	s_and_saveexec_b64 s[28:29], vcc
	s_cbranch_execz .LBB14_354
; %bb.345:
	s_and_b64 vcc, exec, s[0:1]
	s_cbranch_vccnz .LBB14_347
; %bb.346:
	v_cmp_eq_u32_e32 vcc, 1, v0
	v_cndmask_b32_e32 v32, v3, v5, vcc
	v_cmp_eq_u32_e64 s[0:1], 2, v0
	v_cndmask_b32_e64 v32, v32, v7, s[0:1]
	v_cmp_eq_u32_e64 s[4:5], 3, v0
	v_cndmask_b32_e64 v32, v32, v9, s[4:5]
	;; [unrolled: 2-line block ×13, first 2 shown]
	v_cndmask_b32_e32 v32, v2, v4, vcc
	v_cndmask_b32_e64 v32, v32, v6, s[0:1]
	v_cndmask_b32_e64 v32, v32, v8, s[4:5]
	;; [unrolled: 1-line block ×9, first 2 shown]
	ds_read_b64 v[34:35], v97
	v_cndmask_b32_e64 v32, v32, v24, s[20:21]
	v_cndmask_b32_e64 v32, v32, v26, s[22:23]
	;; [unrolled: 1-line block ×4, first 2 shown]
	s_waitcnt lgkmcnt(0)
	v_mul_f64 v[32:33], v[32:33], v[34:35]
	s_cbranch_execz .LBB14_348
	s_branch .LBB14_349
.LBB14_347:
                                        ; implicit-def: $vgpr32_vgpr33
.LBB14_348:
	ds_read_b64 v[32:33], v97
.LBB14_349:
	s_and_saveexec_b64 s[4:5], s[2:3]
	s_cbranch_execz .LBB14_353
; %bb.350:
	v_mov_b32_e32 v34, 0x88
	v_lshl_add_u32 v34, v0, 3, v34
	s_mov_b64 s[6:7], 0
.LBB14_351:                             ; =>This Inner Loop Header: Depth=1
	v_add_co_u32_e32 v0, vcc, 1, v0
	v_addc_co_u32_e32 v1, vcc, 0, v1, vcc
	v_cmp_eq_u32_e32 vcc, 1, v0
	v_cndmask_b32_e32 v35, v3, v5, vcc
	v_cmp_eq_u32_e64 s[2:3], 2, v0
	v_cmp_lt_u32_e64 s[0:1], 12, v0
	v_cndmask_b32_e64 v35, v35, v7, s[2:3]
	v_cndmask_b32_e32 v38, v2, v4, vcc
	v_cmp_eq_u32_e32 vcc, 3, v0
	s_or_b64 s[6:7], s[0:1], s[6:7]
	v_cndmask_b32_e32 v35, v35, v9, vcc
	v_cndmask_b32_e64 v38, v38, v6, s[2:3]
	v_cmp_eq_u32_e64 s[0:1], 4, v0
	v_cndmask_b32_e64 v35, v35, v11, s[0:1]
	v_cndmask_b32_e32 v38, v38, v8, vcc
	v_cmp_eq_u32_e32 vcc, 5, v0
	v_cndmask_b32_e32 v35, v35, v13, vcc
	v_cndmask_b32_e64 v38, v38, v10, s[0:1]
	v_cmp_eq_u32_e64 s[0:1], 6, v0
	v_cndmask_b32_e64 v35, v35, v15, s[0:1]
	v_cndmask_b32_e32 v38, v38, v12, vcc
	v_cmp_eq_u32_e32 vcc, 7, v0
	;; [unrolled: 6-line block ×4, first 2 shown]
	ds_read_b64 v[36:37], v34
	v_cndmask_b32_e32 v35, v35, v25, vcc
	v_cndmask_b32_e64 v38, v38, v22, s[0:1]
	v_cmp_eq_u32_e64 s[0:1], 12, v0
	v_cndmask_b32_e64 v35, v35, v27, s[0:1]
	v_cndmask_b32_e32 v38, v38, v24, vcc
	v_cmp_eq_u32_e32 vcc, 13, v0
	v_cndmask_b32_e32 v35, v35, v29, vcc
	v_cndmask_b32_e64 v38, v38, v26, s[0:1]
	v_cmp_eq_u32_e64 s[0:1], 14, v0
	v_cndmask_b32_e64 v39, v35, v31, s[0:1]
	v_cndmask_b32_e32 v35, v38, v28, vcc
	v_cndmask_b32_e64 v38, v35, v30, s[0:1]
	v_add_u32_e32 v34, 8, v34
	s_waitcnt lgkmcnt(0)
	v_fmac_f64_e32 v[32:33], v[38:39], v[36:37]
	s_andn2_b64 exec, exec, s[6:7]
	s_cbranch_execnz .LBB14_351
; %bb.352:
	s_or_b64 exec, exec, s[6:7]
.LBB14_353:
	s_or_b64 exec, exec, s[4:5]
	v_mov_b32_e32 v0, 0
	ds_read_b64 v[0:1], v0 offset:112
	s_waitcnt lgkmcnt(0)
	v_mul_f64 v[30:31], v[32:33], v[0:1]
.LBB14_354:
	s_or_b64 exec, exec, s[28:29]
	v_pk_mov_b32 v[62:63], v[32:33], v[32:33] op_sel:[0,1]
	v_pk_mov_b32 v[60:61], v[30:31], v[30:31] op_sel:[0,1]
	;; [unrolled: 1-line block ×16, first 2 shown]
.LBB14_355:
	global_store_dwordx2 v[64:65], v[32:33], off
	global_store_dwordx2 v[66:67], v[34:35], off
	global_store_dwordx2 v[68:69], v[36:37], off
	global_store_dwordx2 v[70:71], v[38:39], off
	global_store_dwordx2 v[72:73], v[40:41], off
	global_store_dwordx2 v[74:75], v[42:43], off
	global_store_dwordx2 v[76:77], v[44:45], off
	global_store_dwordx2 v[78:79], v[46:47], off
	global_store_dwordx2 v[80:81], v[48:49], off
	global_store_dwordx2 v[82:83], v[50:51], off
	global_store_dwordx2 v[84:85], v[52:53], off
	global_store_dwordx2 v[86:87], v[54:55], off
	global_store_dwordx2 v[88:89], v[56:57], off
	global_store_dwordx2 v[90:91], v[58:59], off
	global_store_dwordx2 v[92:93], v[60:61], off
.LBB14_356:
	s_endpgm
	.section	.rodata,"a",@progbits
	.p2align	6, 0x0
	.amdhsa_kernel _ZN9rocsolver6v33100L18trti2_kernel_smallILi15EdPdEEv13rocblas_fill_17rocblas_diagonal_T1_iil
		.amdhsa_group_segment_fixed_size 248
		.amdhsa_private_segment_fixed_size 0
		.amdhsa_kernarg_size 32
		.amdhsa_user_sgpr_count 6
		.amdhsa_user_sgpr_private_segment_buffer 1
		.amdhsa_user_sgpr_dispatch_ptr 0
		.amdhsa_user_sgpr_queue_ptr 0
		.amdhsa_user_sgpr_kernarg_segment_ptr 1
		.amdhsa_user_sgpr_dispatch_id 0
		.amdhsa_user_sgpr_flat_scratch_init 0
		.amdhsa_user_sgpr_kernarg_preload_length 0
		.amdhsa_user_sgpr_kernarg_preload_offset 0
		.amdhsa_user_sgpr_private_segment_size 0
		.amdhsa_uses_dynamic_stack 0
		.amdhsa_system_sgpr_private_segment_wavefront_offset 0
		.amdhsa_system_sgpr_workgroup_id_x 1
		.amdhsa_system_sgpr_workgroup_id_y 0
		.amdhsa_system_sgpr_workgroup_id_z 0
		.amdhsa_system_sgpr_workgroup_info 0
		.amdhsa_system_vgpr_workitem_id 0
		.amdhsa_next_free_vgpr 122
		.amdhsa_next_free_sgpr 48
		.amdhsa_accum_offset 124
		.amdhsa_reserve_vcc 1
		.amdhsa_reserve_flat_scratch 0
		.amdhsa_float_round_mode_32 0
		.amdhsa_float_round_mode_16_64 0
		.amdhsa_float_denorm_mode_32 3
		.amdhsa_float_denorm_mode_16_64 3
		.amdhsa_dx10_clamp 1
		.amdhsa_ieee_mode 1
		.amdhsa_fp16_overflow 0
		.amdhsa_tg_split 0
		.amdhsa_exception_fp_ieee_invalid_op 0
		.amdhsa_exception_fp_denorm_src 0
		.amdhsa_exception_fp_ieee_div_zero 0
		.amdhsa_exception_fp_ieee_overflow 0
		.amdhsa_exception_fp_ieee_underflow 0
		.amdhsa_exception_fp_ieee_inexact 0
		.amdhsa_exception_int_div_zero 0
	.end_amdhsa_kernel
	.section	.text._ZN9rocsolver6v33100L18trti2_kernel_smallILi15EdPdEEv13rocblas_fill_17rocblas_diagonal_T1_iil,"axG",@progbits,_ZN9rocsolver6v33100L18trti2_kernel_smallILi15EdPdEEv13rocblas_fill_17rocblas_diagonal_T1_iil,comdat
.Lfunc_end14:
	.size	_ZN9rocsolver6v33100L18trti2_kernel_smallILi15EdPdEEv13rocblas_fill_17rocblas_diagonal_T1_iil, .Lfunc_end14-_ZN9rocsolver6v33100L18trti2_kernel_smallILi15EdPdEEv13rocblas_fill_17rocblas_diagonal_T1_iil
                                        ; -- End function
	.section	.AMDGPU.csdata,"",@progbits
; Kernel info:
; codeLenInByte = 30388
; NumSgprs: 52
; NumVgprs: 122
; NumAgprs: 0
; TotalNumVgprs: 122
; ScratchSize: 0
; MemoryBound: 0
; FloatMode: 240
; IeeeMode: 1
; LDSByteSize: 248 bytes/workgroup (compile time only)
; SGPRBlocks: 6
; VGPRBlocks: 15
; NumSGPRsForWavesPerEU: 52
; NumVGPRsForWavesPerEU: 122
; AccumOffset: 124
; Occupancy: 4
; WaveLimiterHint : 0
; COMPUTE_PGM_RSRC2:SCRATCH_EN: 0
; COMPUTE_PGM_RSRC2:USER_SGPR: 6
; COMPUTE_PGM_RSRC2:TRAP_HANDLER: 0
; COMPUTE_PGM_RSRC2:TGID_X_EN: 1
; COMPUTE_PGM_RSRC2:TGID_Y_EN: 0
; COMPUTE_PGM_RSRC2:TGID_Z_EN: 0
; COMPUTE_PGM_RSRC2:TIDIG_COMP_CNT: 0
; COMPUTE_PGM_RSRC3_GFX90A:ACCUM_OFFSET: 30
; COMPUTE_PGM_RSRC3_GFX90A:TG_SPLIT: 0
	.section	.text._ZN9rocsolver6v33100L18trti2_kernel_smallILi16EdPdEEv13rocblas_fill_17rocblas_diagonal_T1_iil,"axG",@progbits,_ZN9rocsolver6v33100L18trti2_kernel_smallILi16EdPdEEv13rocblas_fill_17rocblas_diagonal_T1_iil,comdat
	.globl	_ZN9rocsolver6v33100L18trti2_kernel_smallILi16EdPdEEv13rocblas_fill_17rocblas_diagonal_T1_iil ; -- Begin function _ZN9rocsolver6v33100L18trti2_kernel_smallILi16EdPdEEv13rocblas_fill_17rocblas_diagonal_T1_iil
	.p2align	8
	.type	_ZN9rocsolver6v33100L18trti2_kernel_smallILi16EdPdEEv13rocblas_fill_17rocblas_diagonal_T1_iil,@function
_ZN9rocsolver6v33100L18trti2_kernel_smallILi16EdPdEEv13rocblas_fill_17rocblas_diagonal_T1_iil: ; @_ZN9rocsolver6v33100L18trti2_kernel_smallILi16EdPdEEv13rocblas_fill_17rocblas_diagonal_T1_iil
; %bb.0:
	v_cmp_gt_u32_e32 vcc, 16, v0
	s_and_saveexec_b64 s[0:1], vcc
	s_cbranch_execz .LBB15_382
; %bb.1:
	s_load_dwordx8 s[36:43], s[4:5], 0x0
	s_ashr_i32 s2, s6, 31
	v_lshlrev_b32_e32 v36, 3, v0
	v_mov_b32_e32 v34, 0
	v_mov_b32_e32 v35, 0xbff00000
	s_waitcnt lgkmcnt(0)
	s_mul_i32 s3, s6, s43
	s_mul_hi_u32 s4, s6, s42
	s_add_i32 s3, s4, s3
	s_mul_i32 s2, s2, s42
	s_add_i32 s3, s3, s2
	s_mul_i32 s2, s6, s42
	s_ashr_i32 s1, s40, 31
	s_lshl_b64 s[2:3], s[2:3], 3
	s_mov_b32 s0, s40
	s_add_u32 s2, s38, s2
	s_addc_u32 s3, s39, s3
	s_lshl_b64 s[0:1], s[0:1], 3
	s_add_u32 s0, s2, s0
	s_addc_u32 s1, s3, s1
	v_mov_b32_e32 v1, s1
	v_add_co_u32_e32 v66, vcc, s0, v36
	s_ashr_i32 s3, s41, 31
	s_mov_b32 s2, s41
	v_addc_co_u32_e32 v67, vcc, 0, v1, vcc
	s_lshl_b64 s[2:3], s[2:3], 3
	v_add_co_u32_e32 v68, vcc, s2, v66
	s_add_i32 s2, s41, s41
	v_add_u32_e32 v2, s2, v0
	v_mov_b32_e32 v1, s3
	v_ashrrev_i32_e32 v3, 31, v2
	v_addc_co_u32_e32 v69, vcc, v67, v1, vcc
	v_lshlrev_b64 v[4:5], 3, v[2:3]
	v_add_u32_e32 v2, s41, v2
	v_mov_b32_e32 v1, s1
	v_add_co_u32_e32 v70, vcc, s0, v4
	v_ashrrev_i32_e32 v3, 31, v2
	v_addc_co_u32_e32 v71, vcc, v1, v5, vcc
	v_lshlrev_b64 v[4:5], 3, v[2:3]
	v_add_u32_e32 v2, s41, v2
	v_add_co_u32_e32 v72, vcc, s0, v4
	v_ashrrev_i32_e32 v3, 31, v2
	v_addc_co_u32_e32 v73, vcc, v1, v5, vcc
	v_lshlrev_b64 v[4:5], 3, v[2:3]
	v_add_u32_e32 v2, s41, v2
	;; [unrolled: 5-line block ×12, first 2 shown]
	v_add_co_u32_e32 v94, vcc, s0, v4
	v_ashrrev_i32_e32 v3, 31, v2
	v_addc_co_u32_e32 v95, vcc, v1, v5, vcc
	v_lshlrev_b64 v[2:3], 3, v[2:3]
	v_add_co_u32_e32 v96, vcc, s0, v2
	v_addc_co_u32_e32 v97, vcc, v1, v3, vcc
	global_load_dwordx2 v[4:5], v[68:69], off
	global_load_dwordx2 v[6:7], v[70:71], off
	;; [unrolled: 1-line block ×14, first 2 shown]
	global_load_dwordx2 v[2:3], v36, s[0:1]
                                        ; kill: killed $sgpr0 killed $sgpr1
	global_load_dwordx2 v[32:33], v[96:97], off
	s_cmpk_lg_i32 s37, 0x84
	v_mov_b32_e32 v1, 0
	s_cselect_b64 s[34:35], -1, 0
	s_cmpk_eq_i32 s37, 0x84
	v_cmp_eq_u32_e64 s[0:1], 0, v0
	s_cbranch_scc1 .LBB15_3
; %bb.2:
	v_cmp_eq_u32_e64 s[2:3], 1, v0
	s_waitcnt vmcnt(1)
	v_cndmask_b32_e64 v34, v3, v5, s[2:3]
	v_cmp_eq_u32_e64 s[4:5], 2, v0
	v_cndmask_b32_e64 v34, v34, v7, s[4:5]
	v_cmp_eq_u32_e64 s[6:7], 3, v0
	;; [unrolled: 2-line block ×14, first 2 shown]
	s_waitcnt vmcnt(0)
	v_cndmask_b32_e64 v35, v34, v33, s[30:31]
	v_cndmask_b32_e64 v34, v2, v4, s[2:3]
	;; [unrolled: 1-line block ×16, first 2 shown]
	v_div_scale_f64 v[38:39], s[38:39], v[34:35], v[34:35], 1.0
	v_rcp_f64_e32 v[40:41], v[38:39]
	v_fma_f64 v[42:43], -v[38:39], v[40:41], 1.0
	v_fmac_f64_e32 v[40:41], v[40:41], v[42:43]
	v_fma_f64 v[42:43], -v[38:39], v[40:41], 1.0
	v_fmac_f64_e32 v[40:41], v[40:41], v[42:43]
	v_div_scale_f64 v[42:43], vcc, 1.0, v[34:35], 1.0
	v_mul_f64 v[44:45], v[42:43], v[40:41]
	v_fma_f64 v[38:39], -v[38:39], v[44:45], v[42:43]
	s_nop 1
	v_div_fmas_f64 v[38:39], v[38:39], v[40:41], v[44:45]
	v_div_fixup_f64 v[34:35], v[38:39], v[34:35], 1.0
	v_cndmask_b32_e64 v33, v33, v35, s[30:31]
	v_cndmask_b32_e64 v32, v32, v34, s[30:31]
	;; [unrolled: 1-line block ×32, first 2 shown]
	v_xor_b32_e32 v35, 0x80000000, v35
.LBB15_3:
	s_cmpk_eq_i32 s36, 0x79
	v_add_u32_e32 v103, 0x80, v36
	ds_write_b64 v36, v[34:35]
	s_cbranch_scc1 .LBB15_7
; %bb.4:
	s_waitcnt vmcnt(0)
	v_pk_mov_b32 v[64:65], v[32:33], v[32:33] op_sel:[0,1]
	v_cmp_eq_u32_e64 s[0:1], 15, v0
	v_pk_mov_b32 v[62:63], v[30:31], v[30:31] op_sel:[0,1]
	v_pk_mov_b32 v[60:61], v[28:29], v[28:29] op_sel:[0,1]
	;; [unrolled: 1-line block ×15, first 2 shown]
	ds_write_b64 v103, v[30:31]
	s_waitcnt lgkmcnt(0)
	; wave barrier
	s_waitcnt lgkmcnt(0)
	s_and_saveexec_b64 s[30:31], s[0:1]
	s_cbranch_execz .LBB15_11
; %bb.5:
	s_and_b64 vcc, exec, s[34:35]
	s_cbranch_vccz .LBB15_8
; %bb.6:
	v_cmp_eq_u32_e32 vcc, 1, v0
	v_cndmask_b32_e32 v34, v3, v5, vcc
	v_cmp_eq_u32_e64 s[2:3], 2, v0
	v_cndmask_b32_e64 v34, v34, v7, s[2:3]
	v_cmp_eq_u32_e64 s[4:5], 3, v0
	v_cndmask_b32_e64 v34, v34, v9, s[4:5]
	;; [unrolled: 2-line block ×14, first 2 shown]
	v_cndmask_b32_e32 v34, v2, v4, vcc
	v_cndmask_b32_e64 v34, v34, v6, s[2:3]
	v_cndmask_b32_e64 v34, v34, v8, s[4:5]
	;; [unrolled: 1-line block ×10, first 2 shown]
	ds_read_b64 v[36:37], v103
	v_cndmask_b32_e64 v34, v34, v26, s[22:23]
	v_cndmask_b32_e64 v34, v34, v28, s[24:25]
	;; [unrolled: 1-line block ×4, first 2 shown]
	s_waitcnt lgkmcnt(0)
	v_mul_f64 v[98:99], v[34:35], v[36:37]
	s_cbranch_execz .LBB15_9
	s_branch .LBB15_10
.LBB15_7:
                                        ; implicit-def: $vgpr34_vgpr35_vgpr36_vgpr37_vgpr38_vgpr39_vgpr40_vgpr41_vgpr42_vgpr43_vgpr44_vgpr45_vgpr46_vgpr47_vgpr48_vgpr49_vgpr50_vgpr51_vgpr52_vgpr53_vgpr54_vgpr55_vgpr56_vgpr57_vgpr58_vgpr59_vgpr60_vgpr61_vgpr62_vgpr63_vgpr64_vgpr65
	s_cbranch_execnz .LBB15_226
	s_branch .LBB15_381
.LBB15_8:
                                        ; implicit-def: $vgpr98_vgpr99
.LBB15_9:
	ds_read_b64 v[98:99], v103
.LBB15_10:
	v_mov_b32_e32 v34, 0
	ds_read_b64 v[100:101], v34 offset:112
	v_pk_mov_b32 v[64:65], v[32:33], v[32:33] op_sel:[0,1]
	v_pk_mov_b32 v[62:63], v[30:31], v[30:31] op_sel:[0,1]
	;; [unrolled: 1-line block ×16, first 2 shown]
	s_waitcnt lgkmcnt(0)
	v_mul_f64 v[62:63], v[98:99], v[100:101]
.LBB15_11:
	s_or_b64 exec, exec, s[30:31]
	v_cmp_lt_u32_e64 s[2:3], 13, v0
	ds_write_b64 v103, v[60:61]
	s_waitcnt lgkmcnt(0)
	; wave barrier
	s_waitcnt lgkmcnt(0)
	s_and_saveexec_b64 s[36:37], s[2:3]
	s_cbranch_execz .LBB15_17
; %bb.12:
	s_andn2_b64 vcc, exec, s[34:35]
	s_cbranch_vccnz .LBB15_14
; %bb.13:
	v_cmp_eq_u32_e32 vcc, 1, v0
	v_cndmask_b32_e32 v98, v35, v37, vcc
	v_cmp_eq_u32_e64 s[4:5], 2, v0
	v_cndmask_b32_e64 v98, v98, v39, s[4:5]
	v_cmp_eq_u32_e64 s[6:7], 3, v0
	v_cndmask_b32_e64 v98, v98, v41, s[6:7]
	;; [unrolled: 2-line block ×12, first 2 shown]
	v_cndmask_b32_e32 v98, v34, v36, vcc
	v_cndmask_b32_e64 v98, v98, v38, s[4:5]
	v_cndmask_b32_e64 v98, v98, v40, s[6:7]
	v_cndmask_b32_e64 v98, v98, v42, s[8:9]
	v_cndmask_b32_e64 v98, v98, v44, s[10:11]
	v_cndmask_b32_e64 v98, v98, v46, s[12:13]
	v_cndmask_b32_e64 v98, v98, v48, s[14:15]
	v_cndmask_b32_e64 v98, v98, v50, s[16:17]
	v_cndmask_b32_e64 v98, v98, v52, s[18:19]
	v_cndmask_b32_e64 v98, v98, v54, s[20:21]
	v_cndmask_b32_e64 v100, v98, v56, s[22:23]
	ds_read_b64 v[98:99], v103
	v_cndmask_b32_e64 v100, v100, v58, s[24:25]
	v_cmp_eq_u32_e64 s[28:29], 14, v0
	v_cndmask_b32_e64 v60, v100, v60, s[26:27]
	v_cndmask_b32_e64 v61, v61, v63, s[28:29]
	v_cmp_eq_u32_e64 s[30:31], 15, v0
	v_cndmask_b32_e64 v60, v60, v62, s[28:29]
	v_cndmask_b32_e64 v61, v61, v65, s[30:31]
	;; [unrolled: 1-line block ×3, first 2 shown]
	s_waitcnt lgkmcnt(0)
	v_mul_f64 v[60:61], v[60:61], v[98:99]
	s_cbranch_execz .LBB15_15
	s_branch .LBB15_16
.LBB15_14:
                                        ; implicit-def: $vgpr60_vgpr61
.LBB15_15:
	ds_read_b64 v[60:61], v103
.LBB15_16:
	v_mov_b32_e32 v98, 0
	ds_read2_b64 v[98:101], v98 offset0:13 offset1:30
	s_waitcnt lgkmcnt(0)
	v_fma_f64 v[100:101], v[62:63], v[100:101], v[60:61]
	v_cndmask_b32_e64 v61, v61, v101, s[0:1]
	v_cndmask_b32_e64 v60, v60, v100, s[0:1]
	v_mul_f64 v[60:61], v[60:61], v[98:99]
.LBB15_17:
	s_or_b64 exec, exec, s[36:37]
	v_cmp_lt_u32_e64 s[0:1], 12, v0
	ds_write_b64 v103, v[58:59]
	s_waitcnt lgkmcnt(0)
	; wave barrier
	s_waitcnt lgkmcnt(0)
	s_and_saveexec_b64 s[36:37], s[0:1]
	s_cbranch_execz .LBB15_33
; %bb.18:
	s_andn2_b64 vcc, exec, s[34:35]
	s_cbranch_vccnz .LBB15_20
; %bb.19:
	v_cmp_eq_u32_e32 vcc, 1, v0
	v_cndmask_b32_e32 v98, v35, v37, vcc
	v_cmp_eq_u32_e64 s[4:5], 2, v0
	v_cndmask_b32_e64 v98, v98, v39, s[4:5]
	v_cmp_eq_u32_e64 s[6:7], 3, v0
	v_cndmask_b32_e64 v98, v98, v41, s[6:7]
	v_cmp_eq_u32_e64 s[8:9], 4, v0
	v_cndmask_b32_e64 v98, v98, v43, s[8:9]
	v_cmp_eq_u32_e64 s[10:11], 5, v0
	v_cndmask_b32_e64 v98, v98, v45, s[10:11]
	v_cmp_eq_u32_e64 s[12:13], 6, v0
	v_cndmask_b32_e64 v98, v98, v47, s[12:13]
	v_cmp_eq_u32_e64 s[14:15], 7, v0
	v_cndmask_b32_e64 v98, v98, v49, s[14:15]
	v_cmp_eq_u32_e64 s[16:17], 8, v0
	v_cndmask_b32_e64 v98, v98, v51, s[16:17]
	v_cmp_eq_u32_e64 s[18:19], 9, v0
	v_cndmask_b32_e64 v98, v98, v53, s[18:19]
	v_cmp_eq_u32_e64 s[20:21], 10, v0
	v_cndmask_b32_e64 v98, v98, v55, s[20:21]
	v_cmp_eq_u32_e64 s[22:23], 11, v0
	v_cndmask_b32_e64 v98, v98, v57, s[22:23]
	v_cmp_eq_u32_e64 s[24:25], 12, v0
	v_cndmask_b32_e64 v98, v98, v59, s[24:25]
	v_cmp_eq_u32_e64 s[26:27], 13, v0
	v_cndmask_b32_e64 v98, v98, v61, s[26:27]
	v_cmp_eq_u32_e64 s[28:29], 14, v0
	v_cndmask_b32_e64 v98, v98, v63, s[28:29]
	v_cmp_eq_u32_e64 s[30:31], 15, v0
	v_cndmask_b32_e64 v99, v98, v65, s[30:31]
	v_cndmask_b32_e32 v98, v34, v36, vcc
	v_cndmask_b32_e64 v98, v98, v38, s[4:5]
	v_cndmask_b32_e64 v98, v98, v40, s[6:7]
	;; [unrolled: 1-line block ×10, first 2 shown]
	ds_read_b64 v[100:101], v103
	v_cndmask_b32_e64 v98, v98, v58, s[24:25]
	v_cndmask_b32_e64 v98, v98, v60, s[26:27]
	;; [unrolled: 1-line block ×4, first 2 shown]
	s_waitcnt lgkmcnt(0)
	v_mul_f64 v[98:99], v[98:99], v[100:101]
	s_cbranch_execz .LBB15_21
	s_branch .LBB15_22
.LBB15_20:
                                        ; implicit-def: $vgpr98_vgpr99
.LBB15_21:
	ds_read_b64 v[98:99], v103
.LBB15_22:
	s_and_saveexec_b64 s[6:7], s[2:3]
	s_cbranch_execz .LBB15_32
; %bb.23:
	v_add_u32_e32 v100, -14, v0
	v_add_u32_e32 v101, -13, v0
	v_cmp_lt_u32_e32 vcc, 6, v100
	v_mov_b32_e32 v100, 13
	s_and_saveexec_b64 s[2:3], vcc
	s_cbranch_execz .LBB15_27
; %bb.24:
	v_and_b32_e32 v100, -8, v101
	v_sub_u32_e32 v102, 0, v100
	s_mov_b64 s[4:5], 20
	s_movk_i32 s10, 0xe8
	s_mov_b64 s[8:9], 0
.LBB15_25:                              ; =>This Inner Loop Header: Depth=1
	s_lshl_b32 s11, s4, 1
	s_add_i32 s12, s11, -13
	v_mov_b32_e32 v118, s10
	s_add_i32 s13, s11, -14
	s_set_gpr_idx_on s12, gpr_idx(SRC0)
	v_mov_b32_e32 v113, v34
	s_set_gpr_idx_off
	s_add_i32 s14, s11, -11
	s_set_gpr_idx_on s13, gpr_idx(SRC0)
	v_mov_b32_e32 v112, v34
	s_set_gpr_idx_off
	ds_read2_b64 v[104:107], v118 offset1:1
	s_add_i32 s15, s11, -12
	s_set_gpr_idx_on s14, gpr_idx(SRC0)
	v_mov_b32_e32 v115, v34
	s_set_gpr_idx_off
	s_add_i32 s16, s11, -9
	s_set_gpr_idx_on s15, gpr_idx(SRC0)
	v_mov_b32_e32 v114, v34
	s_set_gpr_idx_off
	;; [unrolled: 4-line block ×4, first 2 shown]
	ds_read2_b64 v[108:111], v118 offset0:2 offset1:3
	s_add_i32 s19, s11, -8
	s_waitcnt lgkmcnt(1)
	v_fmac_f64_e32 v[98:99], v[112:113], v[104:105]
	s_set_gpr_idx_on s18, gpr_idx(SRC0)
	v_mov_b32_e32 v113, v34
	s_set_gpr_idx_off
	s_add_i32 s20, s11, -5
	v_fmac_f64_e32 v[98:99], v[114:115], v[106:107]
	s_set_gpr_idx_on s19, gpr_idx(SRC0)
	v_mov_b32_e32 v112, v34
	s_set_gpr_idx_off
	s_add_i32 s21, s11, -6
	s_set_gpr_idx_on s20, gpr_idx(SRC0)
	v_mov_b32_e32 v115, v34
	s_set_gpr_idx_off
	s_add_i32 s22, s11, -3
	;; [unrolled: 4-line block ×3, first 2 shown]
	ds_read2_b64 v[104:107], v118 offset0:4 offset1:5
	s_waitcnt lgkmcnt(1)
	v_fmac_f64_e32 v[98:99], v[116:117], v[108:109]
	s_set_gpr_idx_on s22, gpr_idx(SRC0)
	v_mov_b32_e32 v117, v34
	s_set_gpr_idx_off
	s_add_i32 s24, s11, -1
	v_fmac_f64_e32 v[98:99], v[112:113], v[110:111]
	s_set_gpr_idx_on s23, gpr_idx(SRC0)
	v_mov_b32_e32 v116, v34
	s_set_gpr_idx_off
	s_add_i32 s25, s11, -2
	s_set_gpr_idx_on s24, gpr_idx(SRC0)
	v_mov_b32_e32 v113, v34
	s_set_gpr_idx_off
	s_set_gpr_idx_on s25, gpr_idx(SRC0)
	v_mov_b32_e32 v112, v34
	s_set_gpr_idx_off
	ds_read2_b64 v[108:111], v118 offset0:6 offset1:7
	s_add_u32 s4, s4, 8
	s_waitcnt lgkmcnt(1)
	v_fmac_f64_e32 v[98:99], v[114:115], v[104:105]
	s_set_gpr_idx_on s11, gpr_idx(SRC0)
	v_mov_b32_e32 v105, v35
	s_set_gpr_idx_off
	v_add_u32_e32 v100, s4, v102
	v_fmac_f64_e32 v[98:99], v[116:117], v[106:107]
	s_set_gpr_idx_on s11, gpr_idx(SRC0)
	v_mov_b32_e32 v104, v34
	s_set_gpr_idx_off
	s_addc_u32 s5, s5, 0
	s_add_i32 s10, s10, 64
	s_add_i32 s12, s4, -7
	v_cmp_eq_u32_e32 vcc, 20, v100
	s_waitcnt lgkmcnt(0)
	v_fmac_f64_e32 v[98:99], v[112:113], v[108:109]
	v_mov_b32_e32 v100, s12
	s_or_b64 s[8:9], vcc, s[8:9]
	v_fmac_f64_e32 v[98:99], v[104:105], v[110:111]
	s_andn2_b64 exec, exec, s[8:9]
	s_cbranch_execnz .LBB15_25
; %bb.26:
	s_or_b64 exec, exec, s[8:9]
.LBB15_27:
	s_or_b64 exec, exec, s[2:3]
	v_and_b32_e32 v102, 7, v101
	v_cmp_ne_u32_e32 vcc, 0, v102
	s_and_saveexec_b64 s[8:9], vcc
	s_cbranch_execz .LBB15_31
; %bb.28:
	v_mov_b32_e32 v101, 0x80
	v_lshl_add_u32 v104, v100, 3, v101
	v_mov_b32_e32 v101, 0
	s_mov_b64 s[10:11], 0
.LBB15_29:                              ; =>This Inner Loop Header: Depth=1
	v_cmp_eq_u32_e32 vcc, 1, v100
	v_cndmask_b32_e32 v105, v35, v37, vcc
	v_add_u32_e32 v102, -1, v102
	v_cmp_eq_u32_e64 s[2:3], 2, v100
	v_cndmask_b32_e64 v105, v105, v39, s[2:3]
	v_cndmask_b32_e32 v108, v34, v36, vcc
	v_cmp_eq_u32_e32 vcc, 0, v102
	v_cmp_eq_u32_e64 s[4:5], 3, v100
	v_cndmask_b32_e64 v105, v105, v41, s[4:5]
	v_cndmask_b32_e64 v108, v108, v38, s[2:3]
	s_or_b64 s[10:11], vcc, s[10:11]
	v_cmp_eq_u32_e32 vcc, 4, v100
	v_cndmask_b32_e32 v105, v105, v43, vcc
	v_cndmask_b32_e64 v108, v108, v40, s[4:5]
	v_cmp_eq_u32_e64 s[2:3], 5, v100
	v_cndmask_b32_e64 v105, v105, v45, s[2:3]
	v_cndmask_b32_e32 v108, v108, v42, vcc
	v_cmp_eq_u32_e32 vcc, 6, v100
	v_cndmask_b32_e32 v105, v105, v47, vcc
	v_cndmask_b32_e64 v108, v108, v44, s[2:3]
	v_cmp_eq_u32_e64 s[2:3], 7, v100
	v_cndmask_b32_e64 v105, v105, v49, s[2:3]
	v_cndmask_b32_e32 v108, v108, v46, vcc
	;; [unrolled: 6-line block ×4, first 2 shown]
	v_cmp_eq_u32_e32 vcc, 12, v100
	ds_read_b64 v[106:107], v104
	v_cndmask_b32_e32 v105, v105, v59, vcc
	v_cndmask_b32_e64 v108, v108, v56, s[2:3]
	v_cmp_eq_u32_e64 s[2:3], 13, v100
	v_cndmask_b32_e64 v105, v105, v61, s[2:3]
	v_cndmask_b32_e32 v108, v108, v58, vcc
	v_cmp_eq_u32_e32 vcc, 14, v100
	v_cndmask_b32_e32 v105, v105, v63, vcc
	v_cmp_eq_u32_e64 s[4:5], 15, v100
	v_cndmask_b32_e64 v108, v108, v60, s[2:3]
	v_cndmask_b32_e64 v109, v105, v65, s[4:5]
	v_cndmask_b32_e32 v105, v108, v62, vcc
	v_add_co_u32_e64 v100, s[2:3], 1, v100
	v_cndmask_b32_e64 v108, v105, v64, s[4:5]
	v_add_u32_e32 v104, 8, v104
	v_addc_co_u32_e64 v101, s[2:3], 0, v101, s[2:3]
	s_waitcnt lgkmcnt(0)
	v_fmac_f64_e32 v[98:99], v[108:109], v[106:107]
	s_andn2_b64 exec, exec, s[10:11]
	s_cbranch_execnz .LBB15_29
; %bb.30:
	s_or_b64 exec, exec, s[10:11]
.LBB15_31:
	s_or_b64 exec, exec, s[8:9]
.LBB15_32:
	s_or_b64 exec, exec, s[6:7]
	v_mov_b32_e32 v58, 0
	ds_read_b64 v[58:59], v58 offset:96
	s_waitcnt lgkmcnt(0)
	v_mul_f64 v[58:59], v[98:99], v[58:59]
.LBB15_33:
	s_or_b64 exec, exec, s[36:37]
	v_cmp_lt_u32_e64 s[2:3], 11, v0
	ds_write_b64 v103, v[56:57]
	s_waitcnt lgkmcnt(0)
	; wave barrier
	s_waitcnt lgkmcnt(0)
	s_and_saveexec_b64 s[36:37], s[2:3]
	s_cbranch_execz .LBB15_49
; %bb.34:
	s_andn2_b64 vcc, exec, s[34:35]
	s_cbranch_vccnz .LBB15_36
; %bb.35:
	v_cmp_eq_u32_e32 vcc, 1, v0
	v_cndmask_b32_e32 v98, v35, v37, vcc
	v_cmp_eq_u32_e64 s[4:5], 2, v0
	v_cndmask_b32_e64 v98, v98, v39, s[4:5]
	v_cmp_eq_u32_e64 s[6:7], 3, v0
	v_cndmask_b32_e64 v98, v98, v41, s[6:7]
	;; [unrolled: 2-line block ×14, first 2 shown]
	v_cndmask_b32_e32 v98, v34, v36, vcc
	v_cndmask_b32_e64 v98, v98, v38, s[4:5]
	v_cndmask_b32_e64 v98, v98, v40, s[6:7]
	;; [unrolled: 1-line block ×10, first 2 shown]
	ds_read_b64 v[100:101], v103
	v_cndmask_b32_e64 v98, v98, v58, s[24:25]
	v_cndmask_b32_e64 v98, v98, v60, s[26:27]
	;; [unrolled: 1-line block ×4, first 2 shown]
	s_waitcnt lgkmcnt(0)
	v_mul_f64 v[98:99], v[98:99], v[100:101]
	s_cbranch_execz .LBB15_37
	s_branch .LBB15_38
.LBB15_36:
                                        ; implicit-def: $vgpr98_vgpr99
.LBB15_37:
	ds_read_b64 v[98:99], v103
.LBB15_38:
	s_and_saveexec_b64 s[6:7], s[0:1]
	s_cbranch_execz .LBB15_48
; %bb.39:
	v_add_u32_e32 v100, -13, v0
	v_add_u32_e32 v101, -12, v0
	v_cmp_lt_u32_e32 vcc, 6, v100
	v_mov_b32_e32 v100, 12
	s_and_saveexec_b64 s[0:1], vcc
	s_cbranch_execz .LBB15_43
; %bb.40:
	v_and_b32_e32 v100, -8, v101
	v_sub_u32_e32 v102, 0, v100
	s_mov_b64 s[4:5], 19
	s_movk_i32 s10, 0xe0
	s_mov_b64 s[8:9], 0
.LBB15_41:                              ; =>This Inner Loop Header: Depth=1
	s_lshl_b32 s11, s4, 1
	s_add_i32 s12, s11, -13
	s_add_i32 s13, s11, -14
	s_set_gpr_idx_on s12, gpr_idx(SRC0)
	v_mov_b32_e32 v121, v34
	s_set_gpr_idx_off
	v_mov_b32_e32 v100, s10
	s_add_i32 s14, s11, -11
	s_set_gpr_idx_on s13, gpr_idx(SRC0)
	v_mov_b32_e32 v120, v34
	s_set_gpr_idx_off
	s_add_i32 s15, s11, -12
	ds_read_b128 v[104:107], v100
	ds_read_b128 v[108:111], v100 offset:16
	ds_read_b128 v[112:115], v100 offset:32
	;; [unrolled: 1-line block ×3, first 2 shown]
	s_set_gpr_idx_on s14, gpr_idx(SRC0)
	v_mov_b32_e32 v123, v34
	s_set_gpr_idx_off
	s_add_i32 s16, s11, -9
	s_set_gpr_idx_on s15, gpr_idx(SRC0)
	v_mov_b32_e32 v122, v34
	s_set_gpr_idx_off
	s_add_i32 s17, s11, -10
	;; [unrolled: 4-line block ×4, first 2 shown]
	s_waitcnt lgkmcnt(3)
	v_fmac_f64_e32 v[98:99], v[120:121], v[104:105]
	s_set_gpr_idx_on s18, gpr_idx(SRC0)
	v_mov_b32_e32 v105, v34
	s_set_gpr_idx_off
	s_add_i32 s20, s11, -5
	v_fmac_f64_e32 v[98:99], v[122:123], v[106:107]
	s_set_gpr_idx_on s19, gpr_idx(SRC0)
	v_mov_b32_e32 v104, v34
	s_set_gpr_idx_off
	s_add_i32 s21, s11, -6
	s_waitcnt lgkmcnt(2)
	v_fmac_f64_e32 v[98:99], v[124:125], v[108:109]
	s_set_gpr_idx_on s20, gpr_idx(SRC0)
	v_mov_b32_e32 v107, v34
	s_set_gpr_idx_off
	s_add_i32 s22, s11, -3
	v_fmac_f64_e32 v[98:99], v[104:105], v[110:111]
	s_set_gpr_idx_on s21, gpr_idx(SRC0)
	v_mov_b32_e32 v106, v34
	s_set_gpr_idx_off
	s_add_i32 s23, s11, -4
	s_waitcnt lgkmcnt(1)
	v_fmac_f64_e32 v[98:99], v[106:107], v[112:113]
	s_set_gpr_idx_on s22, gpr_idx(SRC0)
	v_mov_b32_e32 v105, v34
	s_set_gpr_idx_off
	s_add_i32 s24, s11, -1
	s_set_gpr_idx_on s23, gpr_idx(SRC0)
	v_mov_b32_e32 v104, v34
	s_set_gpr_idx_off
	s_add_i32 s25, s11, -2
	v_fmac_f64_e32 v[98:99], v[104:105], v[114:115]
	s_set_gpr_idx_on s24, gpr_idx(SRC0)
	v_mov_b32_e32 v105, v34
	s_set_gpr_idx_off
	s_add_u32 s4, s4, 8
	s_set_gpr_idx_on s25, gpr_idx(SRC0)
	v_mov_b32_e32 v104, v34
	s_set_gpr_idx_off
	v_add_u32_e32 v100, s4, v102
	s_waitcnt lgkmcnt(0)
	v_fmac_f64_e32 v[98:99], v[104:105], v[116:117]
	s_set_gpr_idx_on s11, gpr_idx(SRC0)
	v_mov_b32_e32 v105, v35
	s_set_gpr_idx_off
	s_addc_u32 s5, s5, 0
	s_add_i32 s10, s10, 64
	s_add_i32 s12, s4, -7
	v_cmp_eq_u32_e32 vcc, 19, v100
	s_set_gpr_idx_on s11, gpr_idx(SRC0)
	v_mov_b32_e32 v104, v34
	s_set_gpr_idx_off
	v_mov_b32_e32 v100, s12
	s_or_b64 s[8:9], vcc, s[8:9]
	v_fmac_f64_e32 v[98:99], v[104:105], v[118:119]
	s_andn2_b64 exec, exec, s[8:9]
	s_cbranch_execnz .LBB15_41
; %bb.42:
	s_or_b64 exec, exec, s[8:9]
.LBB15_43:
	s_or_b64 exec, exec, s[0:1]
	v_and_b32_e32 v102, 7, v101
	v_cmp_ne_u32_e32 vcc, 0, v102
	s_and_saveexec_b64 s[8:9], vcc
	s_cbranch_execz .LBB15_47
; %bb.44:
	v_mov_b32_e32 v101, 0x80
	v_lshl_add_u32 v104, v100, 3, v101
	v_mov_b32_e32 v101, 0
	s_mov_b64 s[10:11], 0
.LBB15_45:                              ; =>This Inner Loop Header: Depth=1
	v_cmp_eq_u32_e32 vcc, 1, v100
	v_cndmask_b32_e32 v105, v35, v37, vcc
	v_add_u32_e32 v102, -1, v102
	v_cmp_eq_u32_e64 s[0:1], 2, v100
	v_cndmask_b32_e64 v105, v105, v39, s[0:1]
	v_cndmask_b32_e32 v108, v34, v36, vcc
	v_cmp_eq_u32_e32 vcc, 0, v102
	v_cmp_eq_u32_e64 s[4:5], 3, v100
	v_cndmask_b32_e64 v105, v105, v41, s[4:5]
	v_cndmask_b32_e64 v108, v108, v38, s[0:1]
	s_or_b64 s[10:11], vcc, s[10:11]
	v_cmp_eq_u32_e32 vcc, 4, v100
	v_cndmask_b32_e32 v105, v105, v43, vcc
	v_cndmask_b32_e64 v108, v108, v40, s[4:5]
	v_cmp_eq_u32_e64 s[0:1], 5, v100
	v_cndmask_b32_e64 v105, v105, v45, s[0:1]
	v_cndmask_b32_e32 v108, v108, v42, vcc
	v_cmp_eq_u32_e32 vcc, 6, v100
	v_cndmask_b32_e32 v105, v105, v47, vcc
	v_cndmask_b32_e64 v108, v108, v44, s[0:1]
	v_cmp_eq_u32_e64 s[0:1], 7, v100
	v_cndmask_b32_e64 v105, v105, v49, s[0:1]
	v_cndmask_b32_e32 v108, v108, v46, vcc
	v_cmp_eq_u32_e32 vcc, 8, v100
	v_cndmask_b32_e32 v105, v105, v51, vcc
	v_cndmask_b32_e64 v108, v108, v48, s[0:1]
	v_cmp_eq_u32_e64 s[0:1], 9, v100
	v_cndmask_b32_e64 v105, v105, v53, s[0:1]
	v_cndmask_b32_e32 v108, v108, v50, vcc
	v_cmp_eq_u32_e32 vcc, 10, v100
	v_cndmask_b32_e32 v105, v105, v55, vcc
	v_cndmask_b32_e64 v108, v108, v52, s[0:1]
	v_cmp_eq_u32_e64 s[0:1], 11, v100
	v_cndmask_b32_e64 v105, v105, v57, s[0:1]
	v_cndmask_b32_e32 v108, v108, v54, vcc
	v_cmp_eq_u32_e32 vcc, 12, v100
	ds_read_b64 v[106:107], v104
	v_cndmask_b32_e32 v105, v105, v59, vcc
	v_cndmask_b32_e64 v108, v108, v56, s[0:1]
	v_cmp_eq_u32_e64 s[0:1], 13, v100
	v_cndmask_b32_e64 v105, v105, v61, s[0:1]
	v_cndmask_b32_e32 v108, v108, v58, vcc
	v_cmp_eq_u32_e32 vcc, 14, v100
	v_cndmask_b32_e32 v105, v105, v63, vcc
	v_cmp_eq_u32_e64 s[4:5], 15, v100
	v_cndmask_b32_e64 v108, v108, v60, s[0:1]
	v_cndmask_b32_e64 v109, v105, v65, s[4:5]
	v_cndmask_b32_e32 v105, v108, v62, vcc
	v_add_co_u32_e64 v100, s[0:1], 1, v100
	v_cndmask_b32_e64 v108, v105, v64, s[4:5]
	v_add_u32_e32 v104, 8, v104
	v_addc_co_u32_e64 v101, s[0:1], 0, v101, s[0:1]
	s_waitcnt lgkmcnt(0)
	v_fmac_f64_e32 v[98:99], v[108:109], v[106:107]
	s_andn2_b64 exec, exec, s[10:11]
	s_cbranch_execnz .LBB15_45
; %bb.46:
	s_or_b64 exec, exec, s[10:11]
.LBB15_47:
	s_or_b64 exec, exec, s[8:9]
.LBB15_48:
	s_or_b64 exec, exec, s[6:7]
	v_mov_b32_e32 v56, 0
	ds_read_b64 v[56:57], v56 offset:88
	s_waitcnt lgkmcnt(0)
	v_mul_f64 v[56:57], v[98:99], v[56:57]
.LBB15_49:
	s_or_b64 exec, exec, s[36:37]
	v_cmp_lt_u32_e64 s[0:1], 10, v0
	ds_write_b64 v103, v[54:55]
	s_waitcnt lgkmcnt(0)
	; wave barrier
	s_waitcnt lgkmcnt(0)
	s_and_saveexec_b64 s[36:37], s[0:1]
	s_cbranch_execz .LBB15_65
; %bb.50:
	s_andn2_b64 vcc, exec, s[34:35]
	s_cbranch_vccnz .LBB15_52
; %bb.51:
	v_cmp_eq_u32_e32 vcc, 1, v0
	v_cndmask_b32_e32 v98, v35, v37, vcc
	v_cmp_eq_u32_e64 s[4:5], 2, v0
	v_cndmask_b32_e64 v98, v98, v39, s[4:5]
	v_cmp_eq_u32_e64 s[6:7], 3, v0
	v_cndmask_b32_e64 v98, v98, v41, s[6:7]
	;; [unrolled: 2-line block ×14, first 2 shown]
	v_cndmask_b32_e32 v98, v34, v36, vcc
	v_cndmask_b32_e64 v98, v98, v38, s[4:5]
	v_cndmask_b32_e64 v98, v98, v40, s[6:7]
	;; [unrolled: 1-line block ×10, first 2 shown]
	ds_read_b64 v[100:101], v103
	v_cndmask_b32_e64 v98, v98, v58, s[24:25]
	v_cndmask_b32_e64 v98, v98, v60, s[26:27]
	;; [unrolled: 1-line block ×4, first 2 shown]
	s_waitcnt lgkmcnt(0)
	v_mul_f64 v[98:99], v[98:99], v[100:101]
	s_cbranch_execz .LBB15_53
	s_branch .LBB15_54
.LBB15_52:
                                        ; implicit-def: $vgpr98_vgpr99
.LBB15_53:
	ds_read_b64 v[98:99], v103
.LBB15_54:
	s_and_saveexec_b64 s[6:7], s[2:3]
	s_cbranch_execz .LBB15_64
; %bb.55:
	v_add_u32_e32 v100, -12, v0
	v_add_u32_e32 v101, -11, v0
	v_cmp_lt_u32_e32 vcc, 6, v100
	v_mov_b32_e32 v100, 11
	s_and_saveexec_b64 s[2:3], vcc
	s_cbranch_execz .LBB15_59
; %bb.56:
	v_and_b32_e32 v100, -8, v101
	v_sub_u32_e32 v102, 0, v100
	s_mov_b64 s[4:5], 18
	s_movk_i32 s10, 0xd8
	s_mov_b64 s[8:9], 0
.LBB15_57:                              ; =>This Inner Loop Header: Depth=1
	s_lshl_b32 s11, s4, 1
	s_add_i32 s12, s11, -13
	v_mov_b32_e32 v118, s10
	s_add_i32 s13, s11, -14
	s_set_gpr_idx_on s12, gpr_idx(SRC0)
	v_mov_b32_e32 v113, v34
	s_set_gpr_idx_off
	s_add_i32 s14, s11, -11
	s_set_gpr_idx_on s13, gpr_idx(SRC0)
	v_mov_b32_e32 v112, v34
	s_set_gpr_idx_off
	ds_read2_b64 v[104:107], v118 offset1:1
	s_add_i32 s15, s11, -12
	s_set_gpr_idx_on s14, gpr_idx(SRC0)
	v_mov_b32_e32 v115, v34
	s_set_gpr_idx_off
	s_add_i32 s16, s11, -9
	s_set_gpr_idx_on s15, gpr_idx(SRC0)
	v_mov_b32_e32 v114, v34
	s_set_gpr_idx_off
	s_add_i32 s17, s11, -10
	s_set_gpr_idx_on s16, gpr_idx(SRC0)
	v_mov_b32_e32 v117, v34
	s_set_gpr_idx_off
	s_add_i32 s18, s11, -7
	s_set_gpr_idx_on s17, gpr_idx(SRC0)
	v_mov_b32_e32 v116, v34
	s_set_gpr_idx_off
	ds_read2_b64 v[108:111], v118 offset0:2 offset1:3
	s_add_i32 s19, s11, -8
	s_waitcnt lgkmcnt(1)
	v_fmac_f64_e32 v[98:99], v[112:113], v[104:105]
	s_set_gpr_idx_on s18, gpr_idx(SRC0)
	v_mov_b32_e32 v113, v34
	s_set_gpr_idx_off
	s_add_i32 s20, s11, -5
	v_fmac_f64_e32 v[98:99], v[114:115], v[106:107]
	s_set_gpr_idx_on s19, gpr_idx(SRC0)
	v_mov_b32_e32 v112, v34
	s_set_gpr_idx_off
	s_add_i32 s21, s11, -6
	s_set_gpr_idx_on s20, gpr_idx(SRC0)
	v_mov_b32_e32 v115, v34
	s_set_gpr_idx_off
	s_add_i32 s22, s11, -3
	;; [unrolled: 4-line block ×3, first 2 shown]
	ds_read2_b64 v[104:107], v118 offset0:4 offset1:5
	s_waitcnt lgkmcnt(1)
	v_fmac_f64_e32 v[98:99], v[116:117], v[108:109]
	s_set_gpr_idx_on s22, gpr_idx(SRC0)
	v_mov_b32_e32 v117, v34
	s_set_gpr_idx_off
	s_add_i32 s24, s11, -1
	v_fmac_f64_e32 v[98:99], v[112:113], v[110:111]
	s_set_gpr_idx_on s23, gpr_idx(SRC0)
	v_mov_b32_e32 v116, v34
	s_set_gpr_idx_off
	s_add_i32 s25, s11, -2
	s_set_gpr_idx_on s24, gpr_idx(SRC0)
	v_mov_b32_e32 v113, v34
	s_set_gpr_idx_off
	s_set_gpr_idx_on s25, gpr_idx(SRC0)
	v_mov_b32_e32 v112, v34
	s_set_gpr_idx_off
	ds_read2_b64 v[108:111], v118 offset0:6 offset1:7
	s_add_u32 s4, s4, 8
	s_waitcnt lgkmcnt(1)
	v_fmac_f64_e32 v[98:99], v[114:115], v[104:105]
	s_set_gpr_idx_on s11, gpr_idx(SRC0)
	v_mov_b32_e32 v105, v35
	s_set_gpr_idx_off
	v_add_u32_e32 v100, s4, v102
	v_fmac_f64_e32 v[98:99], v[116:117], v[106:107]
	s_set_gpr_idx_on s11, gpr_idx(SRC0)
	v_mov_b32_e32 v104, v34
	s_set_gpr_idx_off
	s_addc_u32 s5, s5, 0
	s_add_i32 s10, s10, 64
	s_add_i32 s12, s4, -7
	v_cmp_eq_u32_e32 vcc, 18, v100
	s_waitcnt lgkmcnt(0)
	v_fmac_f64_e32 v[98:99], v[112:113], v[108:109]
	v_mov_b32_e32 v100, s12
	s_or_b64 s[8:9], vcc, s[8:9]
	v_fmac_f64_e32 v[98:99], v[104:105], v[110:111]
	s_andn2_b64 exec, exec, s[8:9]
	s_cbranch_execnz .LBB15_57
; %bb.58:
	s_or_b64 exec, exec, s[8:9]
.LBB15_59:
	s_or_b64 exec, exec, s[2:3]
	v_and_b32_e32 v102, 7, v101
	v_cmp_ne_u32_e32 vcc, 0, v102
	s_and_saveexec_b64 s[8:9], vcc
	s_cbranch_execz .LBB15_63
; %bb.60:
	v_mov_b32_e32 v101, 0x80
	v_lshl_add_u32 v104, v100, 3, v101
	v_mov_b32_e32 v101, 0
	s_mov_b64 s[10:11], 0
.LBB15_61:                              ; =>This Inner Loop Header: Depth=1
	v_cmp_eq_u32_e32 vcc, 1, v100
	v_cndmask_b32_e32 v105, v35, v37, vcc
	v_add_u32_e32 v102, -1, v102
	v_cmp_eq_u32_e64 s[2:3], 2, v100
	v_cndmask_b32_e64 v105, v105, v39, s[2:3]
	v_cndmask_b32_e32 v108, v34, v36, vcc
	v_cmp_eq_u32_e32 vcc, 0, v102
	v_cmp_eq_u32_e64 s[4:5], 3, v100
	v_cndmask_b32_e64 v105, v105, v41, s[4:5]
	v_cndmask_b32_e64 v108, v108, v38, s[2:3]
	s_or_b64 s[10:11], vcc, s[10:11]
	v_cmp_eq_u32_e32 vcc, 4, v100
	v_cndmask_b32_e32 v105, v105, v43, vcc
	v_cndmask_b32_e64 v108, v108, v40, s[4:5]
	v_cmp_eq_u32_e64 s[2:3], 5, v100
	v_cndmask_b32_e64 v105, v105, v45, s[2:3]
	v_cndmask_b32_e32 v108, v108, v42, vcc
	v_cmp_eq_u32_e32 vcc, 6, v100
	v_cndmask_b32_e32 v105, v105, v47, vcc
	v_cndmask_b32_e64 v108, v108, v44, s[2:3]
	v_cmp_eq_u32_e64 s[2:3], 7, v100
	v_cndmask_b32_e64 v105, v105, v49, s[2:3]
	v_cndmask_b32_e32 v108, v108, v46, vcc
	;; [unrolled: 6-line block ×4, first 2 shown]
	v_cmp_eq_u32_e32 vcc, 12, v100
	ds_read_b64 v[106:107], v104
	v_cndmask_b32_e32 v105, v105, v59, vcc
	v_cndmask_b32_e64 v108, v108, v56, s[2:3]
	v_cmp_eq_u32_e64 s[2:3], 13, v100
	v_cndmask_b32_e64 v105, v105, v61, s[2:3]
	v_cndmask_b32_e32 v108, v108, v58, vcc
	v_cmp_eq_u32_e32 vcc, 14, v100
	v_cndmask_b32_e32 v105, v105, v63, vcc
	v_cmp_eq_u32_e64 s[4:5], 15, v100
	v_cndmask_b32_e64 v108, v108, v60, s[2:3]
	v_cndmask_b32_e64 v109, v105, v65, s[4:5]
	v_cndmask_b32_e32 v105, v108, v62, vcc
	v_add_co_u32_e64 v100, s[2:3], 1, v100
	v_cndmask_b32_e64 v108, v105, v64, s[4:5]
	v_add_u32_e32 v104, 8, v104
	v_addc_co_u32_e64 v101, s[2:3], 0, v101, s[2:3]
	s_waitcnt lgkmcnt(0)
	v_fmac_f64_e32 v[98:99], v[108:109], v[106:107]
	s_andn2_b64 exec, exec, s[10:11]
	s_cbranch_execnz .LBB15_61
; %bb.62:
	s_or_b64 exec, exec, s[10:11]
.LBB15_63:
	s_or_b64 exec, exec, s[8:9]
.LBB15_64:
	s_or_b64 exec, exec, s[6:7]
	v_mov_b32_e32 v54, 0
	ds_read_b64 v[54:55], v54 offset:80
	s_waitcnt lgkmcnt(0)
	v_mul_f64 v[54:55], v[98:99], v[54:55]
.LBB15_65:
	s_or_b64 exec, exec, s[36:37]
	v_cmp_lt_u32_e64 s[2:3], 9, v0
	ds_write_b64 v103, v[52:53]
	s_waitcnt lgkmcnt(0)
	; wave barrier
	s_waitcnt lgkmcnt(0)
	s_and_saveexec_b64 s[36:37], s[2:3]
	s_cbranch_execz .LBB15_81
; %bb.66:
	s_andn2_b64 vcc, exec, s[34:35]
	s_cbranch_vccnz .LBB15_68
; %bb.67:
	v_cmp_eq_u32_e32 vcc, 1, v0
	v_cndmask_b32_e32 v98, v35, v37, vcc
	v_cmp_eq_u32_e64 s[4:5], 2, v0
	v_cndmask_b32_e64 v98, v98, v39, s[4:5]
	v_cmp_eq_u32_e64 s[6:7], 3, v0
	v_cndmask_b32_e64 v98, v98, v41, s[6:7]
	;; [unrolled: 2-line block ×14, first 2 shown]
	v_cndmask_b32_e32 v98, v34, v36, vcc
	v_cndmask_b32_e64 v98, v98, v38, s[4:5]
	v_cndmask_b32_e64 v98, v98, v40, s[6:7]
	;; [unrolled: 1-line block ×10, first 2 shown]
	ds_read_b64 v[100:101], v103
	v_cndmask_b32_e64 v98, v98, v58, s[24:25]
	v_cndmask_b32_e64 v98, v98, v60, s[26:27]
	;; [unrolled: 1-line block ×4, first 2 shown]
	s_waitcnt lgkmcnt(0)
	v_mul_f64 v[98:99], v[98:99], v[100:101]
	s_cbranch_execz .LBB15_69
	s_branch .LBB15_70
.LBB15_68:
                                        ; implicit-def: $vgpr98_vgpr99
.LBB15_69:
	ds_read_b64 v[98:99], v103
.LBB15_70:
	s_and_saveexec_b64 s[6:7], s[0:1]
	s_cbranch_execz .LBB15_80
; %bb.71:
	v_add_u32_e32 v100, -11, v0
	v_add_u32_e32 v101, -10, v0
	v_cmp_lt_u32_e32 vcc, 6, v100
	v_mov_b32_e32 v100, 10
	s_and_saveexec_b64 s[0:1], vcc
	s_cbranch_execz .LBB15_75
; %bb.72:
	v_and_b32_e32 v100, -8, v101
	v_sub_u32_e32 v102, 0, v100
	s_mov_b64 s[4:5], 17
	s_movk_i32 s10, 0xd0
	s_mov_b64 s[8:9], 0
.LBB15_73:                              ; =>This Inner Loop Header: Depth=1
	s_lshl_b32 s11, s4, 1
	s_add_i32 s12, s11, -13
	s_add_i32 s13, s11, -14
	s_set_gpr_idx_on s12, gpr_idx(SRC0)
	v_mov_b32_e32 v121, v34
	s_set_gpr_idx_off
	v_mov_b32_e32 v100, s10
	s_add_i32 s14, s11, -11
	s_set_gpr_idx_on s13, gpr_idx(SRC0)
	v_mov_b32_e32 v120, v34
	s_set_gpr_idx_off
	s_add_i32 s15, s11, -12
	ds_read_b128 v[104:107], v100
	ds_read_b128 v[108:111], v100 offset:16
	ds_read_b128 v[112:115], v100 offset:32
	ds_read_b128 v[116:119], v100 offset:48
	s_set_gpr_idx_on s14, gpr_idx(SRC0)
	v_mov_b32_e32 v123, v34
	s_set_gpr_idx_off
	s_add_i32 s16, s11, -9
	s_set_gpr_idx_on s15, gpr_idx(SRC0)
	v_mov_b32_e32 v122, v34
	s_set_gpr_idx_off
	s_add_i32 s17, s11, -10
	;; [unrolled: 4-line block ×4, first 2 shown]
	s_waitcnt lgkmcnt(3)
	v_fmac_f64_e32 v[98:99], v[120:121], v[104:105]
	s_set_gpr_idx_on s18, gpr_idx(SRC0)
	v_mov_b32_e32 v105, v34
	s_set_gpr_idx_off
	s_add_i32 s20, s11, -5
	v_fmac_f64_e32 v[98:99], v[122:123], v[106:107]
	s_set_gpr_idx_on s19, gpr_idx(SRC0)
	v_mov_b32_e32 v104, v34
	s_set_gpr_idx_off
	s_add_i32 s21, s11, -6
	s_waitcnt lgkmcnt(2)
	v_fmac_f64_e32 v[98:99], v[124:125], v[108:109]
	s_set_gpr_idx_on s20, gpr_idx(SRC0)
	v_mov_b32_e32 v107, v34
	s_set_gpr_idx_off
	s_add_i32 s22, s11, -3
	v_fmac_f64_e32 v[98:99], v[104:105], v[110:111]
	s_set_gpr_idx_on s21, gpr_idx(SRC0)
	v_mov_b32_e32 v106, v34
	s_set_gpr_idx_off
	s_add_i32 s23, s11, -4
	s_waitcnt lgkmcnt(1)
	v_fmac_f64_e32 v[98:99], v[106:107], v[112:113]
	s_set_gpr_idx_on s22, gpr_idx(SRC0)
	v_mov_b32_e32 v105, v34
	s_set_gpr_idx_off
	s_add_i32 s24, s11, -1
	s_set_gpr_idx_on s23, gpr_idx(SRC0)
	v_mov_b32_e32 v104, v34
	s_set_gpr_idx_off
	s_add_i32 s25, s11, -2
	v_fmac_f64_e32 v[98:99], v[104:105], v[114:115]
	s_set_gpr_idx_on s24, gpr_idx(SRC0)
	v_mov_b32_e32 v105, v34
	s_set_gpr_idx_off
	s_add_u32 s4, s4, 8
	s_set_gpr_idx_on s25, gpr_idx(SRC0)
	v_mov_b32_e32 v104, v34
	s_set_gpr_idx_off
	v_add_u32_e32 v100, s4, v102
	s_waitcnt lgkmcnt(0)
	v_fmac_f64_e32 v[98:99], v[104:105], v[116:117]
	s_set_gpr_idx_on s11, gpr_idx(SRC0)
	v_mov_b32_e32 v105, v35
	s_set_gpr_idx_off
	s_addc_u32 s5, s5, 0
	s_add_i32 s10, s10, 64
	s_add_i32 s12, s4, -7
	v_cmp_eq_u32_e32 vcc, 17, v100
	s_set_gpr_idx_on s11, gpr_idx(SRC0)
	v_mov_b32_e32 v104, v34
	s_set_gpr_idx_off
	v_mov_b32_e32 v100, s12
	s_or_b64 s[8:9], vcc, s[8:9]
	v_fmac_f64_e32 v[98:99], v[104:105], v[118:119]
	s_andn2_b64 exec, exec, s[8:9]
	s_cbranch_execnz .LBB15_73
; %bb.74:
	s_or_b64 exec, exec, s[8:9]
.LBB15_75:
	s_or_b64 exec, exec, s[0:1]
	v_and_b32_e32 v102, 7, v101
	v_cmp_ne_u32_e32 vcc, 0, v102
	s_and_saveexec_b64 s[8:9], vcc
	s_cbranch_execz .LBB15_79
; %bb.76:
	v_mov_b32_e32 v101, 0x80
	v_lshl_add_u32 v104, v100, 3, v101
	v_mov_b32_e32 v101, 0
	s_mov_b64 s[10:11], 0
.LBB15_77:                              ; =>This Inner Loop Header: Depth=1
	v_cmp_eq_u32_e32 vcc, 1, v100
	v_cndmask_b32_e32 v105, v35, v37, vcc
	v_add_u32_e32 v102, -1, v102
	v_cmp_eq_u32_e64 s[0:1], 2, v100
	v_cndmask_b32_e64 v105, v105, v39, s[0:1]
	v_cndmask_b32_e32 v108, v34, v36, vcc
	v_cmp_eq_u32_e32 vcc, 0, v102
	v_cmp_eq_u32_e64 s[4:5], 3, v100
	v_cndmask_b32_e64 v105, v105, v41, s[4:5]
	v_cndmask_b32_e64 v108, v108, v38, s[0:1]
	s_or_b64 s[10:11], vcc, s[10:11]
	v_cmp_eq_u32_e32 vcc, 4, v100
	v_cndmask_b32_e32 v105, v105, v43, vcc
	v_cndmask_b32_e64 v108, v108, v40, s[4:5]
	v_cmp_eq_u32_e64 s[0:1], 5, v100
	v_cndmask_b32_e64 v105, v105, v45, s[0:1]
	v_cndmask_b32_e32 v108, v108, v42, vcc
	v_cmp_eq_u32_e32 vcc, 6, v100
	v_cndmask_b32_e32 v105, v105, v47, vcc
	v_cndmask_b32_e64 v108, v108, v44, s[0:1]
	v_cmp_eq_u32_e64 s[0:1], 7, v100
	v_cndmask_b32_e64 v105, v105, v49, s[0:1]
	v_cndmask_b32_e32 v108, v108, v46, vcc
	;; [unrolled: 6-line block ×4, first 2 shown]
	v_cmp_eq_u32_e32 vcc, 12, v100
	ds_read_b64 v[106:107], v104
	v_cndmask_b32_e32 v105, v105, v59, vcc
	v_cndmask_b32_e64 v108, v108, v56, s[0:1]
	v_cmp_eq_u32_e64 s[0:1], 13, v100
	v_cndmask_b32_e64 v105, v105, v61, s[0:1]
	v_cndmask_b32_e32 v108, v108, v58, vcc
	v_cmp_eq_u32_e32 vcc, 14, v100
	v_cndmask_b32_e32 v105, v105, v63, vcc
	v_cmp_eq_u32_e64 s[4:5], 15, v100
	v_cndmask_b32_e64 v108, v108, v60, s[0:1]
	v_cndmask_b32_e64 v109, v105, v65, s[4:5]
	v_cndmask_b32_e32 v105, v108, v62, vcc
	v_add_co_u32_e64 v100, s[0:1], 1, v100
	v_cndmask_b32_e64 v108, v105, v64, s[4:5]
	v_add_u32_e32 v104, 8, v104
	v_addc_co_u32_e64 v101, s[0:1], 0, v101, s[0:1]
	s_waitcnt lgkmcnt(0)
	v_fmac_f64_e32 v[98:99], v[108:109], v[106:107]
	s_andn2_b64 exec, exec, s[10:11]
	s_cbranch_execnz .LBB15_77
; %bb.78:
	s_or_b64 exec, exec, s[10:11]
.LBB15_79:
	s_or_b64 exec, exec, s[8:9]
.LBB15_80:
	s_or_b64 exec, exec, s[6:7]
	v_mov_b32_e32 v52, 0
	ds_read_b64 v[52:53], v52 offset:72
	s_waitcnt lgkmcnt(0)
	v_mul_f64 v[52:53], v[98:99], v[52:53]
.LBB15_81:
	s_or_b64 exec, exec, s[36:37]
	v_cmp_lt_u32_e64 s[0:1], 8, v0
	ds_write_b64 v103, v[50:51]
	s_waitcnt lgkmcnt(0)
	; wave barrier
	s_waitcnt lgkmcnt(0)
	s_and_saveexec_b64 s[36:37], s[0:1]
	s_cbranch_execz .LBB15_97
; %bb.82:
	s_andn2_b64 vcc, exec, s[34:35]
	s_cbranch_vccnz .LBB15_84
; %bb.83:
	v_cmp_eq_u32_e32 vcc, 1, v0
	v_cndmask_b32_e32 v98, v35, v37, vcc
	v_cmp_eq_u32_e64 s[4:5], 2, v0
	v_cndmask_b32_e64 v98, v98, v39, s[4:5]
	v_cmp_eq_u32_e64 s[6:7], 3, v0
	v_cndmask_b32_e64 v98, v98, v41, s[6:7]
	;; [unrolled: 2-line block ×14, first 2 shown]
	v_cndmask_b32_e32 v98, v34, v36, vcc
	v_cndmask_b32_e64 v98, v98, v38, s[4:5]
	v_cndmask_b32_e64 v98, v98, v40, s[6:7]
	;; [unrolled: 1-line block ×10, first 2 shown]
	ds_read_b64 v[100:101], v103
	v_cndmask_b32_e64 v98, v98, v58, s[24:25]
	v_cndmask_b32_e64 v98, v98, v60, s[26:27]
	v_cndmask_b32_e64 v98, v98, v62, s[28:29]
	v_cndmask_b32_e64 v98, v98, v64, s[30:31]
	s_waitcnt lgkmcnt(0)
	v_mul_f64 v[98:99], v[98:99], v[100:101]
	s_cbranch_execz .LBB15_85
	s_branch .LBB15_86
.LBB15_84:
                                        ; implicit-def: $vgpr98_vgpr99
.LBB15_85:
	ds_read_b64 v[98:99], v103
.LBB15_86:
	s_and_saveexec_b64 s[6:7], s[2:3]
	s_cbranch_execz .LBB15_96
; %bb.87:
	v_add_u32_e32 v100, -10, v0
	v_add_u32_e32 v101, -9, v0
	v_cmp_lt_u32_e32 vcc, 6, v100
	v_mov_b32_e32 v100, 9
	s_and_saveexec_b64 s[2:3], vcc
	s_cbranch_execz .LBB15_91
; %bb.88:
	v_and_b32_e32 v100, -8, v101
	v_sub_u32_e32 v102, 0, v100
	s_mov_b64 s[4:5], 16
	s_movk_i32 s10, 0xc8
	s_mov_b64 s[8:9], 0
.LBB15_89:                              ; =>This Inner Loop Header: Depth=1
	s_lshl_b32 s11, s4, 1
	s_add_i32 s12, s11, -13
	v_mov_b32_e32 v118, s10
	s_add_i32 s13, s11, -14
	s_set_gpr_idx_on s12, gpr_idx(SRC0)
	v_mov_b32_e32 v113, v34
	s_set_gpr_idx_off
	s_add_i32 s14, s11, -11
	s_set_gpr_idx_on s13, gpr_idx(SRC0)
	v_mov_b32_e32 v112, v34
	s_set_gpr_idx_off
	ds_read2_b64 v[104:107], v118 offset1:1
	s_add_i32 s15, s11, -12
	s_set_gpr_idx_on s14, gpr_idx(SRC0)
	v_mov_b32_e32 v115, v34
	s_set_gpr_idx_off
	s_add_i32 s16, s11, -9
	s_set_gpr_idx_on s15, gpr_idx(SRC0)
	v_mov_b32_e32 v114, v34
	s_set_gpr_idx_off
	;; [unrolled: 4-line block ×4, first 2 shown]
	ds_read2_b64 v[108:111], v118 offset0:2 offset1:3
	s_add_i32 s19, s11, -8
	s_waitcnt lgkmcnt(1)
	v_fmac_f64_e32 v[98:99], v[112:113], v[104:105]
	s_set_gpr_idx_on s18, gpr_idx(SRC0)
	v_mov_b32_e32 v113, v34
	s_set_gpr_idx_off
	s_add_i32 s20, s11, -5
	v_fmac_f64_e32 v[98:99], v[114:115], v[106:107]
	s_set_gpr_idx_on s19, gpr_idx(SRC0)
	v_mov_b32_e32 v112, v34
	s_set_gpr_idx_off
	s_add_i32 s21, s11, -6
	s_set_gpr_idx_on s20, gpr_idx(SRC0)
	v_mov_b32_e32 v115, v34
	s_set_gpr_idx_off
	s_add_i32 s22, s11, -3
	s_set_gpr_idx_on s21, gpr_idx(SRC0)
	v_mov_b32_e32 v114, v34
	s_set_gpr_idx_off
	s_add_i32 s23, s11, -4
	ds_read2_b64 v[104:107], v118 offset0:4 offset1:5
	s_waitcnt lgkmcnt(1)
	v_fmac_f64_e32 v[98:99], v[116:117], v[108:109]
	s_set_gpr_idx_on s22, gpr_idx(SRC0)
	v_mov_b32_e32 v117, v34
	s_set_gpr_idx_off
	s_add_i32 s24, s11, -1
	v_fmac_f64_e32 v[98:99], v[112:113], v[110:111]
	s_set_gpr_idx_on s23, gpr_idx(SRC0)
	v_mov_b32_e32 v116, v34
	s_set_gpr_idx_off
	s_add_i32 s25, s11, -2
	s_set_gpr_idx_on s24, gpr_idx(SRC0)
	v_mov_b32_e32 v113, v34
	s_set_gpr_idx_off
	s_set_gpr_idx_on s25, gpr_idx(SRC0)
	v_mov_b32_e32 v112, v34
	s_set_gpr_idx_off
	ds_read2_b64 v[108:111], v118 offset0:6 offset1:7
	s_add_u32 s4, s4, 8
	s_waitcnt lgkmcnt(1)
	v_fmac_f64_e32 v[98:99], v[114:115], v[104:105]
	s_set_gpr_idx_on s11, gpr_idx(SRC0)
	v_mov_b32_e32 v105, v35
	s_set_gpr_idx_off
	v_add_u32_e32 v100, s4, v102
	v_fmac_f64_e32 v[98:99], v[116:117], v[106:107]
	s_set_gpr_idx_on s11, gpr_idx(SRC0)
	v_mov_b32_e32 v104, v34
	s_set_gpr_idx_off
	s_addc_u32 s5, s5, 0
	s_add_i32 s10, s10, 64
	s_add_i32 s12, s4, -7
	v_cmp_eq_u32_e32 vcc, 16, v100
	s_waitcnt lgkmcnt(0)
	v_fmac_f64_e32 v[98:99], v[112:113], v[108:109]
	v_mov_b32_e32 v100, s12
	s_or_b64 s[8:9], vcc, s[8:9]
	v_fmac_f64_e32 v[98:99], v[104:105], v[110:111]
	s_andn2_b64 exec, exec, s[8:9]
	s_cbranch_execnz .LBB15_89
; %bb.90:
	s_or_b64 exec, exec, s[8:9]
.LBB15_91:
	s_or_b64 exec, exec, s[2:3]
	v_and_b32_e32 v102, 7, v101
	v_cmp_ne_u32_e32 vcc, 0, v102
	s_and_saveexec_b64 s[8:9], vcc
	s_cbranch_execz .LBB15_95
; %bb.92:
	v_mov_b32_e32 v101, 0x80
	v_lshl_add_u32 v104, v100, 3, v101
	v_mov_b32_e32 v101, 0
	s_mov_b64 s[10:11], 0
.LBB15_93:                              ; =>This Inner Loop Header: Depth=1
	v_cmp_eq_u32_e32 vcc, 1, v100
	v_cndmask_b32_e32 v105, v35, v37, vcc
	v_add_u32_e32 v102, -1, v102
	v_cmp_eq_u32_e64 s[2:3], 2, v100
	v_cndmask_b32_e64 v105, v105, v39, s[2:3]
	v_cndmask_b32_e32 v108, v34, v36, vcc
	v_cmp_eq_u32_e32 vcc, 0, v102
	v_cmp_eq_u32_e64 s[4:5], 3, v100
	v_cndmask_b32_e64 v105, v105, v41, s[4:5]
	v_cndmask_b32_e64 v108, v108, v38, s[2:3]
	s_or_b64 s[10:11], vcc, s[10:11]
	v_cmp_eq_u32_e32 vcc, 4, v100
	v_cndmask_b32_e32 v105, v105, v43, vcc
	v_cndmask_b32_e64 v108, v108, v40, s[4:5]
	v_cmp_eq_u32_e64 s[2:3], 5, v100
	v_cndmask_b32_e64 v105, v105, v45, s[2:3]
	v_cndmask_b32_e32 v108, v108, v42, vcc
	v_cmp_eq_u32_e32 vcc, 6, v100
	v_cndmask_b32_e32 v105, v105, v47, vcc
	v_cndmask_b32_e64 v108, v108, v44, s[2:3]
	v_cmp_eq_u32_e64 s[2:3], 7, v100
	v_cndmask_b32_e64 v105, v105, v49, s[2:3]
	v_cndmask_b32_e32 v108, v108, v46, vcc
	;; [unrolled: 6-line block ×4, first 2 shown]
	v_cmp_eq_u32_e32 vcc, 12, v100
	ds_read_b64 v[106:107], v104
	v_cndmask_b32_e32 v105, v105, v59, vcc
	v_cndmask_b32_e64 v108, v108, v56, s[2:3]
	v_cmp_eq_u32_e64 s[2:3], 13, v100
	v_cndmask_b32_e64 v105, v105, v61, s[2:3]
	v_cndmask_b32_e32 v108, v108, v58, vcc
	v_cmp_eq_u32_e32 vcc, 14, v100
	v_cndmask_b32_e32 v105, v105, v63, vcc
	v_cmp_eq_u32_e64 s[4:5], 15, v100
	v_cndmask_b32_e64 v108, v108, v60, s[2:3]
	v_cndmask_b32_e64 v109, v105, v65, s[4:5]
	v_cndmask_b32_e32 v105, v108, v62, vcc
	v_add_co_u32_e64 v100, s[2:3], 1, v100
	v_cndmask_b32_e64 v108, v105, v64, s[4:5]
	v_add_u32_e32 v104, 8, v104
	v_addc_co_u32_e64 v101, s[2:3], 0, v101, s[2:3]
	s_waitcnt lgkmcnt(0)
	v_fmac_f64_e32 v[98:99], v[108:109], v[106:107]
	s_andn2_b64 exec, exec, s[10:11]
	s_cbranch_execnz .LBB15_93
; %bb.94:
	s_or_b64 exec, exec, s[10:11]
.LBB15_95:
	s_or_b64 exec, exec, s[8:9]
.LBB15_96:
	s_or_b64 exec, exec, s[6:7]
	v_mov_b32_e32 v50, 0
	ds_read_b64 v[50:51], v50 offset:64
	s_waitcnt lgkmcnt(0)
	v_mul_f64 v[50:51], v[98:99], v[50:51]
.LBB15_97:
	s_or_b64 exec, exec, s[36:37]
	v_cmp_lt_u32_e64 s[2:3], 7, v0
	ds_write_b64 v103, v[48:49]
	s_waitcnt lgkmcnt(0)
	; wave barrier
	s_waitcnt lgkmcnt(0)
	s_and_saveexec_b64 s[36:37], s[2:3]
	s_cbranch_execz .LBB15_113
; %bb.98:
	s_andn2_b64 vcc, exec, s[34:35]
	s_cbranch_vccnz .LBB15_100
; %bb.99:
	v_cmp_eq_u32_e32 vcc, 1, v0
	v_cndmask_b32_e32 v98, v35, v37, vcc
	v_cmp_eq_u32_e64 s[4:5], 2, v0
	v_cndmask_b32_e64 v98, v98, v39, s[4:5]
	v_cmp_eq_u32_e64 s[6:7], 3, v0
	v_cndmask_b32_e64 v98, v98, v41, s[6:7]
	;; [unrolled: 2-line block ×14, first 2 shown]
	v_cndmask_b32_e32 v98, v34, v36, vcc
	v_cndmask_b32_e64 v98, v98, v38, s[4:5]
	v_cndmask_b32_e64 v98, v98, v40, s[6:7]
	;; [unrolled: 1-line block ×10, first 2 shown]
	ds_read_b64 v[100:101], v103
	v_cndmask_b32_e64 v98, v98, v58, s[24:25]
	v_cndmask_b32_e64 v98, v98, v60, s[26:27]
	;; [unrolled: 1-line block ×4, first 2 shown]
	s_waitcnt lgkmcnt(0)
	v_mul_f64 v[98:99], v[98:99], v[100:101]
	s_cbranch_execz .LBB15_101
	s_branch .LBB15_102
.LBB15_100:
                                        ; implicit-def: $vgpr98_vgpr99
.LBB15_101:
	ds_read_b64 v[98:99], v103
.LBB15_102:
	s_and_saveexec_b64 s[6:7], s[0:1]
	s_cbranch_execz .LBB15_112
; %bb.103:
	v_add_u32_e32 v100, -9, v0
	v_cmp_lt_u32_e32 vcc, 6, v100
	v_mov_b32_e32 v100, 8
	s_and_saveexec_b64 s[0:1], vcc
	s_cbranch_execz .LBB15_107
; %bb.104:
	v_and_b32_e32 v100, 8, v0
	v_sub_u32_e32 v102, 0, v100
	s_mov_b64 s[4:5], 15
	s_movk_i32 s10, 0xc0
	s_mov_b64 s[8:9], 0
.LBB15_105:                             ; =>This Inner Loop Header: Depth=1
	s_lshl_b32 s11, s4, 1
	s_add_i32 s12, s11, -13
	s_add_i32 s13, s11, -14
	s_set_gpr_idx_on s12, gpr_idx(SRC0)
	v_mov_b32_e32 v121, v34
	s_set_gpr_idx_off
	v_mov_b32_e32 v100, s10
	s_add_i32 s14, s11, -11
	s_set_gpr_idx_on s13, gpr_idx(SRC0)
	v_mov_b32_e32 v120, v34
	s_set_gpr_idx_off
	s_add_i32 s15, s11, -12
	ds_read_b128 v[104:107], v100
	ds_read_b128 v[108:111], v100 offset:16
	ds_read_b128 v[112:115], v100 offset:32
	;; [unrolled: 1-line block ×3, first 2 shown]
	s_set_gpr_idx_on s14, gpr_idx(SRC0)
	v_mov_b32_e32 v123, v34
	s_set_gpr_idx_off
	s_add_i32 s16, s11, -9
	s_set_gpr_idx_on s15, gpr_idx(SRC0)
	v_mov_b32_e32 v122, v34
	s_set_gpr_idx_off
	s_add_i32 s17, s11, -10
	;; [unrolled: 4-line block ×4, first 2 shown]
	s_waitcnt lgkmcnt(3)
	v_fmac_f64_e32 v[98:99], v[120:121], v[104:105]
	s_set_gpr_idx_on s18, gpr_idx(SRC0)
	v_mov_b32_e32 v105, v34
	s_set_gpr_idx_off
	s_add_i32 s20, s11, -5
	v_fmac_f64_e32 v[98:99], v[122:123], v[106:107]
	s_set_gpr_idx_on s19, gpr_idx(SRC0)
	v_mov_b32_e32 v104, v34
	s_set_gpr_idx_off
	s_add_i32 s21, s11, -6
	s_waitcnt lgkmcnt(2)
	v_fmac_f64_e32 v[98:99], v[124:125], v[108:109]
	s_set_gpr_idx_on s20, gpr_idx(SRC0)
	v_mov_b32_e32 v107, v34
	s_set_gpr_idx_off
	s_add_i32 s22, s11, -3
	v_fmac_f64_e32 v[98:99], v[104:105], v[110:111]
	s_set_gpr_idx_on s21, gpr_idx(SRC0)
	v_mov_b32_e32 v106, v34
	s_set_gpr_idx_off
	s_add_i32 s23, s11, -4
	s_waitcnt lgkmcnt(1)
	v_fmac_f64_e32 v[98:99], v[106:107], v[112:113]
	s_set_gpr_idx_on s22, gpr_idx(SRC0)
	v_mov_b32_e32 v105, v34
	s_set_gpr_idx_off
	s_add_i32 s24, s11, -1
	s_set_gpr_idx_on s23, gpr_idx(SRC0)
	v_mov_b32_e32 v104, v34
	s_set_gpr_idx_off
	s_add_i32 s25, s11, -2
	v_fmac_f64_e32 v[98:99], v[104:105], v[114:115]
	s_set_gpr_idx_on s24, gpr_idx(SRC0)
	v_mov_b32_e32 v105, v34
	s_set_gpr_idx_off
	s_add_u32 s4, s4, 8
	s_set_gpr_idx_on s25, gpr_idx(SRC0)
	v_mov_b32_e32 v104, v34
	s_set_gpr_idx_off
	v_add_u32_e32 v100, s4, v102
	s_waitcnt lgkmcnt(0)
	v_fmac_f64_e32 v[98:99], v[104:105], v[116:117]
	s_set_gpr_idx_on s11, gpr_idx(SRC0)
	v_mov_b32_e32 v105, v35
	s_set_gpr_idx_off
	s_addc_u32 s5, s5, 0
	s_add_i32 s10, s10, 64
	s_add_i32 s12, s4, -7
	v_cmp_eq_u32_e32 vcc, 7, v100
	s_set_gpr_idx_on s11, gpr_idx(SRC0)
	v_mov_b32_e32 v104, v34
	s_set_gpr_idx_off
	v_mov_b32_e32 v100, s12
	s_or_b64 s[8:9], vcc, s[8:9]
	v_fmac_f64_e32 v[98:99], v[104:105], v[118:119]
	s_andn2_b64 exec, exec, s[8:9]
	s_cbranch_execnz .LBB15_105
; %bb.106:
	s_or_b64 exec, exec, s[8:9]
.LBB15_107:
	s_or_b64 exec, exec, s[0:1]
	v_and_b32_e32 v102, 7, v0
	v_cmp_ne_u32_e32 vcc, 0, v102
	s_and_saveexec_b64 s[8:9], vcc
	s_cbranch_execz .LBB15_111
; %bb.108:
	v_mov_b32_e32 v101, 0x80
	v_lshl_add_u32 v104, v100, 3, v101
	v_mov_b32_e32 v101, 0
	s_mov_b64 s[10:11], 0
.LBB15_109:                             ; =>This Inner Loop Header: Depth=1
	v_cmp_eq_u32_e32 vcc, 1, v100
	v_cndmask_b32_e32 v105, v35, v37, vcc
	v_add_u32_e32 v102, -1, v102
	v_cmp_eq_u32_e64 s[0:1], 2, v100
	v_cndmask_b32_e64 v105, v105, v39, s[0:1]
	v_cndmask_b32_e32 v108, v34, v36, vcc
	v_cmp_eq_u32_e32 vcc, 0, v102
	v_cmp_eq_u32_e64 s[4:5], 3, v100
	v_cndmask_b32_e64 v105, v105, v41, s[4:5]
	v_cndmask_b32_e64 v108, v108, v38, s[0:1]
	s_or_b64 s[10:11], vcc, s[10:11]
	v_cmp_eq_u32_e32 vcc, 4, v100
	v_cndmask_b32_e32 v105, v105, v43, vcc
	v_cndmask_b32_e64 v108, v108, v40, s[4:5]
	v_cmp_eq_u32_e64 s[0:1], 5, v100
	v_cndmask_b32_e64 v105, v105, v45, s[0:1]
	v_cndmask_b32_e32 v108, v108, v42, vcc
	v_cmp_eq_u32_e32 vcc, 6, v100
	v_cndmask_b32_e32 v105, v105, v47, vcc
	v_cndmask_b32_e64 v108, v108, v44, s[0:1]
	v_cmp_eq_u32_e64 s[0:1], 7, v100
	v_cndmask_b32_e64 v105, v105, v49, s[0:1]
	v_cndmask_b32_e32 v108, v108, v46, vcc
	;; [unrolled: 6-line block ×4, first 2 shown]
	v_cmp_eq_u32_e32 vcc, 12, v100
	ds_read_b64 v[106:107], v104
	v_cndmask_b32_e32 v105, v105, v59, vcc
	v_cndmask_b32_e64 v108, v108, v56, s[0:1]
	v_cmp_eq_u32_e64 s[0:1], 13, v100
	v_cndmask_b32_e64 v105, v105, v61, s[0:1]
	v_cndmask_b32_e32 v108, v108, v58, vcc
	v_cmp_eq_u32_e32 vcc, 14, v100
	v_cndmask_b32_e32 v105, v105, v63, vcc
	v_cmp_eq_u32_e64 s[4:5], 15, v100
	v_cndmask_b32_e64 v108, v108, v60, s[0:1]
	v_cndmask_b32_e64 v109, v105, v65, s[4:5]
	v_cndmask_b32_e32 v105, v108, v62, vcc
	v_add_co_u32_e64 v100, s[0:1], 1, v100
	v_cndmask_b32_e64 v108, v105, v64, s[4:5]
	v_add_u32_e32 v104, 8, v104
	v_addc_co_u32_e64 v101, s[0:1], 0, v101, s[0:1]
	s_waitcnt lgkmcnt(0)
	v_fmac_f64_e32 v[98:99], v[108:109], v[106:107]
	s_andn2_b64 exec, exec, s[10:11]
	s_cbranch_execnz .LBB15_109
; %bb.110:
	s_or_b64 exec, exec, s[10:11]
.LBB15_111:
	s_or_b64 exec, exec, s[8:9]
.LBB15_112:
	s_or_b64 exec, exec, s[6:7]
	v_mov_b32_e32 v48, 0
	ds_read_b64 v[48:49], v48 offset:56
	s_waitcnt lgkmcnt(0)
	v_mul_f64 v[48:49], v[98:99], v[48:49]
.LBB15_113:
	s_or_b64 exec, exec, s[36:37]
	v_cmp_lt_u32_e64 s[0:1], 6, v0
	ds_write_b64 v103, v[46:47]
	s_waitcnt lgkmcnt(0)
	; wave barrier
	s_waitcnt lgkmcnt(0)
	s_and_saveexec_b64 s[36:37], s[0:1]
	s_cbranch_execz .LBB15_129
; %bb.114:
	s_andn2_b64 vcc, exec, s[34:35]
	s_cbranch_vccnz .LBB15_116
; %bb.115:
	v_cmp_eq_u32_e32 vcc, 1, v0
	v_cndmask_b32_e32 v98, v35, v37, vcc
	v_cmp_eq_u32_e64 s[4:5], 2, v0
	v_cndmask_b32_e64 v98, v98, v39, s[4:5]
	v_cmp_eq_u32_e64 s[6:7], 3, v0
	v_cndmask_b32_e64 v98, v98, v41, s[6:7]
	;; [unrolled: 2-line block ×14, first 2 shown]
	v_cndmask_b32_e32 v98, v34, v36, vcc
	v_cndmask_b32_e64 v98, v98, v38, s[4:5]
	v_cndmask_b32_e64 v98, v98, v40, s[6:7]
	;; [unrolled: 1-line block ×10, first 2 shown]
	ds_read_b64 v[100:101], v103
	v_cndmask_b32_e64 v98, v98, v58, s[24:25]
	v_cndmask_b32_e64 v98, v98, v60, s[26:27]
	;; [unrolled: 1-line block ×4, first 2 shown]
	s_waitcnt lgkmcnt(0)
	v_mul_f64 v[98:99], v[98:99], v[100:101]
	s_cbranch_execz .LBB15_117
	s_branch .LBB15_118
.LBB15_116:
                                        ; implicit-def: $vgpr98_vgpr99
.LBB15_117:
	ds_read_b64 v[98:99], v103
.LBB15_118:
	s_and_saveexec_b64 s[6:7], s[2:3]
	s_cbranch_execz .LBB15_128
; %bb.119:
	v_add_u32_e32 v100, -8, v0
	v_add_u32_e32 v101, -7, v0
	v_cmp_lt_u32_e32 vcc, 6, v100
	v_mov_b32_e32 v100, 7
	s_and_saveexec_b64 s[2:3], vcc
	s_cbranch_execz .LBB15_123
; %bb.120:
	v_and_b32_e32 v100, -8, v101
	v_sub_u32_e32 v102, 0, v100
	s_mov_b64 s[4:5], 14
	s_movk_i32 s10, 0xb8
	s_mov_b64 s[8:9], 0
.LBB15_121:                             ; =>This Inner Loop Header: Depth=1
	s_lshl_b32 s11, s4, 1
	s_add_i32 s12, s11, -13
	v_mov_b32_e32 v118, s10
	s_add_i32 s13, s11, -14
	s_set_gpr_idx_on s12, gpr_idx(SRC0)
	v_mov_b32_e32 v113, v34
	s_set_gpr_idx_off
	s_add_i32 s14, s11, -11
	s_set_gpr_idx_on s13, gpr_idx(SRC0)
	v_mov_b32_e32 v112, v34
	s_set_gpr_idx_off
	ds_read2_b64 v[104:107], v118 offset1:1
	s_add_i32 s15, s11, -12
	s_set_gpr_idx_on s14, gpr_idx(SRC0)
	v_mov_b32_e32 v115, v34
	s_set_gpr_idx_off
	s_add_i32 s16, s11, -9
	s_set_gpr_idx_on s15, gpr_idx(SRC0)
	v_mov_b32_e32 v114, v34
	s_set_gpr_idx_off
	;; [unrolled: 4-line block ×4, first 2 shown]
	ds_read2_b64 v[108:111], v118 offset0:2 offset1:3
	s_add_i32 s19, s11, -8
	s_waitcnt lgkmcnt(1)
	v_fmac_f64_e32 v[98:99], v[112:113], v[104:105]
	s_set_gpr_idx_on s18, gpr_idx(SRC0)
	v_mov_b32_e32 v113, v34
	s_set_gpr_idx_off
	s_add_i32 s20, s11, -5
	v_fmac_f64_e32 v[98:99], v[114:115], v[106:107]
	s_set_gpr_idx_on s19, gpr_idx(SRC0)
	v_mov_b32_e32 v112, v34
	s_set_gpr_idx_off
	s_add_i32 s21, s11, -6
	s_set_gpr_idx_on s20, gpr_idx(SRC0)
	v_mov_b32_e32 v115, v34
	s_set_gpr_idx_off
	s_add_i32 s22, s11, -3
	;; [unrolled: 4-line block ×3, first 2 shown]
	ds_read2_b64 v[104:107], v118 offset0:4 offset1:5
	s_waitcnt lgkmcnt(1)
	v_fmac_f64_e32 v[98:99], v[116:117], v[108:109]
	s_set_gpr_idx_on s22, gpr_idx(SRC0)
	v_mov_b32_e32 v117, v34
	s_set_gpr_idx_off
	s_add_i32 s24, s11, -1
	v_fmac_f64_e32 v[98:99], v[112:113], v[110:111]
	s_set_gpr_idx_on s23, gpr_idx(SRC0)
	v_mov_b32_e32 v116, v34
	s_set_gpr_idx_off
	s_add_i32 s25, s11, -2
	s_set_gpr_idx_on s24, gpr_idx(SRC0)
	v_mov_b32_e32 v113, v34
	s_set_gpr_idx_off
	s_set_gpr_idx_on s25, gpr_idx(SRC0)
	v_mov_b32_e32 v112, v34
	s_set_gpr_idx_off
	ds_read2_b64 v[108:111], v118 offset0:6 offset1:7
	s_add_u32 s4, s4, 8
	s_waitcnt lgkmcnt(1)
	v_fmac_f64_e32 v[98:99], v[114:115], v[104:105]
	s_set_gpr_idx_on s11, gpr_idx(SRC0)
	v_mov_b32_e32 v105, v35
	s_set_gpr_idx_off
	v_add_u32_e32 v100, s4, v102
	v_fmac_f64_e32 v[98:99], v[116:117], v[106:107]
	s_set_gpr_idx_on s11, gpr_idx(SRC0)
	v_mov_b32_e32 v104, v34
	s_set_gpr_idx_off
	s_addc_u32 s5, s5, 0
	s_add_i32 s10, s10, 64
	s_add_i32 s12, s4, -7
	v_cmp_eq_u32_e32 vcc, 14, v100
	s_waitcnt lgkmcnt(0)
	v_fmac_f64_e32 v[98:99], v[112:113], v[108:109]
	v_mov_b32_e32 v100, s12
	s_or_b64 s[8:9], vcc, s[8:9]
	v_fmac_f64_e32 v[98:99], v[104:105], v[110:111]
	s_andn2_b64 exec, exec, s[8:9]
	s_cbranch_execnz .LBB15_121
; %bb.122:
	s_or_b64 exec, exec, s[8:9]
.LBB15_123:
	s_or_b64 exec, exec, s[2:3]
	v_and_b32_e32 v102, 7, v101
	v_cmp_ne_u32_e32 vcc, 0, v102
	s_and_saveexec_b64 s[8:9], vcc
	s_cbranch_execz .LBB15_127
; %bb.124:
	v_mov_b32_e32 v101, 0x80
	v_lshl_add_u32 v104, v100, 3, v101
	v_mov_b32_e32 v101, 0
	s_mov_b64 s[10:11], 0
.LBB15_125:                             ; =>This Inner Loop Header: Depth=1
	v_cmp_eq_u32_e32 vcc, 1, v100
	v_cndmask_b32_e32 v105, v35, v37, vcc
	v_add_u32_e32 v102, -1, v102
	v_cmp_eq_u32_e64 s[2:3], 2, v100
	v_cndmask_b32_e64 v105, v105, v39, s[2:3]
	v_cndmask_b32_e32 v108, v34, v36, vcc
	v_cmp_eq_u32_e32 vcc, 0, v102
	v_cmp_eq_u32_e64 s[4:5], 3, v100
	v_cndmask_b32_e64 v105, v105, v41, s[4:5]
	v_cndmask_b32_e64 v108, v108, v38, s[2:3]
	s_or_b64 s[10:11], vcc, s[10:11]
	v_cmp_eq_u32_e32 vcc, 4, v100
	v_cndmask_b32_e32 v105, v105, v43, vcc
	v_cndmask_b32_e64 v108, v108, v40, s[4:5]
	v_cmp_eq_u32_e64 s[2:3], 5, v100
	v_cndmask_b32_e64 v105, v105, v45, s[2:3]
	v_cndmask_b32_e32 v108, v108, v42, vcc
	v_cmp_eq_u32_e32 vcc, 6, v100
	v_cndmask_b32_e32 v105, v105, v47, vcc
	v_cndmask_b32_e64 v108, v108, v44, s[2:3]
	v_cmp_eq_u32_e64 s[2:3], 7, v100
	v_cndmask_b32_e64 v105, v105, v49, s[2:3]
	v_cndmask_b32_e32 v108, v108, v46, vcc
	;; [unrolled: 6-line block ×4, first 2 shown]
	v_cmp_eq_u32_e32 vcc, 12, v100
	ds_read_b64 v[106:107], v104
	v_cndmask_b32_e32 v105, v105, v59, vcc
	v_cndmask_b32_e64 v108, v108, v56, s[2:3]
	v_cmp_eq_u32_e64 s[2:3], 13, v100
	v_cndmask_b32_e64 v105, v105, v61, s[2:3]
	v_cndmask_b32_e32 v108, v108, v58, vcc
	v_cmp_eq_u32_e32 vcc, 14, v100
	v_cndmask_b32_e32 v105, v105, v63, vcc
	v_cmp_eq_u32_e64 s[4:5], 15, v100
	v_cndmask_b32_e64 v108, v108, v60, s[2:3]
	v_cndmask_b32_e64 v109, v105, v65, s[4:5]
	v_cndmask_b32_e32 v105, v108, v62, vcc
	v_add_co_u32_e64 v100, s[2:3], 1, v100
	v_cndmask_b32_e64 v108, v105, v64, s[4:5]
	v_add_u32_e32 v104, 8, v104
	v_addc_co_u32_e64 v101, s[2:3], 0, v101, s[2:3]
	s_waitcnt lgkmcnt(0)
	v_fmac_f64_e32 v[98:99], v[108:109], v[106:107]
	s_andn2_b64 exec, exec, s[10:11]
	s_cbranch_execnz .LBB15_125
; %bb.126:
	s_or_b64 exec, exec, s[10:11]
.LBB15_127:
	s_or_b64 exec, exec, s[8:9]
.LBB15_128:
	s_or_b64 exec, exec, s[6:7]
	v_mov_b32_e32 v46, 0
	ds_read_b64 v[46:47], v46 offset:48
	s_waitcnt lgkmcnt(0)
	v_mul_f64 v[46:47], v[98:99], v[46:47]
.LBB15_129:
	s_or_b64 exec, exec, s[36:37]
	v_cmp_lt_u32_e64 s[2:3], 5, v0
	ds_write_b64 v103, v[44:45]
	s_waitcnt lgkmcnt(0)
	; wave barrier
	s_waitcnt lgkmcnt(0)
	s_and_saveexec_b64 s[36:37], s[2:3]
	s_cbranch_execz .LBB15_145
; %bb.130:
	s_andn2_b64 vcc, exec, s[34:35]
	s_cbranch_vccnz .LBB15_132
; %bb.131:
	v_cmp_eq_u32_e32 vcc, 1, v0
	v_cndmask_b32_e32 v98, v35, v37, vcc
	v_cmp_eq_u32_e64 s[4:5], 2, v0
	v_cndmask_b32_e64 v98, v98, v39, s[4:5]
	v_cmp_eq_u32_e64 s[6:7], 3, v0
	v_cndmask_b32_e64 v98, v98, v41, s[6:7]
	;; [unrolled: 2-line block ×14, first 2 shown]
	v_cndmask_b32_e32 v98, v34, v36, vcc
	v_cndmask_b32_e64 v98, v98, v38, s[4:5]
	v_cndmask_b32_e64 v98, v98, v40, s[6:7]
	;; [unrolled: 1-line block ×10, first 2 shown]
	ds_read_b64 v[100:101], v103
	v_cndmask_b32_e64 v98, v98, v58, s[24:25]
	v_cndmask_b32_e64 v98, v98, v60, s[26:27]
	;; [unrolled: 1-line block ×4, first 2 shown]
	s_waitcnt lgkmcnt(0)
	v_mul_f64 v[98:99], v[98:99], v[100:101]
	s_cbranch_execz .LBB15_133
	s_branch .LBB15_134
.LBB15_132:
                                        ; implicit-def: $vgpr98_vgpr99
.LBB15_133:
	ds_read_b64 v[98:99], v103
.LBB15_134:
	s_and_saveexec_b64 s[6:7], s[0:1]
	s_cbranch_execz .LBB15_144
; %bb.135:
	v_add_u32_e32 v100, -7, v0
	v_add_u32_e32 v101, -6, v0
	v_cmp_lt_u32_e32 vcc, 6, v100
	v_mov_b32_e32 v100, 6
	s_and_saveexec_b64 s[0:1], vcc
	s_cbranch_execz .LBB15_139
; %bb.136:
	v_and_b32_e32 v100, -8, v101
	v_sub_u32_e32 v102, 0, v100
	s_mov_b64 s[4:5], 13
	s_movk_i32 s10, 0xb0
	s_mov_b64 s[8:9], 0
.LBB15_137:                             ; =>This Inner Loop Header: Depth=1
	s_lshl_b32 s11, s4, 1
	s_add_i32 s12, s11, -13
	s_add_i32 s13, s11, -14
	s_set_gpr_idx_on s12, gpr_idx(SRC0)
	v_mov_b32_e32 v121, v34
	s_set_gpr_idx_off
	v_mov_b32_e32 v100, s10
	s_add_i32 s14, s11, -11
	s_set_gpr_idx_on s13, gpr_idx(SRC0)
	v_mov_b32_e32 v120, v34
	s_set_gpr_idx_off
	s_add_i32 s15, s11, -12
	ds_read_b128 v[104:107], v100
	ds_read_b128 v[108:111], v100 offset:16
	ds_read_b128 v[112:115], v100 offset:32
	;; [unrolled: 1-line block ×3, first 2 shown]
	s_set_gpr_idx_on s14, gpr_idx(SRC0)
	v_mov_b32_e32 v123, v34
	s_set_gpr_idx_off
	s_add_i32 s16, s11, -9
	s_set_gpr_idx_on s15, gpr_idx(SRC0)
	v_mov_b32_e32 v122, v34
	s_set_gpr_idx_off
	s_add_i32 s17, s11, -10
	s_set_gpr_idx_on s16, gpr_idx(SRC0)
	v_mov_b32_e32 v125, v34
	s_set_gpr_idx_off
	s_add_i32 s18, s11, -7
	s_set_gpr_idx_on s17, gpr_idx(SRC0)
	v_mov_b32_e32 v124, v34
	s_set_gpr_idx_off
	s_add_i32 s19, s11, -8
	s_waitcnt lgkmcnt(3)
	v_fmac_f64_e32 v[98:99], v[120:121], v[104:105]
	s_set_gpr_idx_on s18, gpr_idx(SRC0)
	v_mov_b32_e32 v105, v34
	s_set_gpr_idx_off
	s_add_i32 s20, s11, -5
	v_fmac_f64_e32 v[98:99], v[122:123], v[106:107]
	s_set_gpr_idx_on s19, gpr_idx(SRC0)
	v_mov_b32_e32 v104, v34
	s_set_gpr_idx_off
	s_add_i32 s21, s11, -6
	s_waitcnt lgkmcnt(2)
	v_fmac_f64_e32 v[98:99], v[124:125], v[108:109]
	s_set_gpr_idx_on s20, gpr_idx(SRC0)
	v_mov_b32_e32 v107, v34
	s_set_gpr_idx_off
	s_add_i32 s22, s11, -3
	v_fmac_f64_e32 v[98:99], v[104:105], v[110:111]
	s_set_gpr_idx_on s21, gpr_idx(SRC0)
	v_mov_b32_e32 v106, v34
	s_set_gpr_idx_off
	s_add_i32 s23, s11, -4
	s_waitcnt lgkmcnt(1)
	v_fmac_f64_e32 v[98:99], v[106:107], v[112:113]
	s_set_gpr_idx_on s22, gpr_idx(SRC0)
	v_mov_b32_e32 v105, v34
	s_set_gpr_idx_off
	s_add_i32 s24, s11, -1
	s_set_gpr_idx_on s23, gpr_idx(SRC0)
	v_mov_b32_e32 v104, v34
	s_set_gpr_idx_off
	s_add_i32 s25, s11, -2
	v_fmac_f64_e32 v[98:99], v[104:105], v[114:115]
	s_set_gpr_idx_on s24, gpr_idx(SRC0)
	v_mov_b32_e32 v105, v34
	s_set_gpr_idx_off
	s_add_u32 s4, s4, 8
	s_set_gpr_idx_on s25, gpr_idx(SRC0)
	v_mov_b32_e32 v104, v34
	s_set_gpr_idx_off
	v_add_u32_e32 v100, s4, v102
	s_waitcnt lgkmcnt(0)
	v_fmac_f64_e32 v[98:99], v[104:105], v[116:117]
	s_set_gpr_idx_on s11, gpr_idx(SRC0)
	v_mov_b32_e32 v105, v35
	s_set_gpr_idx_off
	s_addc_u32 s5, s5, 0
	s_add_i32 s10, s10, 64
	s_add_i32 s12, s4, -7
	v_cmp_eq_u32_e32 vcc, 13, v100
	s_set_gpr_idx_on s11, gpr_idx(SRC0)
	v_mov_b32_e32 v104, v34
	s_set_gpr_idx_off
	v_mov_b32_e32 v100, s12
	s_or_b64 s[8:9], vcc, s[8:9]
	v_fmac_f64_e32 v[98:99], v[104:105], v[118:119]
	s_andn2_b64 exec, exec, s[8:9]
	s_cbranch_execnz .LBB15_137
; %bb.138:
	s_or_b64 exec, exec, s[8:9]
.LBB15_139:
	s_or_b64 exec, exec, s[0:1]
	v_and_b32_e32 v102, 7, v101
	v_cmp_ne_u32_e32 vcc, 0, v102
	s_and_saveexec_b64 s[8:9], vcc
	s_cbranch_execz .LBB15_143
; %bb.140:
	v_mov_b32_e32 v101, 0x80
	v_lshl_add_u32 v104, v100, 3, v101
	v_mov_b32_e32 v101, 0
	s_mov_b64 s[10:11], 0
.LBB15_141:                             ; =>This Inner Loop Header: Depth=1
	v_cmp_eq_u32_e32 vcc, 1, v100
	v_cndmask_b32_e32 v105, v35, v37, vcc
	v_add_u32_e32 v102, -1, v102
	v_cmp_eq_u32_e64 s[0:1], 2, v100
	v_cndmask_b32_e64 v105, v105, v39, s[0:1]
	v_cndmask_b32_e32 v108, v34, v36, vcc
	v_cmp_eq_u32_e32 vcc, 0, v102
	v_cmp_eq_u32_e64 s[4:5], 3, v100
	v_cndmask_b32_e64 v105, v105, v41, s[4:5]
	v_cndmask_b32_e64 v108, v108, v38, s[0:1]
	s_or_b64 s[10:11], vcc, s[10:11]
	v_cmp_eq_u32_e32 vcc, 4, v100
	v_cndmask_b32_e32 v105, v105, v43, vcc
	v_cndmask_b32_e64 v108, v108, v40, s[4:5]
	v_cmp_eq_u32_e64 s[0:1], 5, v100
	v_cndmask_b32_e64 v105, v105, v45, s[0:1]
	v_cndmask_b32_e32 v108, v108, v42, vcc
	v_cmp_eq_u32_e32 vcc, 6, v100
	v_cndmask_b32_e32 v105, v105, v47, vcc
	v_cndmask_b32_e64 v108, v108, v44, s[0:1]
	v_cmp_eq_u32_e64 s[0:1], 7, v100
	v_cndmask_b32_e64 v105, v105, v49, s[0:1]
	v_cndmask_b32_e32 v108, v108, v46, vcc
	;; [unrolled: 6-line block ×4, first 2 shown]
	v_cmp_eq_u32_e32 vcc, 12, v100
	ds_read_b64 v[106:107], v104
	v_cndmask_b32_e32 v105, v105, v59, vcc
	v_cndmask_b32_e64 v108, v108, v56, s[0:1]
	v_cmp_eq_u32_e64 s[0:1], 13, v100
	v_cndmask_b32_e64 v105, v105, v61, s[0:1]
	v_cndmask_b32_e32 v108, v108, v58, vcc
	v_cmp_eq_u32_e32 vcc, 14, v100
	v_cndmask_b32_e32 v105, v105, v63, vcc
	v_cmp_eq_u32_e64 s[4:5], 15, v100
	v_cndmask_b32_e64 v108, v108, v60, s[0:1]
	v_cndmask_b32_e64 v109, v105, v65, s[4:5]
	v_cndmask_b32_e32 v105, v108, v62, vcc
	v_add_co_u32_e64 v100, s[0:1], 1, v100
	v_cndmask_b32_e64 v108, v105, v64, s[4:5]
	v_add_u32_e32 v104, 8, v104
	v_addc_co_u32_e64 v101, s[0:1], 0, v101, s[0:1]
	s_waitcnt lgkmcnt(0)
	v_fmac_f64_e32 v[98:99], v[108:109], v[106:107]
	s_andn2_b64 exec, exec, s[10:11]
	s_cbranch_execnz .LBB15_141
; %bb.142:
	s_or_b64 exec, exec, s[10:11]
.LBB15_143:
	s_or_b64 exec, exec, s[8:9]
.LBB15_144:
	s_or_b64 exec, exec, s[6:7]
	v_mov_b32_e32 v44, 0
	ds_read_b64 v[44:45], v44 offset:40
	s_waitcnt lgkmcnt(0)
	v_mul_f64 v[44:45], v[98:99], v[44:45]
.LBB15_145:
	s_or_b64 exec, exec, s[36:37]
	v_cmp_lt_u32_e64 s[0:1], 4, v0
	ds_write_b64 v103, v[42:43]
	s_waitcnt lgkmcnt(0)
	; wave barrier
	s_waitcnt lgkmcnt(0)
	s_and_saveexec_b64 s[36:37], s[0:1]
	s_cbranch_execz .LBB15_161
; %bb.146:
	s_andn2_b64 vcc, exec, s[34:35]
	s_cbranch_vccnz .LBB15_148
; %bb.147:
	v_cmp_eq_u32_e32 vcc, 1, v0
	v_cndmask_b32_e32 v98, v35, v37, vcc
	v_cmp_eq_u32_e64 s[4:5], 2, v0
	v_cndmask_b32_e64 v98, v98, v39, s[4:5]
	v_cmp_eq_u32_e64 s[6:7], 3, v0
	v_cndmask_b32_e64 v98, v98, v41, s[6:7]
	;; [unrolled: 2-line block ×14, first 2 shown]
	v_cndmask_b32_e32 v98, v34, v36, vcc
	v_cndmask_b32_e64 v98, v98, v38, s[4:5]
	v_cndmask_b32_e64 v98, v98, v40, s[6:7]
	;; [unrolled: 1-line block ×10, first 2 shown]
	ds_read_b64 v[100:101], v103
	v_cndmask_b32_e64 v98, v98, v58, s[24:25]
	v_cndmask_b32_e64 v98, v98, v60, s[26:27]
	;; [unrolled: 1-line block ×4, first 2 shown]
	s_waitcnt lgkmcnt(0)
	v_mul_f64 v[98:99], v[98:99], v[100:101]
	s_cbranch_execz .LBB15_149
	s_branch .LBB15_150
.LBB15_148:
                                        ; implicit-def: $vgpr98_vgpr99
.LBB15_149:
	ds_read_b64 v[98:99], v103
.LBB15_150:
	s_and_saveexec_b64 s[6:7], s[2:3]
	s_cbranch_execz .LBB15_160
; %bb.151:
	v_add_u32_e32 v100, -6, v0
	v_add_u32_e32 v101, -5, v0
	v_cmp_lt_u32_e32 vcc, 6, v100
	v_mov_b32_e32 v100, 5
	s_and_saveexec_b64 s[2:3], vcc
	s_cbranch_execz .LBB15_155
; %bb.152:
	v_and_b32_e32 v100, -8, v101
	v_sub_u32_e32 v102, 0, v100
	s_mov_b64 s[4:5], 12
	s_movk_i32 s10, 0xa8
	s_mov_b64 s[8:9], 0
.LBB15_153:                             ; =>This Inner Loop Header: Depth=1
	s_lshl_b32 s11, s4, 1
	s_add_i32 s12, s11, -13
	v_mov_b32_e32 v118, s10
	s_add_i32 s13, s11, -14
	s_set_gpr_idx_on s12, gpr_idx(SRC0)
	v_mov_b32_e32 v113, v34
	s_set_gpr_idx_off
	s_add_i32 s14, s11, -11
	s_set_gpr_idx_on s13, gpr_idx(SRC0)
	v_mov_b32_e32 v112, v34
	s_set_gpr_idx_off
	ds_read2_b64 v[104:107], v118 offset1:1
	s_add_i32 s15, s11, -12
	s_set_gpr_idx_on s14, gpr_idx(SRC0)
	v_mov_b32_e32 v115, v34
	s_set_gpr_idx_off
	s_add_i32 s16, s11, -9
	s_set_gpr_idx_on s15, gpr_idx(SRC0)
	v_mov_b32_e32 v114, v34
	s_set_gpr_idx_off
	;; [unrolled: 4-line block ×4, first 2 shown]
	ds_read2_b64 v[108:111], v118 offset0:2 offset1:3
	s_add_i32 s19, s11, -8
	s_waitcnt lgkmcnt(1)
	v_fmac_f64_e32 v[98:99], v[112:113], v[104:105]
	s_set_gpr_idx_on s18, gpr_idx(SRC0)
	v_mov_b32_e32 v113, v34
	s_set_gpr_idx_off
	s_add_i32 s20, s11, -5
	v_fmac_f64_e32 v[98:99], v[114:115], v[106:107]
	s_set_gpr_idx_on s19, gpr_idx(SRC0)
	v_mov_b32_e32 v112, v34
	s_set_gpr_idx_off
	s_add_i32 s21, s11, -6
	s_set_gpr_idx_on s20, gpr_idx(SRC0)
	v_mov_b32_e32 v115, v34
	s_set_gpr_idx_off
	s_add_i32 s22, s11, -3
	;; [unrolled: 4-line block ×3, first 2 shown]
	ds_read2_b64 v[104:107], v118 offset0:4 offset1:5
	s_waitcnt lgkmcnt(1)
	v_fmac_f64_e32 v[98:99], v[116:117], v[108:109]
	s_set_gpr_idx_on s22, gpr_idx(SRC0)
	v_mov_b32_e32 v117, v34
	s_set_gpr_idx_off
	s_add_i32 s24, s11, -1
	v_fmac_f64_e32 v[98:99], v[112:113], v[110:111]
	s_set_gpr_idx_on s23, gpr_idx(SRC0)
	v_mov_b32_e32 v116, v34
	s_set_gpr_idx_off
	s_add_i32 s25, s11, -2
	s_set_gpr_idx_on s24, gpr_idx(SRC0)
	v_mov_b32_e32 v113, v34
	s_set_gpr_idx_off
	s_set_gpr_idx_on s25, gpr_idx(SRC0)
	v_mov_b32_e32 v112, v34
	s_set_gpr_idx_off
	ds_read2_b64 v[108:111], v118 offset0:6 offset1:7
	s_add_u32 s4, s4, 8
	s_waitcnt lgkmcnt(1)
	v_fmac_f64_e32 v[98:99], v[114:115], v[104:105]
	s_set_gpr_idx_on s11, gpr_idx(SRC0)
	v_mov_b32_e32 v105, v35
	s_set_gpr_idx_off
	v_add_u32_e32 v100, s4, v102
	v_fmac_f64_e32 v[98:99], v[116:117], v[106:107]
	s_set_gpr_idx_on s11, gpr_idx(SRC0)
	v_mov_b32_e32 v104, v34
	s_set_gpr_idx_off
	s_addc_u32 s5, s5, 0
	s_add_i32 s10, s10, 64
	s_add_i32 s12, s4, -7
	v_cmp_eq_u32_e32 vcc, 12, v100
	s_waitcnt lgkmcnt(0)
	v_fmac_f64_e32 v[98:99], v[112:113], v[108:109]
	v_mov_b32_e32 v100, s12
	s_or_b64 s[8:9], vcc, s[8:9]
	v_fmac_f64_e32 v[98:99], v[104:105], v[110:111]
	s_andn2_b64 exec, exec, s[8:9]
	s_cbranch_execnz .LBB15_153
; %bb.154:
	s_or_b64 exec, exec, s[8:9]
.LBB15_155:
	s_or_b64 exec, exec, s[2:3]
	v_and_b32_e32 v102, 7, v101
	v_cmp_ne_u32_e32 vcc, 0, v102
	s_and_saveexec_b64 s[8:9], vcc
	s_cbranch_execz .LBB15_159
; %bb.156:
	v_mov_b32_e32 v101, 0x80
	v_lshl_add_u32 v104, v100, 3, v101
	v_mov_b32_e32 v101, 0
	s_mov_b64 s[10:11], 0
.LBB15_157:                             ; =>This Inner Loop Header: Depth=1
	v_cmp_eq_u32_e32 vcc, 1, v100
	v_cndmask_b32_e32 v105, v35, v37, vcc
	v_add_u32_e32 v102, -1, v102
	v_cmp_eq_u32_e64 s[2:3], 2, v100
	v_cndmask_b32_e64 v105, v105, v39, s[2:3]
	v_cndmask_b32_e32 v108, v34, v36, vcc
	v_cmp_eq_u32_e32 vcc, 0, v102
	v_cmp_eq_u32_e64 s[4:5], 3, v100
	v_cndmask_b32_e64 v105, v105, v41, s[4:5]
	v_cndmask_b32_e64 v108, v108, v38, s[2:3]
	s_or_b64 s[10:11], vcc, s[10:11]
	v_cmp_eq_u32_e32 vcc, 4, v100
	v_cndmask_b32_e32 v105, v105, v43, vcc
	v_cndmask_b32_e64 v108, v108, v40, s[4:5]
	v_cmp_eq_u32_e64 s[2:3], 5, v100
	v_cndmask_b32_e64 v105, v105, v45, s[2:3]
	v_cndmask_b32_e32 v108, v108, v42, vcc
	v_cmp_eq_u32_e32 vcc, 6, v100
	v_cndmask_b32_e32 v105, v105, v47, vcc
	v_cndmask_b32_e64 v108, v108, v44, s[2:3]
	v_cmp_eq_u32_e64 s[2:3], 7, v100
	v_cndmask_b32_e64 v105, v105, v49, s[2:3]
	v_cndmask_b32_e32 v108, v108, v46, vcc
	;; [unrolled: 6-line block ×4, first 2 shown]
	v_cmp_eq_u32_e32 vcc, 12, v100
	ds_read_b64 v[106:107], v104
	v_cndmask_b32_e32 v105, v105, v59, vcc
	v_cndmask_b32_e64 v108, v108, v56, s[2:3]
	v_cmp_eq_u32_e64 s[2:3], 13, v100
	v_cndmask_b32_e64 v105, v105, v61, s[2:3]
	v_cndmask_b32_e32 v108, v108, v58, vcc
	v_cmp_eq_u32_e32 vcc, 14, v100
	v_cndmask_b32_e32 v105, v105, v63, vcc
	v_cmp_eq_u32_e64 s[4:5], 15, v100
	v_cndmask_b32_e64 v108, v108, v60, s[2:3]
	v_cndmask_b32_e64 v109, v105, v65, s[4:5]
	v_cndmask_b32_e32 v105, v108, v62, vcc
	v_add_co_u32_e64 v100, s[2:3], 1, v100
	v_cndmask_b32_e64 v108, v105, v64, s[4:5]
	v_add_u32_e32 v104, 8, v104
	v_addc_co_u32_e64 v101, s[2:3], 0, v101, s[2:3]
	s_waitcnt lgkmcnt(0)
	v_fmac_f64_e32 v[98:99], v[108:109], v[106:107]
	s_andn2_b64 exec, exec, s[10:11]
	s_cbranch_execnz .LBB15_157
; %bb.158:
	s_or_b64 exec, exec, s[10:11]
.LBB15_159:
	s_or_b64 exec, exec, s[8:9]
.LBB15_160:
	s_or_b64 exec, exec, s[6:7]
	v_mov_b32_e32 v42, 0
	ds_read_b64 v[42:43], v42 offset:32
	s_waitcnt lgkmcnt(0)
	v_mul_f64 v[42:43], v[98:99], v[42:43]
.LBB15_161:
	s_or_b64 exec, exec, s[36:37]
	v_cmp_lt_u32_e64 s[2:3], 3, v0
	ds_write_b64 v103, v[40:41]
	s_waitcnt lgkmcnt(0)
	; wave barrier
	s_waitcnt lgkmcnt(0)
	s_and_saveexec_b64 s[36:37], s[2:3]
	s_cbranch_execz .LBB15_177
; %bb.162:
	s_andn2_b64 vcc, exec, s[34:35]
	s_cbranch_vccnz .LBB15_164
; %bb.163:
	v_cmp_eq_u32_e32 vcc, 1, v0
	v_cndmask_b32_e32 v98, v35, v37, vcc
	v_cmp_eq_u32_e64 s[4:5], 2, v0
	v_cndmask_b32_e64 v98, v98, v39, s[4:5]
	v_cmp_eq_u32_e64 s[6:7], 3, v0
	v_cndmask_b32_e64 v98, v98, v41, s[6:7]
	;; [unrolled: 2-line block ×14, first 2 shown]
	v_cndmask_b32_e32 v98, v34, v36, vcc
	v_cndmask_b32_e64 v98, v98, v38, s[4:5]
	v_cndmask_b32_e64 v98, v98, v40, s[6:7]
	;; [unrolled: 1-line block ×10, first 2 shown]
	ds_read_b64 v[100:101], v103
	v_cndmask_b32_e64 v98, v98, v58, s[24:25]
	v_cndmask_b32_e64 v98, v98, v60, s[26:27]
	;; [unrolled: 1-line block ×4, first 2 shown]
	s_waitcnt lgkmcnt(0)
	v_mul_f64 v[98:99], v[98:99], v[100:101]
	s_cbranch_execz .LBB15_165
	s_branch .LBB15_166
.LBB15_164:
                                        ; implicit-def: $vgpr98_vgpr99
.LBB15_165:
	ds_read_b64 v[98:99], v103
.LBB15_166:
	s_and_saveexec_b64 s[6:7], s[0:1]
	s_cbranch_execz .LBB15_176
; %bb.167:
	v_add_u32_e32 v100, -5, v0
	v_add_u32_e32 v101, -4, v0
	v_cmp_lt_u32_e32 vcc, 6, v100
	v_mov_b32_e32 v100, 4
	s_and_saveexec_b64 s[0:1], vcc
	s_cbranch_execz .LBB15_171
; %bb.168:
	v_and_b32_e32 v100, -8, v101
	v_sub_u32_e32 v102, 0, v100
	s_mov_b64 s[4:5], 5
	s_movk_i32 s10, 0xa0
	s_mov_b64 s[8:9], 0
.LBB15_169:                             ; =>This Inner Loop Header: Depth=1
	s_lshl_b32 s11, s4, 1
	s_add_i32 s12, s11, -1
	s_add_i32 s13, s11, -2
	s_set_gpr_idx_on s12, gpr_idx(SRC0)
	v_mov_b32_e32 v121, v34
	s_set_gpr_idx_off
	v_mov_b32_e32 v100, s10
	s_set_gpr_idx_on s13, gpr_idx(SRC0)
	v_mov_b32_e32 v120, v34
	s_set_gpr_idx_off
	ds_read_b128 v[104:107], v100
	ds_read_b128 v[108:111], v100 offset:16
	ds_read_b128 v[112:115], v100 offset:32
	;; [unrolled: 1-line block ×3, first 2 shown]
	s_set_gpr_idx_on s11, gpr_idx(SRC0)
	v_mov_b32_e32 v123, v35
	s_add_i32 s14, s11, 3
	v_mov_b32_e32 v122, v34
	s_set_gpr_idx_off
	s_add_i32 s15, s11, 2
	s_set_gpr_idx_on s14, gpr_idx(SRC0)
	v_mov_b32_e32 v125, v34
	s_set_gpr_idx_off
	s_add_i32 s16, s11, 5
	s_set_gpr_idx_on s15, gpr_idx(SRC0)
	v_mov_b32_e32 v124, v34
	s_set_gpr_idx_off
	s_add_i32 s17, s11, 4
	s_waitcnt lgkmcnt(3)
	v_fmac_f64_e32 v[98:99], v[120:121], v[104:105]
	s_set_gpr_idx_on s16, gpr_idx(SRC0)
	v_mov_b32_e32 v105, v34
	s_set_gpr_idx_off
	s_add_i32 s18, s11, 7
	v_fmac_f64_e32 v[98:99], v[122:123], v[106:107]
	s_set_gpr_idx_on s17, gpr_idx(SRC0)
	v_mov_b32_e32 v104, v34
	s_set_gpr_idx_off
	s_add_i32 s19, s11, 6
	s_waitcnt lgkmcnt(2)
	v_fmac_f64_e32 v[98:99], v[124:125], v[108:109]
	s_set_gpr_idx_on s18, gpr_idx(SRC0)
	v_mov_b32_e32 v107, v34
	s_set_gpr_idx_off
	s_add_i32 s20, s11, 9
	v_fmac_f64_e32 v[98:99], v[104:105], v[110:111]
	s_set_gpr_idx_on s19, gpr_idx(SRC0)
	v_mov_b32_e32 v106, v34
	s_set_gpr_idx_off
	s_add_i32 s21, s11, 8
	s_waitcnt lgkmcnt(1)
	v_fmac_f64_e32 v[98:99], v[106:107], v[112:113]
	s_set_gpr_idx_on s20, gpr_idx(SRC0)
	v_mov_b32_e32 v105, v34
	s_set_gpr_idx_off
	s_add_i32 s22, s11, 11
	s_set_gpr_idx_on s21, gpr_idx(SRC0)
	v_mov_b32_e32 v104, v34
	s_set_gpr_idx_off
	s_add_i32 s23, s11, 10
	s_add_i32 s24, s11, 13
	;; [unrolled: 1-line block ×3, first 2 shown]
	v_fmac_f64_e32 v[98:99], v[104:105], v[114:115]
	s_set_gpr_idx_on s22, gpr_idx(SRC0)
	v_mov_b32_e32 v105, v34
	s_set_gpr_idx_off
	s_add_u32 s4, s4, 8
	s_set_gpr_idx_on s23, gpr_idx(SRC0)
	v_mov_b32_e32 v104, v34
	s_set_gpr_idx_off
	v_add_u32_e32 v100, s4, v102
	s_waitcnt lgkmcnt(0)
	v_fmac_f64_e32 v[98:99], v[104:105], v[116:117]
	s_set_gpr_idx_on s24, gpr_idx(SRC0)
	v_mov_b32_e32 v105, v34
	s_set_gpr_idx_off
	s_addc_u32 s5, s5, 0
	s_add_i32 s10, s10, 64
	s_add_i32 s12, s4, -1
	v_cmp_eq_u32_e32 vcc, 5, v100
	s_set_gpr_idx_on s25, gpr_idx(SRC0)
	v_mov_b32_e32 v104, v34
	s_set_gpr_idx_off
	v_mov_b32_e32 v100, s12
	s_or_b64 s[8:9], vcc, s[8:9]
	v_fmac_f64_e32 v[98:99], v[104:105], v[118:119]
	s_andn2_b64 exec, exec, s[8:9]
	s_cbranch_execnz .LBB15_169
; %bb.170:
	s_or_b64 exec, exec, s[8:9]
.LBB15_171:
	s_or_b64 exec, exec, s[0:1]
	v_and_b32_e32 v102, 7, v101
	v_cmp_ne_u32_e32 vcc, 0, v102
	s_and_saveexec_b64 s[8:9], vcc
	s_cbranch_execz .LBB15_175
; %bb.172:
	v_mov_b32_e32 v101, 0x80
	v_lshl_add_u32 v104, v100, 3, v101
	v_mov_b32_e32 v101, 0
	s_mov_b64 s[10:11], 0
.LBB15_173:                             ; =>This Inner Loop Header: Depth=1
	v_cmp_eq_u32_e32 vcc, 1, v100
	v_cndmask_b32_e32 v105, v35, v37, vcc
	v_add_u32_e32 v102, -1, v102
	v_cmp_eq_u32_e64 s[0:1], 2, v100
	v_cndmask_b32_e64 v105, v105, v39, s[0:1]
	v_cndmask_b32_e32 v108, v34, v36, vcc
	v_cmp_eq_u32_e32 vcc, 0, v102
	v_cmp_eq_u32_e64 s[4:5], 3, v100
	v_cndmask_b32_e64 v105, v105, v41, s[4:5]
	v_cndmask_b32_e64 v108, v108, v38, s[0:1]
	s_or_b64 s[10:11], vcc, s[10:11]
	v_cmp_eq_u32_e32 vcc, 4, v100
	v_cndmask_b32_e32 v105, v105, v43, vcc
	v_cndmask_b32_e64 v108, v108, v40, s[4:5]
	v_cmp_eq_u32_e64 s[0:1], 5, v100
	v_cndmask_b32_e64 v105, v105, v45, s[0:1]
	v_cndmask_b32_e32 v108, v108, v42, vcc
	v_cmp_eq_u32_e32 vcc, 6, v100
	v_cndmask_b32_e32 v105, v105, v47, vcc
	v_cndmask_b32_e64 v108, v108, v44, s[0:1]
	v_cmp_eq_u32_e64 s[0:1], 7, v100
	v_cndmask_b32_e64 v105, v105, v49, s[0:1]
	v_cndmask_b32_e32 v108, v108, v46, vcc
	;; [unrolled: 6-line block ×4, first 2 shown]
	v_cmp_eq_u32_e32 vcc, 12, v100
	ds_read_b64 v[106:107], v104
	v_cndmask_b32_e32 v105, v105, v59, vcc
	v_cndmask_b32_e64 v108, v108, v56, s[0:1]
	v_cmp_eq_u32_e64 s[0:1], 13, v100
	v_cndmask_b32_e64 v105, v105, v61, s[0:1]
	v_cndmask_b32_e32 v108, v108, v58, vcc
	v_cmp_eq_u32_e32 vcc, 14, v100
	v_cndmask_b32_e32 v105, v105, v63, vcc
	v_cmp_eq_u32_e64 s[4:5], 15, v100
	v_cndmask_b32_e64 v108, v108, v60, s[0:1]
	v_cndmask_b32_e64 v109, v105, v65, s[4:5]
	v_cndmask_b32_e32 v105, v108, v62, vcc
	v_add_co_u32_e64 v100, s[0:1], 1, v100
	v_cndmask_b32_e64 v108, v105, v64, s[4:5]
	v_add_u32_e32 v104, 8, v104
	v_addc_co_u32_e64 v101, s[0:1], 0, v101, s[0:1]
	s_waitcnt lgkmcnt(0)
	v_fmac_f64_e32 v[98:99], v[108:109], v[106:107]
	s_andn2_b64 exec, exec, s[10:11]
	s_cbranch_execnz .LBB15_173
; %bb.174:
	s_or_b64 exec, exec, s[10:11]
.LBB15_175:
	s_or_b64 exec, exec, s[8:9]
.LBB15_176:
	s_or_b64 exec, exec, s[6:7]
	v_mov_b32_e32 v40, 0
	ds_read_b64 v[40:41], v40 offset:24
	s_waitcnt lgkmcnt(0)
	v_mul_f64 v[40:41], v[98:99], v[40:41]
.LBB15_177:
	s_or_b64 exec, exec, s[36:37]
	v_cmp_lt_u32_e64 s[0:1], 2, v0
	ds_write_b64 v103, v[38:39]
	s_waitcnt lgkmcnt(0)
	; wave barrier
	s_waitcnt lgkmcnt(0)
	s_and_saveexec_b64 s[36:37], s[0:1]
	s_cbranch_execz .LBB15_193
; %bb.178:
	s_andn2_b64 vcc, exec, s[34:35]
	s_cbranch_vccnz .LBB15_180
; %bb.179:
	v_cmp_eq_u32_e32 vcc, 1, v0
	v_cndmask_b32_e32 v98, v35, v37, vcc
	v_cmp_eq_u32_e64 s[4:5], 2, v0
	v_cndmask_b32_e64 v98, v98, v39, s[4:5]
	v_cmp_eq_u32_e64 s[6:7], 3, v0
	v_cndmask_b32_e64 v98, v98, v41, s[6:7]
	;; [unrolled: 2-line block ×14, first 2 shown]
	v_cndmask_b32_e32 v98, v34, v36, vcc
	v_cndmask_b32_e64 v98, v98, v38, s[4:5]
	v_cndmask_b32_e64 v98, v98, v40, s[6:7]
	;; [unrolled: 1-line block ×10, first 2 shown]
	ds_read_b64 v[100:101], v103
	v_cndmask_b32_e64 v98, v98, v58, s[24:25]
	v_cndmask_b32_e64 v98, v98, v60, s[26:27]
	;; [unrolled: 1-line block ×4, first 2 shown]
	s_waitcnt lgkmcnt(0)
	v_mul_f64 v[98:99], v[98:99], v[100:101]
	s_cbranch_execz .LBB15_181
	s_branch .LBB15_182
.LBB15_180:
                                        ; implicit-def: $vgpr98_vgpr99
.LBB15_181:
	ds_read_b64 v[98:99], v103
.LBB15_182:
	s_and_saveexec_b64 s[6:7], s[2:3]
	s_cbranch_execz .LBB15_192
; %bb.183:
	v_add_u32_e32 v100, -4, v0
	v_add_u32_e32 v101, -3, v0
	v_cmp_lt_u32_e32 vcc, 6, v100
	v_mov_b32_e32 v100, 3
	s_and_saveexec_b64 s[2:3], vcc
	s_cbranch_execz .LBB15_187
; %bb.184:
	v_and_b32_e32 v100, -8, v101
	v_sub_u32_e32 v102, 0, v100
	s_mov_b64 s[4:5], 10
	s_movk_i32 s10, 0x98
	s_mov_b64 s[8:9], 0
.LBB15_185:                             ; =>This Inner Loop Header: Depth=1
	s_lshl_b32 s11, s4, 1
	s_add_i32 s12, s11, -13
	v_mov_b32_e32 v118, s10
	s_add_i32 s13, s11, -14
	s_set_gpr_idx_on s12, gpr_idx(SRC0)
	v_mov_b32_e32 v113, v34
	s_set_gpr_idx_off
	s_add_i32 s14, s11, -11
	s_set_gpr_idx_on s13, gpr_idx(SRC0)
	v_mov_b32_e32 v112, v34
	s_set_gpr_idx_off
	ds_read2_b64 v[104:107], v118 offset1:1
	s_add_i32 s15, s11, -12
	s_set_gpr_idx_on s14, gpr_idx(SRC0)
	v_mov_b32_e32 v115, v34
	s_set_gpr_idx_off
	s_add_i32 s16, s11, -9
	s_set_gpr_idx_on s15, gpr_idx(SRC0)
	v_mov_b32_e32 v114, v34
	s_set_gpr_idx_off
	;; [unrolled: 4-line block ×4, first 2 shown]
	ds_read2_b64 v[108:111], v118 offset0:2 offset1:3
	s_add_i32 s19, s11, -8
	s_waitcnt lgkmcnt(1)
	v_fmac_f64_e32 v[98:99], v[112:113], v[104:105]
	s_set_gpr_idx_on s18, gpr_idx(SRC0)
	v_mov_b32_e32 v113, v34
	s_set_gpr_idx_off
	s_add_i32 s20, s11, -5
	v_fmac_f64_e32 v[98:99], v[114:115], v[106:107]
	s_set_gpr_idx_on s19, gpr_idx(SRC0)
	v_mov_b32_e32 v112, v34
	s_set_gpr_idx_off
	s_add_i32 s21, s11, -6
	s_set_gpr_idx_on s20, gpr_idx(SRC0)
	v_mov_b32_e32 v115, v34
	s_set_gpr_idx_off
	s_add_i32 s22, s11, -3
	;; [unrolled: 4-line block ×3, first 2 shown]
	ds_read2_b64 v[104:107], v118 offset0:4 offset1:5
	s_waitcnt lgkmcnt(1)
	v_fmac_f64_e32 v[98:99], v[116:117], v[108:109]
	s_set_gpr_idx_on s22, gpr_idx(SRC0)
	v_mov_b32_e32 v117, v34
	s_set_gpr_idx_off
	s_add_i32 s24, s11, -1
	v_fmac_f64_e32 v[98:99], v[112:113], v[110:111]
	s_set_gpr_idx_on s23, gpr_idx(SRC0)
	v_mov_b32_e32 v116, v34
	s_set_gpr_idx_off
	s_add_i32 s25, s11, -2
	s_set_gpr_idx_on s24, gpr_idx(SRC0)
	v_mov_b32_e32 v113, v34
	s_set_gpr_idx_off
	s_set_gpr_idx_on s25, gpr_idx(SRC0)
	v_mov_b32_e32 v112, v34
	s_set_gpr_idx_off
	ds_read2_b64 v[108:111], v118 offset0:6 offset1:7
	s_add_u32 s4, s4, 8
	s_waitcnt lgkmcnt(1)
	v_fmac_f64_e32 v[98:99], v[114:115], v[104:105]
	s_set_gpr_idx_on s11, gpr_idx(SRC0)
	v_mov_b32_e32 v105, v35
	s_set_gpr_idx_off
	v_add_u32_e32 v100, s4, v102
	v_fmac_f64_e32 v[98:99], v[116:117], v[106:107]
	s_set_gpr_idx_on s11, gpr_idx(SRC0)
	v_mov_b32_e32 v104, v34
	s_set_gpr_idx_off
	s_addc_u32 s5, s5, 0
	s_add_i32 s10, s10, 64
	s_add_i32 s12, s4, -7
	v_cmp_eq_u32_e32 vcc, 10, v100
	s_waitcnt lgkmcnt(0)
	v_fmac_f64_e32 v[98:99], v[112:113], v[108:109]
	v_mov_b32_e32 v100, s12
	s_or_b64 s[8:9], vcc, s[8:9]
	v_fmac_f64_e32 v[98:99], v[104:105], v[110:111]
	s_andn2_b64 exec, exec, s[8:9]
	s_cbranch_execnz .LBB15_185
; %bb.186:
	s_or_b64 exec, exec, s[8:9]
.LBB15_187:
	s_or_b64 exec, exec, s[2:3]
	v_and_b32_e32 v102, 7, v101
	v_cmp_ne_u32_e32 vcc, 0, v102
	s_and_saveexec_b64 s[8:9], vcc
	s_cbranch_execz .LBB15_191
; %bb.188:
	v_mov_b32_e32 v101, 0x80
	v_lshl_add_u32 v104, v100, 3, v101
	v_mov_b32_e32 v101, 0
	s_mov_b64 s[10:11], 0
.LBB15_189:                             ; =>This Inner Loop Header: Depth=1
	v_cmp_eq_u32_e32 vcc, 1, v100
	v_cndmask_b32_e32 v105, v35, v37, vcc
	v_add_u32_e32 v102, -1, v102
	v_cmp_eq_u32_e64 s[2:3], 2, v100
	v_cndmask_b32_e64 v105, v105, v39, s[2:3]
	v_cndmask_b32_e32 v108, v34, v36, vcc
	v_cmp_eq_u32_e32 vcc, 0, v102
	v_cmp_eq_u32_e64 s[4:5], 3, v100
	v_cndmask_b32_e64 v105, v105, v41, s[4:5]
	v_cndmask_b32_e64 v108, v108, v38, s[2:3]
	s_or_b64 s[10:11], vcc, s[10:11]
	v_cmp_eq_u32_e32 vcc, 4, v100
	v_cndmask_b32_e32 v105, v105, v43, vcc
	v_cndmask_b32_e64 v108, v108, v40, s[4:5]
	v_cmp_eq_u32_e64 s[2:3], 5, v100
	v_cndmask_b32_e64 v105, v105, v45, s[2:3]
	v_cndmask_b32_e32 v108, v108, v42, vcc
	v_cmp_eq_u32_e32 vcc, 6, v100
	v_cndmask_b32_e32 v105, v105, v47, vcc
	v_cndmask_b32_e64 v108, v108, v44, s[2:3]
	v_cmp_eq_u32_e64 s[2:3], 7, v100
	v_cndmask_b32_e64 v105, v105, v49, s[2:3]
	v_cndmask_b32_e32 v108, v108, v46, vcc
	v_cmp_eq_u32_e32 vcc, 8, v100
	v_cndmask_b32_e32 v105, v105, v51, vcc
	v_cndmask_b32_e64 v108, v108, v48, s[2:3]
	v_cmp_eq_u32_e64 s[2:3], 9, v100
	v_cndmask_b32_e64 v105, v105, v53, s[2:3]
	v_cndmask_b32_e32 v108, v108, v50, vcc
	v_cmp_eq_u32_e32 vcc, 10, v100
	v_cndmask_b32_e32 v105, v105, v55, vcc
	v_cndmask_b32_e64 v108, v108, v52, s[2:3]
	v_cmp_eq_u32_e64 s[2:3], 11, v100
	v_cndmask_b32_e64 v105, v105, v57, s[2:3]
	v_cndmask_b32_e32 v108, v108, v54, vcc
	v_cmp_eq_u32_e32 vcc, 12, v100
	ds_read_b64 v[106:107], v104
	v_cndmask_b32_e32 v105, v105, v59, vcc
	v_cndmask_b32_e64 v108, v108, v56, s[2:3]
	v_cmp_eq_u32_e64 s[2:3], 13, v100
	v_cndmask_b32_e64 v105, v105, v61, s[2:3]
	v_cndmask_b32_e32 v108, v108, v58, vcc
	v_cmp_eq_u32_e32 vcc, 14, v100
	v_cndmask_b32_e32 v105, v105, v63, vcc
	v_cmp_eq_u32_e64 s[4:5], 15, v100
	v_cndmask_b32_e64 v108, v108, v60, s[2:3]
	v_cndmask_b32_e64 v109, v105, v65, s[4:5]
	v_cndmask_b32_e32 v105, v108, v62, vcc
	v_add_co_u32_e64 v100, s[2:3], 1, v100
	v_cndmask_b32_e64 v108, v105, v64, s[4:5]
	v_add_u32_e32 v104, 8, v104
	v_addc_co_u32_e64 v101, s[2:3], 0, v101, s[2:3]
	s_waitcnt lgkmcnt(0)
	v_fmac_f64_e32 v[98:99], v[108:109], v[106:107]
	s_andn2_b64 exec, exec, s[10:11]
	s_cbranch_execnz .LBB15_189
; %bb.190:
	s_or_b64 exec, exec, s[10:11]
.LBB15_191:
	s_or_b64 exec, exec, s[8:9]
.LBB15_192:
	s_or_b64 exec, exec, s[6:7]
	v_mov_b32_e32 v38, 0
	ds_read_b64 v[38:39], v38 offset:16
	s_waitcnt lgkmcnt(0)
	v_mul_f64 v[38:39], v[98:99], v[38:39]
.LBB15_193:
	s_or_b64 exec, exec, s[36:37]
	v_cmp_lt_u32_e64 s[2:3], 1, v0
	ds_write_b64 v103, v[36:37]
	s_waitcnt lgkmcnt(0)
	; wave barrier
	s_waitcnt lgkmcnt(0)
	s_and_saveexec_b64 s[36:37], s[2:3]
	s_cbranch_execz .LBB15_209
; %bb.194:
	s_andn2_b64 vcc, exec, s[34:35]
	s_cbranch_vccnz .LBB15_196
; %bb.195:
	v_cmp_eq_u32_e32 vcc, 1, v0
	v_cndmask_b32_e32 v98, v35, v37, vcc
	v_cmp_eq_u32_e64 s[4:5], 2, v0
	v_cndmask_b32_e64 v98, v98, v39, s[4:5]
	v_cmp_eq_u32_e64 s[6:7], 3, v0
	v_cndmask_b32_e64 v98, v98, v41, s[6:7]
	;; [unrolled: 2-line block ×14, first 2 shown]
	v_cndmask_b32_e32 v98, v34, v36, vcc
	v_cndmask_b32_e64 v98, v98, v38, s[4:5]
	v_cndmask_b32_e64 v98, v98, v40, s[6:7]
	;; [unrolled: 1-line block ×10, first 2 shown]
	ds_read_b64 v[100:101], v103
	v_cndmask_b32_e64 v98, v98, v58, s[24:25]
	v_cndmask_b32_e64 v98, v98, v60, s[26:27]
	v_cndmask_b32_e64 v98, v98, v62, s[28:29]
	v_cndmask_b32_e64 v98, v98, v64, s[30:31]
	s_waitcnt lgkmcnt(0)
	v_mul_f64 v[98:99], v[98:99], v[100:101]
	s_cbranch_execz .LBB15_197
	s_branch .LBB15_198
.LBB15_196:
                                        ; implicit-def: $vgpr98_vgpr99
.LBB15_197:
	ds_read_b64 v[98:99], v103
.LBB15_198:
	s_and_saveexec_b64 s[6:7], s[0:1]
	s_cbranch_execz .LBB15_208
; %bb.199:
	v_add_u32_e32 v100, -3, v0
	v_add_u32_e32 v101, -2, v0
	v_cmp_lt_u32_e32 vcc, 6, v100
	v_mov_b32_e32 v100, 2
	s_and_saveexec_b64 s[0:1], vcc
	s_cbranch_execz .LBB15_203
; %bb.200:
	v_and_b32_e32 v100, -8, v101
	v_sub_u32_e32 v102, 0, v100
	s_mov_b64 s[4:5], 9
	s_movk_i32 s10, 0x90
	s_mov_b64 s[8:9], 0
.LBB15_201:                             ; =>This Inner Loop Header: Depth=1
	s_lshl_b32 s11, s4, 1
	s_add_i32 s12, s11, -13
	s_add_i32 s13, s11, -14
	s_set_gpr_idx_on s12, gpr_idx(SRC0)
	v_mov_b32_e32 v121, v34
	s_set_gpr_idx_off
	v_mov_b32_e32 v100, s10
	s_add_i32 s14, s11, -11
	s_set_gpr_idx_on s13, gpr_idx(SRC0)
	v_mov_b32_e32 v120, v34
	s_set_gpr_idx_off
	s_add_i32 s15, s11, -12
	ds_read_b128 v[104:107], v100
	ds_read_b128 v[108:111], v100 offset:16
	ds_read_b128 v[112:115], v100 offset:32
	;; [unrolled: 1-line block ×3, first 2 shown]
	s_set_gpr_idx_on s14, gpr_idx(SRC0)
	v_mov_b32_e32 v123, v34
	s_set_gpr_idx_off
	s_add_i32 s16, s11, -9
	s_set_gpr_idx_on s15, gpr_idx(SRC0)
	v_mov_b32_e32 v122, v34
	s_set_gpr_idx_off
	s_add_i32 s17, s11, -10
	s_set_gpr_idx_on s16, gpr_idx(SRC0)
	v_mov_b32_e32 v125, v34
	s_set_gpr_idx_off
	s_add_i32 s18, s11, -7
	s_set_gpr_idx_on s17, gpr_idx(SRC0)
	v_mov_b32_e32 v124, v34
	s_set_gpr_idx_off
	s_add_i32 s19, s11, -8
	s_waitcnt lgkmcnt(3)
	v_fmac_f64_e32 v[98:99], v[120:121], v[104:105]
	s_set_gpr_idx_on s18, gpr_idx(SRC0)
	v_mov_b32_e32 v105, v34
	s_set_gpr_idx_off
	s_add_i32 s20, s11, -5
	v_fmac_f64_e32 v[98:99], v[122:123], v[106:107]
	s_set_gpr_idx_on s19, gpr_idx(SRC0)
	v_mov_b32_e32 v104, v34
	s_set_gpr_idx_off
	s_add_i32 s21, s11, -6
	s_waitcnt lgkmcnt(2)
	v_fmac_f64_e32 v[98:99], v[124:125], v[108:109]
	s_set_gpr_idx_on s20, gpr_idx(SRC0)
	v_mov_b32_e32 v107, v34
	s_set_gpr_idx_off
	s_add_i32 s22, s11, -3
	v_fmac_f64_e32 v[98:99], v[104:105], v[110:111]
	s_set_gpr_idx_on s21, gpr_idx(SRC0)
	v_mov_b32_e32 v106, v34
	s_set_gpr_idx_off
	s_add_i32 s23, s11, -4
	s_waitcnt lgkmcnt(1)
	v_fmac_f64_e32 v[98:99], v[106:107], v[112:113]
	s_set_gpr_idx_on s22, gpr_idx(SRC0)
	v_mov_b32_e32 v105, v34
	s_set_gpr_idx_off
	s_add_i32 s24, s11, -1
	s_set_gpr_idx_on s23, gpr_idx(SRC0)
	v_mov_b32_e32 v104, v34
	s_set_gpr_idx_off
	s_add_i32 s25, s11, -2
	v_fmac_f64_e32 v[98:99], v[104:105], v[114:115]
	s_set_gpr_idx_on s24, gpr_idx(SRC0)
	v_mov_b32_e32 v105, v34
	s_set_gpr_idx_off
	s_add_u32 s4, s4, 8
	s_set_gpr_idx_on s25, gpr_idx(SRC0)
	v_mov_b32_e32 v104, v34
	s_set_gpr_idx_off
	v_add_u32_e32 v100, s4, v102
	s_waitcnt lgkmcnt(0)
	v_fmac_f64_e32 v[98:99], v[104:105], v[116:117]
	s_set_gpr_idx_on s11, gpr_idx(SRC0)
	v_mov_b32_e32 v105, v35
	s_set_gpr_idx_off
	s_addc_u32 s5, s5, 0
	s_add_i32 s10, s10, 64
	s_add_i32 s12, s4, -7
	v_cmp_eq_u32_e32 vcc, 9, v100
	s_set_gpr_idx_on s11, gpr_idx(SRC0)
	v_mov_b32_e32 v104, v34
	s_set_gpr_idx_off
	v_mov_b32_e32 v100, s12
	s_or_b64 s[8:9], vcc, s[8:9]
	v_fmac_f64_e32 v[98:99], v[104:105], v[118:119]
	s_andn2_b64 exec, exec, s[8:9]
	s_cbranch_execnz .LBB15_201
; %bb.202:
	s_or_b64 exec, exec, s[8:9]
.LBB15_203:
	s_or_b64 exec, exec, s[0:1]
	v_and_b32_e32 v102, 7, v101
	v_cmp_ne_u32_e32 vcc, 0, v102
	s_and_saveexec_b64 s[8:9], vcc
	s_cbranch_execz .LBB15_207
; %bb.204:
	v_mov_b32_e32 v101, 0x80
	v_lshl_add_u32 v104, v100, 3, v101
	v_mov_b32_e32 v101, 0
	s_mov_b64 s[10:11], 0
.LBB15_205:                             ; =>This Inner Loop Header: Depth=1
	v_cmp_eq_u32_e32 vcc, 1, v100
	v_cndmask_b32_e32 v105, v35, v37, vcc
	v_add_u32_e32 v102, -1, v102
	v_cmp_eq_u32_e64 s[0:1], 2, v100
	v_cndmask_b32_e64 v105, v105, v39, s[0:1]
	v_cndmask_b32_e32 v108, v34, v36, vcc
	v_cmp_eq_u32_e32 vcc, 0, v102
	v_cmp_eq_u32_e64 s[4:5], 3, v100
	v_cndmask_b32_e64 v105, v105, v41, s[4:5]
	v_cndmask_b32_e64 v108, v108, v38, s[0:1]
	s_or_b64 s[10:11], vcc, s[10:11]
	v_cmp_eq_u32_e32 vcc, 4, v100
	v_cndmask_b32_e32 v105, v105, v43, vcc
	v_cndmask_b32_e64 v108, v108, v40, s[4:5]
	v_cmp_eq_u32_e64 s[0:1], 5, v100
	v_cndmask_b32_e64 v105, v105, v45, s[0:1]
	v_cndmask_b32_e32 v108, v108, v42, vcc
	v_cmp_eq_u32_e32 vcc, 6, v100
	v_cndmask_b32_e32 v105, v105, v47, vcc
	v_cndmask_b32_e64 v108, v108, v44, s[0:1]
	v_cmp_eq_u32_e64 s[0:1], 7, v100
	v_cndmask_b32_e64 v105, v105, v49, s[0:1]
	v_cndmask_b32_e32 v108, v108, v46, vcc
	;; [unrolled: 6-line block ×4, first 2 shown]
	v_cmp_eq_u32_e32 vcc, 12, v100
	ds_read_b64 v[106:107], v104
	v_cndmask_b32_e32 v105, v105, v59, vcc
	v_cndmask_b32_e64 v108, v108, v56, s[0:1]
	v_cmp_eq_u32_e64 s[0:1], 13, v100
	v_cndmask_b32_e64 v105, v105, v61, s[0:1]
	v_cndmask_b32_e32 v108, v108, v58, vcc
	v_cmp_eq_u32_e32 vcc, 14, v100
	v_cndmask_b32_e32 v105, v105, v63, vcc
	v_cmp_eq_u32_e64 s[4:5], 15, v100
	v_cndmask_b32_e64 v108, v108, v60, s[0:1]
	v_cndmask_b32_e64 v109, v105, v65, s[4:5]
	v_cndmask_b32_e32 v105, v108, v62, vcc
	v_add_co_u32_e64 v100, s[0:1], 1, v100
	v_cndmask_b32_e64 v108, v105, v64, s[4:5]
	v_add_u32_e32 v104, 8, v104
	v_addc_co_u32_e64 v101, s[0:1], 0, v101, s[0:1]
	s_waitcnt lgkmcnt(0)
	v_fmac_f64_e32 v[98:99], v[108:109], v[106:107]
	s_andn2_b64 exec, exec, s[10:11]
	s_cbranch_execnz .LBB15_205
; %bb.206:
	s_or_b64 exec, exec, s[10:11]
.LBB15_207:
	s_or_b64 exec, exec, s[8:9]
.LBB15_208:
	s_or_b64 exec, exec, s[6:7]
	v_mov_b32_e32 v36, 0
	ds_read_b64 v[36:37], v36 offset:8
	s_waitcnt lgkmcnt(0)
	v_mul_f64 v[36:37], v[98:99], v[36:37]
.LBB15_209:
	s_or_b64 exec, exec, s[36:37]
	v_cmp_ne_u32_e32 vcc, 0, v0
	ds_write_b64 v103, v[34:35]
	s_waitcnt lgkmcnt(0)
	; wave barrier
	s_waitcnt lgkmcnt(0)
	s_and_saveexec_b64 s[30:31], vcc
	s_cbranch_execz .LBB15_225
; %bb.210:
	s_andn2_b64 vcc, exec, s[34:35]
	s_cbranch_vccnz .LBB15_212
; %bb.211:
	v_cmp_eq_u32_e32 vcc, 1, v0
	v_cndmask_b32_e32 v98, v35, v37, vcc
	v_cmp_eq_u32_e64 s[0:1], 2, v0
	v_cndmask_b32_e64 v98, v98, v39, s[0:1]
	v_cmp_eq_u32_e64 s[4:5], 3, v0
	v_cndmask_b32_e64 v98, v98, v41, s[4:5]
	;; [unrolled: 2-line block ×14, first 2 shown]
	v_cndmask_b32_e32 v98, v34, v36, vcc
	v_cndmask_b32_e64 v98, v98, v38, s[0:1]
	v_cndmask_b32_e64 v98, v98, v40, s[4:5]
	v_cndmask_b32_e64 v98, v98, v42, s[6:7]
	v_cndmask_b32_e64 v98, v98, v44, s[8:9]
	v_cndmask_b32_e64 v98, v98, v46, s[10:11]
	v_cndmask_b32_e64 v98, v98, v48, s[12:13]
	v_cndmask_b32_e64 v98, v98, v50, s[14:15]
	v_cndmask_b32_e64 v98, v98, v52, s[16:17]
	v_cndmask_b32_e64 v98, v98, v54, s[18:19]
	v_cndmask_b32_e64 v98, v98, v56, s[20:21]
	ds_read_b64 v[100:101], v103
	v_cndmask_b32_e64 v98, v98, v58, s[22:23]
	v_cndmask_b32_e64 v98, v98, v60, s[24:25]
	;; [unrolled: 1-line block ×4, first 2 shown]
	s_waitcnt lgkmcnt(0)
	v_mul_f64 v[98:99], v[98:99], v[100:101]
	s_cbranch_execz .LBB15_213
	s_branch .LBB15_214
.LBB15_212:
                                        ; implicit-def: $vgpr98_vgpr99
.LBB15_213:
	ds_read_b64 v[98:99], v103
.LBB15_214:
	s_and_saveexec_b64 s[4:5], s[2:3]
	s_cbranch_execz .LBB15_224
; %bb.215:
	v_add_u32_e32 v100, -2, v0
	v_add_u32_e32 v101, -1, v0
	v_cmp_lt_u32_e32 vcc, 6, v100
	v_mov_b32_e32 v100, 1
	s_and_saveexec_b64 s[0:1], vcc
	s_cbranch_execz .LBB15_219
; %bb.216:
	v_and_b32_e32 v100, -8, v101
	v_sub_u32_e32 v102, 0, v100
	s_mov_b64 s[2:3], 8
	s_movk_i32 s8, 0x88
	s_mov_b64 s[6:7], 0
.LBB15_217:                             ; =>This Inner Loop Header: Depth=1
	s_lshl_b32 s9, s2, 1
	s_add_i32 s10, s9, -13
	v_mov_b32_e32 v118, s8
	s_add_i32 s11, s9, -14
	s_set_gpr_idx_on s10, gpr_idx(SRC0)
	v_mov_b32_e32 v113, v34
	s_set_gpr_idx_off
	s_add_i32 s12, s9, -11
	s_set_gpr_idx_on s11, gpr_idx(SRC0)
	v_mov_b32_e32 v112, v34
	s_set_gpr_idx_off
	ds_read2_b64 v[104:107], v118 offset1:1
	s_add_i32 s13, s9, -12
	s_set_gpr_idx_on s12, gpr_idx(SRC0)
	v_mov_b32_e32 v115, v34
	s_set_gpr_idx_off
	s_add_i32 s14, s9, -9
	s_set_gpr_idx_on s13, gpr_idx(SRC0)
	v_mov_b32_e32 v114, v34
	s_set_gpr_idx_off
	;; [unrolled: 4-line block ×4, first 2 shown]
	ds_read2_b64 v[108:111], v118 offset0:2 offset1:3
	s_add_i32 s17, s9, -8
	s_waitcnt lgkmcnt(1)
	v_fmac_f64_e32 v[98:99], v[112:113], v[104:105]
	s_set_gpr_idx_on s16, gpr_idx(SRC0)
	v_mov_b32_e32 v113, v34
	s_set_gpr_idx_off
	s_add_i32 s18, s9, -5
	v_fmac_f64_e32 v[98:99], v[114:115], v[106:107]
	s_set_gpr_idx_on s17, gpr_idx(SRC0)
	v_mov_b32_e32 v112, v34
	s_set_gpr_idx_off
	s_add_i32 s19, s9, -6
	s_set_gpr_idx_on s18, gpr_idx(SRC0)
	v_mov_b32_e32 v115, v34
	s_set_gpr_idx_off
	s_add_i32 s20, s9, -3
	;; [unrolled: 4-line block ×3, first 2 shown]
	ds_read2_b64 v[104:107], v118 offset0:4 offset1:5
	s_waitcnt lgkmcnt(1)
	v_fmac_f64_e32 v[98:99], v[116:117], v[108:109]
	s_set_gpr_idx_on s20, gpr_idx(SRC0)
	v_mov_b32_e32 v117, v34
	s_set_gpr_idx_off
	s_add_i32 s22, s9, -1
	v_fmac_f64_e32 v[98:99], v[112:113], v[110:111]
	s_set_gpr_idx_on s21, gpr_idx(SRC0)
	v_mov_b32_e32 v116, v34
	s_set_gpr_idx_off
	s_add_i32 s23, s9, -2
	s_set_gpr_idx_on s22, gpr_idx(SRC0)
	v_mov_b32_e32 v113, v34
	s_set_gpr_idx_off
	s_set_gpr_idx_on s23, gpr_idx(SRC0)
	v_mov_b32_e32 v112, v34
	s_set_gpr_idx_off
	ds_read2_b64 v[108:111], v118 offset0:6 offset1:7
	s_add_u32 s2, s2, 8
	s_waitcnt lgkmcnt(1)
	v_fmac_f64_e32 v[98:99], v[114:115], v[104:105]
	s_set_gpr_idx_on s9, gpr_idx(SRC0)
	v_mov_b32_e32 v105, v35
	s_set_gpr_idx_off
	v_add_u32_e32 v100, s2, v102
	v_fmac_f64_e32 v[98:99], v[116:117], v[106:107]
	s_set_gpr_idx_on s9, gpr_idx(SRC0)
	v_mov_b32_e32 v104, v34
	s_set_gpr_idx_off
	s_addc_u32 s3, s3, 0
	s_add_i32 s8, s8, 64
	s_add_i32 s10, s2, -7
	v_cmp_eq_u32_e32 vcc, 8, v100
	s_waitcnt lgkmcnt(0)
	v_fmac_f64_e32 v[98:99], v[112:113], v[108:109]
	v_mov_b32_e32 v100, s10
	s_or_b64 s[6:7], vcc, s[6:7]
	v_fmac_f64_e32 v[98:99], v[104:105], v[110:111]
	s_andn2_b64 exec, exec, s[6:7]
	s_cbranch_execnz .LBB15_217
; %bb.218:
	s_or_b64 exec, exec, s[6:7]
.LBB15_219:
	s_or_b64 exec, exec, s[0:1]
	v_and_b32_e32 v102, 7, v101
	v_cmp_ne_u32_e32 vcc, 0, v102
	s_and_saveexec_b64 s[6:7], vcc
	s_cbranch_execz .LBB15_223
; %bb.220:
	v_mov_b32_e32 v101, 0x80
	v_lshl_add_u32 v104, v100, 3, v101
	v_mov_b32_e32 v101, 0
	s_mov_b64 s[8:9], 0
.LBB15_221:                             ; =>This Inner Loop Header: Depth=1
	v_cmp_eq_u32_e32 vcc, 1, v100
	v_cndmask_b32_e32 v105, v35, v37, vcc
	v_add_u32_e32 v102, -1, v102
	v_cmp_eq_u32_e64 s[0:1], 2, v100
	v_cndmask_b32_e64 v105, v105, v39, s[0:1]
	v_cndmask_b32_e32 v108, v34, v36, vcc
	v_cmp_eq_u32_e32 vcc, 0, v102
	v_cmp_eq_u32_e64 s[2:3], 3, v100
	v_cndmask_b32_e64 v105, v105, v41, s[2:3]
	v_cndmask_b32_e64 v108, v108, v38, s[0:1]
	s_or_b64 s[8:9], vcc, s[8:9]
	v_cmp_eq_u32_e32 vcc, 4, v100
	v_cndmask_b32_e32 v105, v105, v43, vcc
	v_cndmask_b32_e64 v108, v108, v40, s[2:3]
	v_cmp_eq_u32_e64 s[0:1], 5, v100
	v_cndmask_b32_e64 v105, v105, v45, s[0:1]
	v_cndmask_b32_e32 v108, v108, v42, vcc
	v_cmp_eq_u32_e32 vcc, 6, v100
	v_cndmask_b32_e32 v105, v105, v47, vcc
	v_cndmask_b32_e64 v108, v108, v44, s[0:1]
	v_cmp_eq_u32_e64 s[0:1], 7, v100
	v_cndmask_b32_e64 v105, v105, v49, s[0:1]
	v_cndmask_b32_e32 v108, v108, v46, vcc
	;; [unrolled: 6-line block ×4, first 2 shown]
	v_cmp_eq_u32_e32 vcc, 12, v100
	ds_read_b64 v[106:107], v104
	v_cndmask_b32_e32 v105, v105, v59, vcc
	v_cndmask_b32_e64 v108, v108, v56, s[0:1]
	v_cmp_eq_u32_e64 s[0:1], 13, v100
	v_cndmask_b32_e64 v105, v105, v61, s[0:1]
	v_cndmask_b32_e32 v108, v108, v58, vcc
	v_cmp_eq_u32_e32 vcc, 14, v100
	v_cndmask_b32_e32 v105, v105, v63, vcc
	v_cmp_eq_u32_e64 s[2:3], 15, v100
	v_cndmask_b32_e64 v108, v108, v60, s[0:1]
	v_cndmask_b32_e64 v109, v105, v65, s[2:3]
	v_cndmask_b32_e32 v105, v108, v62, vcc
	v_add_co_u32_e64 v100, s[0:1], 1, v100
	v_cndmask_b32_e64 v108, v105, v64, s[2:3]
	v_add_u32_e32 v104, 8, v104
	v_addc_co_u32_e64 v101, s[0:1], 0, v101, s[0:1]
	s_waitcnt lgkmcnt(0)
	v_fmac_f64_e32 v[98:99], v[108:109], v[106:107]
	s_andn2_b64 exec, exec, s[8:9]
	s_cbranch_execnz .LBB15_221
; %bb.222:
	s_or_b64 exec, exec, s[8:9]
.LBB15_223:
	s_or_b64 exec, exec, s[6:7]
.LBB15_224:
	s_or_b64 exec, exec, s[4:5]
	v_mov_b32_e32 v34, 0
	ds_read_b64 v[34:35], v34
	s_waitcnt lgkmcnt(0)
	v_mul_f64 v[34:35], v[98:99], v[34:35]
.LBB15_225:
	s_or_b64 exec, exec, s[30:31]
	s_branch .LBB15_381
.LBB15_226:
	v_cmp_eq_u32_e64 s[2:3], 0, v0
	s_waitcnt vmcnt(15)
	ds_write_b64 v103, v[4:5]
	s_waitcnt lgkmcnt(0)
	; wave barrier
	s_waitcnt lgkmcnt(0)
	s_and_saveexec_b64 s[30:31], s[2:3]
	s_cbranch_execz .LBB15_232
; %bb.227:
	s_and_b64 vcc, exec, s[34:35]
	s_cbranch_vccz .LBB15_229
; %bb.228:
	v_cmp_eq_u32_e32 vcc, 1, v0
	s_waitcnt vmcnt(1)
	v_cndmask_b32_e32 v5, v3, v5, vcc
	v_cmp_eq_u32_e64 s[0:1], 2, v0
	v_cndmask_b32_e32 v4, v2, v4, vcc
	v_cndmask_b32_e64 v5, v5, v7, s[0:1]
	v_cmp_eq_u32_e64 s[4:5], 3, v0
	v_cndmask_b32_e64 v4, v4, v6, s[0:1]
	v_cndmask_b32_e64 v5, v5, v9, s[4:5]
	v_cmp_eq_u32_e64 s[6:7], 4, v0
	v_cndmask_b32_e64 v4, v4, v8, s[4:5]
	;; [unrolled: 3-line block ×10, first 2 shown]
	ds_read_b64 v[34:35], v103
	v_cndmask_b32_e64 v5, v5, v27, s[22:23]
	v_cmp_eq_u32_e64 s[24:25], 13, v0
	v_cndmask_b32_e64 v4, v4, v26, s[22:23]
	v_cndmask_b32_e64 v5, v5, v29, s[24:25]
	v_cmp_eq_u32_e64 s[26:27], 14, v0
	v_cndmask_b32_e64 v4, v4, v28, s[24:25]
	;; [unrolled: 3-line block ×3, first 2 shown]
	s_waitcnt vmcnt(0)
	v_cndmask_b32_e64 v5, v5, v33, s[28:29]
	v_cndmask_b32_e64 v4, v4, v32, s[28:29]
	s_waitcnt lgkmcnt(0)
	v_mul_f64 v[4:5], v[4:5], v[34:35]
	s_cbranch_execz .LBB15_230
	s_branch .LBB15_231
.LBB15_229:
                                        ; implicit-def: $vgpr4_vgpr5
.LBB15_230:
	ds_read_b64 v[4:5], v103
.LBB15_231:
	v_mov_b32_e32 v34, 0
	ds_read_b64 v[34:35], v34 offset:8
	s_waitcnt lgkmcnt(0)
	v_mul_f64 v[4:5], v[4:5], v[34:35]
.LBB15_232:
	s_or_b64 exec, exec, s[30:31]
	v_cndmask_b32_e64 v34, 0, 1, s[34:35]
	v_add_u32_e32 v38, 1, v0
	v_cmp_gt_u32_e32 vcc, 2, v0
	v_cmp_ne_u32_e64 s[0:1], 1, v34
	s_waitcnt vmcnt(14)
	ds_write_b64 v103, v[6:7]
	s_waitcnt lgkmcnt(0)
	; wave barrier
	s_waitcnt lgkmcnt(0)
	s_and_saveexec_b64 s[34:35], vcc
	s_cbranch_execz .LBB15_240
; %bb.233:
	s_and_b64 vcc, exec, s[0:1]
	s_cbranch_vccnz .LBB15_235
; %bb.234:
	v_cmp_eq_u32_e32 vcc, 1, v0
	s_waitcnt vmcnt(1)
	v_cndmask_b32_e32 v34, v3, v5, vcc
	v_cmp_eq_u32_e64 s[4:5], 2, v0
	v_cndmask_b32_e64 v34, v34, v7, s[4:5]
	v_cmp_eq_u32_e64 s[6:7], 3, v0
	v_cndmask_b32_e64 v34, v34, v9, s[6:7]
	;; [unrolled: 2-line block ×13, first 2 shown]
	v_cmp_eq_u32_e64 s[30:31], 15, v0
	s_waitcnt vmcnt(0)
	v_cndmask_b32_e64 v35, v34, v33, s[30:31]
	v_cndmask_b32_e32 v34, v2, v4, vcc
	v_cndmask_b32_e64 v34, v34, v6, s[4:5]
	v_cndmask_b32_e64 v34, v34, v8, s[6:7]
	;; [unrolled: 1-line block ×10, first 2 shown]
	ds_read_b64 v[36:37], v103
	v_cndmask_b32_e64 v34, v34, v26, s[24:25]
	v_cndmask_b32_e64 v34, v34, v28, s[26:27]
	;; [unrolled: 1-line block ×4, first 2 shown]
	s_waitcnt lgkmcnt(0)
	v_mul_f64 v[34:35], v[34:35], v[36:37]
	s_cbranch_execz .LBB15_236
	s_branch .LBB15_237
.LBB15_235:
                                        ; implicit-def: $vgpr34_vgpr35
.LBB15_236:
	ds_read_b64 v[34:35], v103
.LBB15_237:
	s_and_saveexec_b64 s[36:37], s[2:3]
	s_cbranch_execz .LBB15_239
; %bb.238:
	v_cmp_eq_u32_e32 vcc, 1, v38
	s_waitcnt vmcnt(1)
	v_cndmask_b32_e32 v36, v3, v5, vcc
	v_cmp_eq_u32_e64 s[4:5], 2, v38
	v_cndmask_b32_e64 v7, v36, v7, s[4:5]
	v_cndmask_b32_e32 v36, v2, v4, vcc
	v_cmp_eq_u32_e64 s[6:7], 3, v38
	v_cndmask_b32_e64 v6, v36, v6, s[4:5]
	v_cndmask_b32_e64 v7, v7, v9, s[6:7]
	v_cmp_eq_u32_e64 s[8:9], 4, v38
	v_cndmask_b32_e64 v6, v6, v8, s[6:7]
	v_cndmask_b32_e64 v7, v7, v11, s[8:9]
	;; [unrolled: 3-line block ×9, first 2 shown]
	v_cmp_eq_u32_e64 s[24:25], 12, v38
	v_cndmask_b32_e64 v6, v6, v24, s[22:23]
	ds_read_b64 v[36:37], v103 offset:8
	v_cndmask_b32_e64 v7, v7, v27, s[24:25]
	v_cmp_eq_u32_e64 s[26:27], 13, v38
	v_cndmask_b32_e64 v6, v6, v26, s[24:25]
	v_cndmask_b32_e64 v7, v7, v29, s[26:27]
	v_cmp_eq_u32_e64 s[28:29], 14, v38
	v_cndmask_b32_e64 v6, v6, v28, s[26:27]
	;; [unrolled: 3-line block ×3, first 2 shown]
	s_waitcnt vmcnt(0)
	v_cndmask_b32_e64 v7, v7, v33, s[30:31]
	v_cndmask_b32_e64 v6, v6, v32, s[30:31]
	s_waitcnt lgkmcnt(0)
	v_fmac_f64_e32 v[34:35], v[6:7], v[36:37]
.LBB15_239:
	s_or_b64 exec, exec, s[36:37]
	v_mov_b32_e32 v6, 0
	ds_read_b64 v[6:7], v6 offset:16
	s_waitcnt lgkmcnt(0)
	v_mul_f64 v[6:7], v[34:35], v[6:7]
.LBB15_240:
	s_or_b64 exec, exec, s[34:35]
	v_cmp_gt_u32_e64 s[4:5], 3, v0
	s_waitcnt vmcnt(13)
	ds_write_b64 v103, v[8:9]
	s_waitcnt lgkmcnt(0)
	; wave barrier
	s_waitcnt lgkmcnt(0)
	s_and_saveexec_b64 s[36:37], s[4:5]
	s_cbranch_execz .LBB15_248
; %bb.241:
	s_and_b64 vcc, exec, s[0:1]
	s_cbranch_vccnz .LBB15_243
; %bb.242:
	v_cmp_eq_u32_e32 vcc, 1, v0
	s_waitcnt vmcnt(1)
	v_cndmask_b32_e32 v34, v3, v5, vcc
	v_cmp_eq_u32_e64 s[6:7], 2, v0
	v_cndmask_b32_e64 v34, v34, v7, s[6:7]
	v_cmp_eq_u32_e64 s[8:9], 3, v0
	v_cndmask_b32_e64 v34, v34, v9, s[8:9]
	;; [unrolled: 2-line block ×13, first 2 shown]
	v_cmp_eq_u32_e64 s[34:35], 15, v0
	s_waitcnt vmcnt(0)
	v_cndmask_b32_e64 v35, v34, v33, s[34:35]
	v_cndmask_b32_e32 v34, v2, v4, vcc
	v_cndmask_b32_e64 v34, v34, v6, s[6:7]
	v_cndmask_b32_e64 v34, v34, v8, s[8:9]
	v_cndmask_b32_e64 v34, v34, v10, s[10:11]
	v_cndmask_b32_e64 v34, v34, v12, s[12:13]
	v_cndmask_b32_e64 v34, v34, v14, s[14:15]
	v_cndmask_b32_e64 v34, v34, v16, s[16:17]
	v_cndmask_b32_e64 v34, v34, v18, s[18:19]
	v_cndmask_b32_e64 v34, v34, v20, s[20:21]
	v_cndmask_b32_e64 v34, v34, v22, s[22:23]
	v_cndmask_b32_e64 v34, v34, v24, s[24:25]
	ds_read_b64 v[36:37], v103
	v_cndmask_b32_e64 v34, v34, v26, s[26:27]
	v_cndmask_b32_e64 v34, v34, v28, s[28:29]
	;; [unrolled: 1-line block ×4, first 2 shown]
	s_waitcnt lgkmcnt(0)
	v_mul_f64 v[34:35], v[34:35], v[36:37]
	s_cbranch_execz .LBB15_244
	s_branch .LBB15_245
.LBB15_243:
                                        ; implicit-def: $vgpr34_vgpr35
.LBB15_244:
	ds_read_b64 v[34:35], v103
.LBB15_245:
	v_cmp_ne_u32_e32 vcc, 2, v0
	s_and_saveexec_b64 s[38:39], vcc
	s_cbranch_execz .LBB15_247
; %bb.246:
	v_cmp_eq_u32_e32 vcc, 1, v38
	s_waitcnt vmcnt(1)
	v_cndmask_b32_e32 v36, v3, v5, vcc
	v_cmp_eq_u32_e64 s[6:7], 2, v38
	v_cndmask_b32_e64 v36, v36, v7, s[6:7]
	v_cmp_eq_u32_e64 s[8:9], 3, v38
	v_cndmask_b32_e64 v9, v36, v9, s[8:9]
	v_cndmask_b32_e32 v36, v2, v4, vcc
	v_cndmask_b32_e64 v36, v36, v6, s[6:7]
	v_cmp_eq_u32_e64 s[10:11], 4, v38
	v_cndmask_b32_e64 v8, v36, v8, s[8:9]
	v_cndmask_b32_e64 v9, v9, v11, s[10:11]
	v_cmp_eq_u32_e64 s[12:13], 5, v38
	v_cndmask_b32_e64 v8, v8, v10, s[10:11]
	;; [unrolled: 3-line block ×10, first 2 shown]
	v_mov_b32_e32 v39, 0
	ds_read_b64 v[36:37], v103 offset:8
	ds_read_b64 v[40:41], v39 offset:144
	v_cndmask_b32_e64 v9, v9, v29, s[28:29]
	v_cmp_eq_u32_e64 s[30:31], 14, v38
	v_cndmask_b32_e64 v8, v8, v28, s[28:29]
	v_cndmask_b32_e64 v9, v9, v31, s[30:31]
	v_cmp_eq_u32_e64 s[34:35], 15, v38
	v_cndmask_b32_e64 v8, v8, v30, s[30:31]
	s_waitcnt vmcnt(0)
	v_cndmask_b32_e64 v9, v9, v33, s[34:35]
	v_cndmask_b32_e64 v8, v8, v32, s[34:35]
	s_waitcnt lgkmcnt(1)
	v_fmac_f64_e32 v[34:35], v[8:9], v[36:37]
	s_waitcnt lgkmcnt(0)
	v_fma_f64 v[8:9], v[6:7], v[40:41], v[34:35]
	v_cndmask_b32_e64 v35, v35, v9, s[2:3]
	v_cndmask_b32_e64 v34, v34, v8, s[2:3]
.LBB15_247:
	s_or_b64 exec, exec, s[38:39]
	v_mov_b32_e32 v8, 0
	ds_read_b64 v[8:9], v8 offset:24
	s_waitcnt lgkmcnt(0)
	v_mul_f64 v[8:9], v[34:35], v[8:9]
.LBB15_248:
	s_or_b64 exec, exec, s[36:37]
	v_cmp_gt_u32_e32 vcc, 4, v0
	s_waitcnt vmcnt(12)
	ds_write_b64 v103, v[10:11]
	s_waitcnt lgkmcnt(0)
	; wave barrier
	s_waitcnt lgkmcnt(0)
	s_and_saveexec_b64 s[36:37], vcc
	s_cbranch_execz .LBB15_258
; %bb.249:
	s_and_b64 vcc, exec, s[0:1]
	s_cbranch_vccnz .LBB15_251
; %bb.250:
	v_cmp_eq_u32_e32 vcc, 1, v0
	s_waitcnt vmcnt(1)
	v_cndmask_b32_e32 v34, v3, v5, vcc
	v_cmp_eq_u32_e64 s[6:7], 2, v0
	v_cndmask_b32_e64 v34, v34, v7, s[6:7]
	v_cmp_eq_u32_e64 s[8:9], 3, v0
	v_cndmask_b32_e64 v34, v34, v9, s[8:9]
	;; [unrolled: 2-line block ×13, first 2 shown]
	v_cmp_eq_u32_e64 s[34:35], 15, v0
	s_waitcnt vmcnt(0)
	v_cndmask_b32_e64 v35, v34, v33, s[34:35]
	v_cndmask_b32_e32 v34, v2, v4, vcc
	v_cndmask_b32_e64 v34, v34, v6, s[6:7]
	v_cndmask_b32_e64 v34, v34, v8, s[8:9]
	v_cndmask_b32_e64 v34, v34, v10, s[10:11]
	v_cndmask_b32_e64 v34, v34, v12, s[12:13]
	v_cndmask_b32_e64 v34, v34, v14, s[14:15]
	v_cndmask_b32_e64 v34, v34, v16, s[16:17]
	v_cndmask_b32_e64 v34, v34, v18, s[18:19]
	v_cndmask_b32_e64 v34, v34, v20, s[20:21]
	v_cndmask_b32_e64 v34, v34, v22, s[22:23]
	v_cndmask_b32_e64 v34, v34, v24, s[24:25]
	ds_read_b64 v[36:37], v103
	v_cndmask_b32_e64 v34, v34, v26, s[26:27]
	v_cndmask_b32_e64 v34, v34, v28, s[28:29]
	;; [unrolled: 1-line block ×4, first 2 shown]
	s_waitcnt lgkmcnt(0)
	v_mul_f64 v[34:35], v[34:35], v[36:37]
	s_cbranch_execz .LBB15_252
	s_branch .LBB15_253
.LBB15_251:
                                        ; implicit-def: $vgpr34_vgpr35
.LBB15_252:
	ds_read_b64 v[34:35], v103
.LBB15_253:
	v_cmp_ne_u32_e32 vcc, 3, v0
	s_and_saveexec_b64 s[10:11], vcc
	s_cbranch_execz .LBB15_257
; %bb.254:
	v_mov_b32_e32 v36, 0x88
	v_lshl_add_u32 v39, v0, 3, v36
	s_mov_b64 s[12:13], 0
	v_pk_mov_b32 v[36:37], v[0:1], v[0:1] op_sel:[0,1]
.LBB15_255:                             ; =>This Inner Loop Header: Depth=1
	v_add_co_u32_e32 v36, vcc, 1, v36
	v_addc_co_u32_e32 v37, vcc, 0, v37, vcc
	v_cmp_eq_u32_e32 vcc, 1, v36
	s_waitcnt vmcnt(1)
	v_cndmask_b32_e32 v42, v3, v5, vcc
	v_cmp_eq_u32_e64 s[8:9], 2, v36
	v_cmp_lt_u32_e64 s[6:7], 2, v36
	v_cndmask_b32_e64 v42, v42, v7, s[8:9]
	v_cndmask_b32_e32 v43, v2, v4, vcc
	v_cmp_eq_u32_e32 vcc, 3, v36
	s_or_b64 s[12:13], s[6:7], s[12:13]
	v_cndmask_b32_e32 v42, v42, v9, vcc
	v_cndmask_b32_e64 v43, v43, v6, s[8:9]
	v_cmp_eq_u32_e64 s[6:7], 4, v36
	v_cndmask_b32_e64 v42, v42, v11, s[6:7]
	v_cndmask_b32_e32 v43, v43, v8, vcc
	v_cmp_eq_u32_e32 vcc, 5, v36
	v_cndmask_b32_e32 v42, v42, v13, vcc
	v_cndmask_b32_e64 v43, v43, v10, s[6:7]
	v_cmp_eq_u32_e64 s[6:7], 6, v36
	v_cndmask_b32_e64 v42, v42, v15, s[6:7]
	v_cndmask_b32_e32 v43, v43, v12, vcc
	v_cmp_eq_u32_e32 vcc, 7, v36
	;; [unrolled: 6-line block ×4, first 2 shown]
	v_cndmask_b32_e32 v42, v42, v25, vcc
	v_cndmask_b32_e64 v43, v43, v22, s[6:7]
	v_cmp_eq_u32_e64 s[6:7], 12, v36
	ds_read_b64 v[40:41], v39
	v_cndmask_b32_e64 v42, v42, v27, s[6:7]
	v_cndmask_b32_e32 v43, v43, v24, vcc
	v_cmp_eq_u32_e32 vcc, 13, v36
	v_cndmask_b32_e32 v42, v42, v29, vcc
	v_cndmask_b32_e64 v43, v43, v26, s[6:7]
	v_cmp_eq_u32_e64 s[6:7], 14, v36
	v_cndmask_b32_e64 v42, v42, v31, s[6:7]
	v_cndmask_b32_e32 v44, v43, v28, vcc
	v_cmp_eq_u32_e32 vcc, 15, v36
	s_waitcnt vmcnt(0)
	v_cndmask_b32_e32 v43, v42, v33, vcc
	v_cndmask_b32_e64 v42, v44, v30, s[6:7]
	v_cndmask_b32_e32 v42, v42, v32, vcc
	v_add_u32_e32 v39, 8, v39
	s_waitcnt lgkmcnt(0)
	v_fmac_f64_e32 v[34:35], v[42:43], v[40:41]
	s_andn2_b64 exec, exec, s[12:13]
	s_cbranch_execnz .LBB15_255
; %bb.256:
	s_or_b64 exec, exec, s[12:13]
.LBB15_257:
	s_or_b64 exec, exec, s[10:11]
	v_mov_b32_e32 v10, 0
	ds_read_b64 v[10:11], v10 offset:32
	s_waitcnt lgkmcnt(0)
	v_mul_f64 v[10:11], v[34:35], v[10:11]
.LBB15_258:
	s_or_b64 exec, exec, s[36:37]
	v_cmp_gt_u32_e64 s[6:7], 5, v0
	s_waitcnt vmcnt(11)
	ds_write_b64 v103, v[12:13]
	s_waitcnt lgkmcnt(0)
	; wave barrier
	s_waitcnt lgkmcnt(0)
	s_and_saveexec_b64 s[38:39], s[6:7]
	s_cbranch_execz .LBB15_268
; %bb.259:
	s_and_b64 vcc, exec, s[0:1]
	s_cbranch_vccnz .LBB15_261
; %bb.260:
	v_cmp_eq_u32_e32 vcc, 1, v0
	s_waitcnt vmcnt(1)
	v_cndmask_b32_e32 v34, v3, v5, vcc
	v_cmp_eq_u32_e64 s[8:9], 2, v0
	v_cndmask_b32_e64 v34, v34, v7, s[8:9]
	v_cmp_eq_u32_e64 s[10:11], 3, v0
	v_cndmask_b32_e64 v34, v34, v9, s[10:11]
	;; [unrolled: 2-line block ×13, first 2 shown]
	v_cmp_eq_u32_e64 s[36:37], 15, v0
	s_waitcnt vmcnt(0)
	v_cndmask_b32_e64 v35, v34, v33, s[36:37]
	v_cndmask_b32_e32 v34, v2, v4, vcc
	v_cndmask_b32_e64 v34, v34, v6, s[8:9]
	v_cndmask_b32_e64 v34, v34, v8, s[10:11]
	;; [unrolled: 1-line block ×10, first 2 shown]
	ds_read_b64 v[36:37], v103
	v_cndmask_b32_e64 v34, v34, v26, s[28:29]
	v_cndmask_b32_e64 v34, v34, v28, s[30:31]
	;; [unrolled: 1-line block ×4, first 2 shown]
	s_waitcnt lgkmcnt(0)
	v_mul_f64 v[34:35], v[34:35], v[36:37]
	s_cbranch_execz .LBB15_262
	s_branch .LBB15_263
.LBB15_261:
                                        ; implicit-def: $vgpr34_vgpr35
.LBB15_262:
	ds_read_b64 v[34:35], v103
.LBB15_263:
	v_cmp_ne_u32_e32 vcc, 4, v0
	s_and_saveexec_b64 s[12:13], vcc
	s_cbranch_execz .LBB15_267
; %bb.264:
	v_mov_b32_e32 v36, 0x88
	v_lshl_add_u32 v39, v0, 3, v36
	s_mov_b64 s[14:15], 0
	v_pk_mov_b32 v[36:37], v[0:1], v[0:1] op_sel:[0,1]
.LBB15_265:                             ; =>This Inner Loop Header: Depth=1
	v_add_co_u32_e32 v36, vcc, 1, v36
	v_addc_co_u32_e32 v37, vcc, 0, v37, vcc
	v_cmp_eq_u32_e32 vcc, 1, v36
	s_waitcnt vmcnt(1)
	v_cndmask_b32_e32 v42, v3, v5, vcc
	v_cmp_eq_u32_e64 s[10:11], 2, v36
	v_cmp_lt_u32_e64 s[8:9], 3, v36
	v_cndmask_b32_e64 v42, v42, v7, s[10:11]
	v_cndmask_b32_e32 v43, v2, v4, vcc
	v_cmp_eq_u32_e32 vcc, 3, v36
	s_or_b64 s[14:15], s[8:9], s[14:15]
	v_cndmask_b32_e32 v42, v42, v9, vcc
	v_cndmask_b32_e64 v43, v43, v6, s[10:11]
	v_cmp_eq_u32_e64 s[8:9], 4, v36
	v_cndmask_b32_e64 v42, v42, v11, s[8:9]
	v_cndmask_b32_e32 v43, v43, v8, vcc
	v_cmp_eq_u32_e32 vcc, 5, v36
	v_cndmask_b32_e32 v42, v42, v13, vcc
	v_cndmask_b32_e64 v43, v43, v10, s[8:9]
	v_cmp_eq_u32_e64 s[8:9], 6, v36
	v_cndmask_b32_e64 v42, v42, v15, s[8:9]
	v_cndmask_b32_e32 v43, v43, v12, vcc
	v_cmp_eq_u32_e32 vcc, 7, v36
	;; [unrolled: 6-line block ×4, first 2 shown]
	v_cndmask_b32_e32 v42, v42, v25, vcc
	v_cndmask_b32_e64 v43, v43, v22, s[8:9]
	v_cmp_eq_u32_e64 s[8:9], 12, v36
	ds_read_b64 v[40:41], v39
	v_cndmask_b32_e64 v42, v42, v27, s[8:9]
	v_cndmask_b32_e32 v43, v43, v24, vcc
	v_cmp_eq_u32_e32 vcc, 13, v36
	v_cndmask_b32_e32 v42, v42, v29, vcc
	v_cndmask_b32_e64 v43, v43, v26, s[8:9]
	v_cmp_eq_u32_e64 s[8:9], 14, v36
	v_cndmask_b32_e64 v42, v42, v31, s[8:9]
	v_cndmask_b32_e32 v44, v43, v28, vcc
	v_cmp_eq_u32_e32 vcc, 15, v36
	s_waitcnt vmcnt(0)
	v_cndmask_b32_e32 v43, v42, v33, vcc
	v_cndmask_b32_e64 v42, v44, v30, s[8:9]
	v_cndmask_b32_e32 v42, v42, v32, vcc
	v_add_u32_e32 v39, 8, v39
	s_waitcnt lgkmcnt(0)
	v_fmac_f64_e32 v[34:35], v[42:43], v[40:41]
	s_andn2_b64 exec, exec, s[14:15]
	s_cbranch_execnz .LBB15_265
; %bb.266:
	s_or_b64 exec, exec, s[14:15]
.LBB15_267:
	s_or_b64 exec, exec, s[12:13]
	v_mov_b32_e32 v12, 0
	ds_read_b64 v[12:13], v12 offset:40
	s_waitcnt lgkmcnt(0)
	v_mul_f64 v[12:13], v[34:35], v[12:13]
.LBB15_268:
	s_or_b64 exec, exec, s[38:39]
	v_cmp_gt_u32_e32 vcc, 6, v0
	s_waitcnt vmcnt(10)
	ds_write_b64 v103, v[14:15]
	s_waitcnt lgkmcnt(0)
	; wave barrier
	s_waitcnt lgkmcnt(0)
	s_and_saveexec_b64 s[38:39], vcc
	s_cbranch_execz .LBB15_278
; %bb.269:
	s_and_b64 vcc, exec, s[0:1]
	s_cbranch_vccnz .LBB15_271
; %bb.270:
	v_cmp_eq_u32_e32 vcc, 1, v0
	s_waitcnt vmcnt(1)
	v_cndmask_b32_e32 v34, v3, v5, vcc
	v_cmp_eq_u32_e64 s[8:9], 2, v0
	v_cndmask_b32_e64 v34, v34, v7, s[8:9]
	v_cmp_eq_u32_e64 s[10:11], 3, v0
	v_cndmask_b32_e64 v34, v34, v9, s[10:11]
	v_cmp_eq_u32_e64 s[12:13], 4, v0
	v_cndmask_b32_e64 v34, v34, v11, s[12:13]
	v_cmp_eq_u32_e64 s[14:15], 5, v0
	v_cndmask_b32_e64 v34, v34, v13, s[14:15]
	v_cmp_eq_u32_e64 s[16:17], 6, v0
	v_cndmask_b32_e64 v34, v34, v15, s[16:17]
	v_cmp_eq_u32_e64 s[18:19], 7, v0
	v_cndmask_b32_e64 v34, v34, v17, s[18:19]
	v_cmp_eq_u32_e64 s[20:21], 8, v0
	v_cndmask_b32_e64 v34, v34, v19, s[20:21]
	v_cmp_eq_u32_e64 s[22:23], 9, v0
	v_cndmask_b32_e64 v34, v34, v21, s[22:23]
	v_cmp_eq_u32_e64 s[24:25], 10, v0
	v_cndmask_b32_e64 v34, v34, v23, s[24:25]
	v_cmp_eq_u32_e64 s[26:27], 11, v0
	v_cndmask_b32_e64 v34, v34, v25, s[26:27]
	v_cmp_eq_u32_e64 s[28:29], 12, v0
	v_cndmask_b32_e64 v34, v34, v27, s[28:29]
	v_cmp_eq_u32_e64 s[30:31], 13, v0
	v_cndmask_b32_e64 v34, v34, v29, s[30:31]
	v_cmp_eq_u32_e64 s[34:35], 14, v0
	v_cndmask_b32_e64 v34, v34, v31, s[34:35]
	v_cmp_eq_u32_e64 s[36:37], 15, v0
	s_waitcnt vmcnt(0)
	v_cndmask_b32_e64 v35, v34, v33, s[36:37]
	v_cndmask_b32_e32 v34, v2, v4, vcc
	v_cndmask_b32_e64 v34, v34, v6, s[8:9]
	v_cndmask_b32_e64 v34, v34, v8, s[10:11]
	;; [unrolled: 1-line block ×10, first 2 shown]
	ds_read_b64 v[36:37], v103
	v_cndmask_b32_e64 v34, v34, v26, s[28:29]
	v_cndmask_b32_e64 v34, v34, v28, s[30:31]
	v_cndmask_b32_e64 v34, v34, v30, s[34:35]
	v_cndmask_b32_e64 v34, v34, v32, s[36:37]
	s_waitcnt lgkmcnt(0)
	v_mul_f64 v[34:35], v[34:35], v[36:37]
	s_cbranch_execz .LBB15_272
	s_branch .LBB15_273
.LBB15_271:
                                        ; implicit-def: $vgpr34_vgpr35
.LBB15_272:
	ds_read_b64 v[34:35], v103
.LBB15_273:
	v_cmp_ne_u32_e32 vcc, 5, v0
	s_and_saveexec_b64 s[12:13], vcc
	s_cbranch_execz .LBB15_277
; %bb.274:
	v_mov_b32_e32 v36, 0x88
	v_lshl_add_u32 v39, v0, 3, v36
	s_mov_b64 s[14:15], 0
	v_pk_mov_b32 v[36:37], v[0:1], v[0:1] op_sel:[0,1]
.LBB15_275:                             ; =>This Inner Loop Header: Depth=1
	v_add_co_u32_e32 v36, vcc, 1, v36
	v_addc_co_u32_e32 v37, vcc, 0, v37, vcc
	v_cmp_eq_u32_e32 vcc, 1, v36
	s_waitcnt vmcnt(1)
	v_cndmask_b32_e32 v42, v3, v5, vcc
	v_cmp_eq_u32_e64 s[10:11], 2, v36
	v_cmp_lt_u32_e64 s[8:9], 4, v36
	v_cndmask_b32_e64 v42, v42, v7, s[10:11]
	v_cndmask_b32_e32 v43, v2, v4, vcc
	v_cmp_eq_u32_e32 vcc, 3, v36
	s_or_b64 s[14:15], s[8:9], s[14:15]
	v_cndmask_b32_e32 v42, v42, v9, vcc
	v_cndmask_b32_e64 v43, v43, v6, s[10:11]
	v_cmp_eq_u32_e64 s[8:9], 4, v36
	v_cndmask_b32_e64 v42, v42, v11, s[8:9]
	v_cndmask_b32_e32 v43, v43, v8, vcc
	v_cmp_eq_u32_e32 vcc, 5, v36
	v_cndmask_b32_e32 v42, v42, v13, vcc
	v_cndmask_b32_e64 v43, v43, v10, s[8:9]
	v_cmp_eq_u32_e64 s[8:9], 6, v36
	v_cndmask_b32_e64 v42, v42, v15, s[8:9]
	v_cndmask_b32_e32 v43, v43, v12, vcc
	v_cmp_eq_u32_e32 vcc, 7, v36
	;; [unrolled: 6-line block ×4, first 2 shown]
	v_cndmask_b32_e32 v42, v42, v25, vcc
	v_cndmask_b32_e64 v43, v43, v22, s[8:9]
	v_cmp_eq_u32_e64 s[8:9], 12, v36
	ds_read_b64 v[40:41], v39
	v_cndmask_b32_e64 v42, v42, v27, s[8:9]
	v_cndmask_b32_e32 v43, v43, v24, vcc
	v_cmp_eq_u32_e32 vcc, 13, v36
	v_cndmask_b32_e32 v42, v42, v29, vcc
	v_cndmask_b32_e64 v43, v43, v26, s[8:9]
	v_cmp_eq_u32_e64 s[8:9], 14, v36
	v_cndmask_b32_e64 v42, v42, v31, s[8:9]
	v_cndmask_b32_e32 v44, v43, v28, vcc
	v_cmp_eq_u32_e32 vcc, 15, v36
	s_waitcnt vmcnt(0)
	v_cndmask_b32_e32 v43, v42, v33, vcc
	v_cndmask_b32_e64 v42, v44, v30, s[8:9]
	v_cndmask_b32_e32 v42, v42, v32, vcc
	v_add_u32_e32 v39, 8, v39
	s_waitcnt lgkmcnt(0)
	v_fmac_f64_e32 v[34:35], v[42:43], v[40:41]
	s_andn2_b64 exec, exec, s[14:15]
	s_cbranch_execnz .LBB15_275
; %bb.276:
	s_or_b64 exec, exec, s[14:15]
.LBB15_277:
	s_or_b64 exec, exec, s[12:13]
	v_mov_b32_e32 v14, 0
	ds_read_b64 v[14:15], v14 offset:48
	s_waitcnt lgkmcnt(0)
	v_mul_f64 v[14:15], v[34:35], v[14:15]
.LBB15_278:
	s_or_b64 exec, exec, s[38:39]
	v_cmp_gt_u32_e64 s[8:9], 7, v0
	s_waitcnt vmcnt(9)
	ds_write_b64 v103, v[16:17]
	s_waitcnt lgkmcnt(0)
	; wave barrier
	s_waitcnt lgkmcnt(0)
	s_and_saveexec_b64 s[40:41], s[8:9]
	s_cbranch_execz .LBB15_288
; %bb.279:
	s_and_b64 vcc, exec, s[0:1]
	s_cbranch_vccnz .LBB15_281
; %bb.280:
	v_cmp_eq_u32_e32 vcc, 1, v0
	s_waitcnt vmcnt(1)
	v_cndmask_b32_e32 v34, v3, v5, vcc
	v_cmp_eq_u32_e64 s[10:11], 2, v0
	v_cndmask_b32_e64 v34, v34, v7, s[10:11]
	v_cmp_eq_u32_e64 s[12:13], 3, v0
	v_cndmask_b32_e64 v34, v34, v9, s[12:13]
	;; [unrolled: 2-line block ×13, first 2 shown]
	v_cmp_eq_u32_e64 s[38:39], 15, v0
	s_waitcnt vmcnt(0)
	v_cndmask_b32_e64 v35, v34, v33, s[38:39]
	v_cndmask_b32_e32 v34, v2, v4, vcc
	v_cndmask_b32_e64 v34, v34, v6, s[10:11]
	v_cndmask_b32_e64 v34, v34, v8, s[12:13]
	;; [unrolled: 1-line block ×10, first 2 shown]
	ds_read_b64 v[36:37], v103
	v_cndmask_b32_e64 v34, v34, v26, s[30:31]
	v_cndmask_b32_e64 v34, v34, v28, s[34:35]
	;; [unrolled: 1-line block ×4, first 2 shown]
	s_waitcnt lgkmcnt(0)
	v_mul_f64 v[34:35], v[34:35], v[36:37]
	s_cbranch_execz .LBB15_282
	s_branch .LBB15_283
.LBB15_281:
                                        ; implicit-def: $vgpr34_vgpr35
.LBB15_282:
	ds_read_b64 v[34:35], v103
.LBB15_283:
	v_cmp_ne_u32_e32 vcc, 6, v0
	s_and_saveexec_b64 s[14:15], vcc
	s_cbranch_execz .LBB15_287
; %bb.284:
	v_mov_b32_e32 v36, 0x88
	v_lshl_add_u32 v39, v0, 3, v36
	s_mov_b64 s[16:17], 0
	v_pk_mov_b32 v[36:37], v[0:1], v[0:1] op_sel:[0,1]
.LBB15_285:                             ; =>This Inner Loop Header: Depth=1
	v_add_co_u32_e32 v36, vcc, 1, v36
	v_addc_co_u32_e32 v37, vcc, 0, v37, vcc
	v_cmp_eq_u32_e32 vcc, 1, v36
	s_waitcnt vmcnt(1)
	v_cndmask_b32_e32 v42, v3, v5, vcc
	v_cmp_eq_u32_e64 s[12:13], 2, v36
	v_cmp_lt_u32_e64 s[10:11], 5, v36
	v_cndmask_b32_e64 v42, v42, v7, s[12:13]
	v_cndmask_b32_e32 v43, v2, v4, vcc
	v_cmp_eq_u32_e32 vcc, 3, v36
	s_or_b64 s[16:17], s[10:11], s[16:17]
	v_cndmask_b32_e32 v42, v42, v9, vcc
	v_cndmask_b32_e64 v43, v43, v6, s[12:13]
	v_cmp_eq_u32_e64 s[10:11], 4, v36
	v_cndmask_b32_e64 v42, v42, v11, s[10:11]
	v_cndmask_b32_e32 v43, v43, v8, vcc
	v_cmp_eq_u32_e32 vcc, 5, v36
	v_cndmask_b32_e32 v42, v42, v13, vcc
	v_cndmask_b32_e64 v43, v43, v10, s[10:11]
	v_cmp_eq_u32_e64 s[10:11], 6, v36
	v_cndmask_b32_e64 v42, v42, v15, s[10:11]
	v_cndmask_b32_e32 v43, v43, v12, vcc
	v_cmp_eq_u32_e32 vcc, 7, v36
	;; [unrolled: 6-line block ×4, first 2 shown]
	v_cndmask_b32_e32 v42, v42, v25, vcc
	v_cndmask_b32_e64 v43, v43, v22, s[10:11]
	v_cmp_eq_u32_e64 s[10:11], 12, v36
	ds_read_b64 v[40:41], v39
	v_cndmask_b32_e64 v42, v42, v27, s[10:11]
	v_cndmask_b32_e32 v43, v43, v24, vcc
	v_cmp_eq_u32_e32 vcc, 13, v36
	v_cndmask_b32_e32 v42, v42, v29, vcc
	v_cndmask_b32_e64 v43, v43, v26, s[10:11]
	v_cmp_eq_u32_e64 s[10:11], 14, v36
	v_cndmask_b32_e64 v42, v42, v31, s[10:11]
	v_cndmask_b32_e32 v44, v43, v28, vcc
	v_cmp_eq_u32_e32 vcc, 15, v36
	s_waitcnt vmcnt(0)
	v_cndmask_b32_e32 v43, v42, v33, vcc
	v_cndmask_b32_e64 v42, v44, v30, s[10:11]
	v_cndmask_b32_e32 v42, v42, v32, vcc
	v_add_u32_e32 v39, 8, v39
	s_waitcnt lgkmcnt(0)
	v_fmac_f64_e32 v[34:35], v[42:43], v[40:41]
	s_andn2_b64 exec, exec, s[16:17]
	s_cbranch_execnz .LBB15_285
; %bb.286:
	s_or_b64 exec, exec, s[16:17]
.LBB15_287:
	s_or_b64 exec, exec, s[14:15]
	v_mov_b32_e32 v16, 0
	ds_read_b64 v[16:17], v16 offset:56
	s_waitcnt lgkmcnt(0)
	v_mul_f64 v[16:17], v[34:35], v[16:17]
.LBB15_288:
	s_or_b64 exec, exec, s[40:41]
	v_cmp_gt_u32_e32 vcc, 8, v0
	s_waitcnt vmcnt(8)
	ds_write_b64 v103, v[18:19]
	s_waitcnt lgkmcnt(0)
	; wave barrier
	s_waitcnt lgkmcnt(0)
	s_and_saveexec_b64 s[40:41], vcc
	s_cbranch_execz .LBB15_298
; %bb.289:
	s_and_b64 vcc, exec, s[0:1]
	s_cbranch_vccnz .LBB15_291
; %bb.290:
	v_cmp_eq_u32_e32 vcc, 1, v0
	s_waitcnt vmcnt(1)
	v_cndmask_b32_e32 v34, v3, v5, vcc
	v_cmp_eq_u32_e64 s[10:11], 2, v0
	v_cndmask_b32_e64 v34, v34, v7, s[10:11]
	v_cmp_eq_u32_e64 s[12:13], 3, v0
	v_cndmask_b32_e64 v34, v34, v9, s[12:13]
	;; [unrolled: 2-line block ×13, first 2 shown]
	v_cmp_eq_u32_e64 s[38:39], 15, v0
	s_waitcnt vmcnt(0)
	v_cndmask_b32_e64 v35, v34, v33, s[38:39]
	v_cndmask_b32_e32 v34, v2, v4, vcc
	v_cndmask_b32_e64 v34, v34, v6, s[10:11]
	v_cndmask_b32_e64 v34, v34, v8, s[12:13]
	;; [unrolled: 1-line block ×10, first 2 shown]
	ds_read_b64 v[36:37], v103
	v_cndmask_b32_e64 v34, v34, v26, s[30:31]
	v_cndmask_b32_e64 v34, v34, v28, s[34:35]
	;; [unrolled: 1-line block ×4, first 2 shown]
	s_waitcnt lgkmcnt(0)
	v_mul_f64 v[34:35], v[34:35], v[36:37]
	s_cbranch_execz .LBB15_292
	s_branch .LBB15_293
.LBB15_291:
                                        ; implicit-def: $vgpr34_vgpr35
.LBB15_292:
	ds_read_b64 v[34:35], v103
.LBB15_293:
	v_cmp_ne_u32_e32 vcc, 7, v0
	s_and_saveexec_b64 s[14:15], vcc
	s_cbranch_execz .LBB15_297
; %bb.294:
	v_mov_b32_e32 v36, 0x88
	v_lshl_add_u32 v39, v0, 3, v36
	s_mov_b64 s[16:17], 0
	v_pk_mov_b32 v[36:37], v[0:1], v[0:1] op_sel:[0,1]
.LBB15_295:                             ; =>This Inner Loop Header: Depth=1
	v_add_co_u32_e32 v36, vcc, 1, v36
	v_addc_co_u32_e32 v37, vcc, 0, v37, vcc
	v_cmp_eq_u32_e32 vcc, 1, v36
	s_waitcnt vmcnt(1)
	v_cndmask_b32_e32 v42, v3, v5, vcc
	v_cmp_eq_u32_e64 s[12:13], 2, v36
	v_cmp_lt_u32_e64 s[10:11], 6, v36
	v_cndmask_b32_e64 v42, v42, v7, s[12:13]
	v_cndmask_b32_e32 v43, v2, v4, vcc
	v_cmp_eq_u32_e32 vcc, 3, v36
	s_or_b64 s[16:17], s[10:11], s[16:17]
	v_cndmask_b32_e32 v42, v42, v9, vcc
	v_cndmask_b32_e64 v43, v43, v6, s[12:13]
	v_cmp_eq_u32_e64 s[10:11], 4, v36
	v_cndmask_b32_e64 v42, v42, v11, s[10:11]
	v_cndmask_b32_e32 v43, v43, v8, vcc
	v_cmp_eq_u32_e32 vcc, 5, v36
	v_cndmask_b32_e32 v42, v42, v13, vcc
	v_cndmask_b32_e64 v43, v43, v10, s[10:11]
	v_cmp_eq_u32_e64 s[10:11], 6, v36
	v_cndmask_b32_e64 v42, v42, v15, s[10:11]
	v_cndmask_b32_e32 v43, v43, v12, vcc
	v_cmp_eq_u32_e32 vcc, 7, v36
	;; [unrolled: 6-line block ×4, first 2 shown]
	v_cndmask_b32_e32 v42, v42, v25, vcc
	v_cndmask_b32_e64 v43, v43, v22, s[10:11]
	v_cmp_eq_u32_e64 s[10:11], 12, v36
	ds_read_b64 v[40:41], v39
	v_cndmask_b32_e64 v42, v42, v27, s[10:11]
	v_cndmask_b32_e32 v43, v43, v24, vcc
	v_cmp_eq_u32_e32 vcc, 13, v36
	v_cndmask_b32_e32 v42, v42, v29, vcc
	v_cndmask_b32_e64 v43, v43, v26, s[10:11]
	v_cmp_eq_u32_e64 s[10:11], 14, v36
	v_cndmask_b32_e64 v42, v42, v31, s[10:11]
	v_cndmask_b32_e32 v44, v43, v28, vcc
	v_cmp_eq_u32_e32 vcc, 15, v36
	s_waitcnt vmcnt(0)
	v_cndmask_b32_e32 v43, v42, v33, vcc
	v_cndmask_b32_e64 v42, v44, v30, s[10:11]
	v_cndmask_b32_e32 v42, v42, v32, vcc
	v_add_u32_e32 v39, 8, v39
	s_waitcnt lgkmcnt(0)
	v_fmac_f64_e32 v[34:35], v[42:43], v[40:41]
	s_andn2_b64 exec, exec, s[16:17]
	s_cbranch_execnz .LBB15_295
; %bb.296:
	s_or_b64 exec, exec, s[16:17]
.LBB15_297:
	s_or_b64 exec, exec, s[14:15]
	v_mov_b32_e32 v18, 0
	ds_read_b64 v[18:19], v18 offset:64
	s_waitcnt lgkmcnt(0)
	v_mul_f64 v[18:19], v[34:35], v[18:19]
.LBB15_298:
	s_or_b64 exec, exec, s[40:41]
	v_cmp_gt_u32_e32 vcc, 9, v0
	s_waitcnt vmcnt(7)
	ds_write_b64 v103, v[20:21]
	s_waitcnt lgkmcnt(0)
	; wave barrier
	s_waitcnt lgkmcnt(0)
	s_and_saveexec_b64 s[40:41], vcc
	s_cbranch_execz .LBB15_320
; %bb.299:
	s_and_b64 vcc, exec, s[0:1]
	s_cbranch_vccnz .LBB15_301
; %bb.300:
	v_cmp_eq_u32_e32 vcc, 1, v0
	s_waitcnt vmcnt(1)
	v_cndmask_b32_e32 v34, v3, v5, vcc
	v_cmp_eq_u32_e64 s[10:11], 2, v0
	v_cndmask_b32_e64 v34, v34, v7, s[10:11]
	v_cmp_eq_u32_e64 s[12:13], 3, v0
	v_cndmask_b32_e64 v34, v34, v9, s[12:13]
	;; [unrolled: 2-line block ×13, first 2 shown]
	v_cmp_eq_u32_e64 s[38:39], 15, v0
	s_waitcnt vmcnt(0)
	v_cndmask_b32_e64 v35, v34, v33, s[38:39]
	v_cndmask_b32_e32 v34, v2, v4, vcc
	v_cndmask_b32_e64 v34, v34, v6, s[10:11]
	v_cndmask_b32_e64 v34, v34, v8, s[12:13]
	;; [unrolled: 1-line block ×10, first 2 shown]
	ds_read_b64 v[36:37], v103
	v_cndmask_b32_e64 v34, v34, v26, s[30:31]
	v_cndmask_b32_e64 v34, v34, v28, s[34:35]
	;; [unrolled: 1-line block ×4, first 2 shown]
	s_waitcnt lgkmcnt(0)
	v_mul_f64 v[34:35], v[34:35], v[36:37]
	s_cbranch_execz .LBB15_302
	s_branch .LBB15_303
.LBB15_301:
                                        ; implicit-def: $vgpr34_vgpr35
.LBB15_302:
	ds_read_b64 v[34:35], v103
.LBB15_303:
	v_cmp_ne_u32_e32 vcc, 8, v0
	s_and_saveexec_b64 s[42:43], vcc
	s_cbranch_execz .LBB15_319
; %bb.304:
	v_cmp_eq_u32_e32 vcc, 1, v38
	s_waitcnt vmcnt(1)
	v_cndmask_b32_e32 v36, v3, v5, vcc
	v_cmp_eq_u32_e64 s[10:11], 2, v38
	v_cndmask_b32_e64 v36, v36, v7, s[10:11]
	v_cmp_eq_u32_e64 s[12:13], 3, v38
	v_cndmask_b32_e64 v36, v36, v9, s[12:13]
	;; [unrolled: 2-line block ×13, first 2 shown]
	v_cmp_eq_u32_e64 s[38:39], 15, v38
	s_waitcnt vmcnt(0)
	v_cndmask_b32_e64 v37, v36, v33, s[38:39]
	v_cndmask_b32_e32 v36, v2, v4, vcc
	v_cndmask_b32_e64 v36, v36, v6, s[10:11]
	v_cndmask_b32_e64 v36, v36, v8, s[12:13]
	;; [unrolled: 1-line block ×10, first 2 shown]
	ds_read_b64 v[38:39], v103 offset:8
	v_cndmask_b32_e64 v36, v36, v26, s[30:31]
	v_cndmask_b32_e64 v36, v36, v28, s[34:35]
	;; [unrolled: 1-line block ×4, first 2 shown]
	s_waitcnt lgkmcnt(0)
	v_fmac_f64_e32 v[34:35], v[36:37], v[38:39]
	s_and_saveexec_b64 s[38:39], s[8:9]
	s_cbranch_execz .LBB15_318
; %bb.305:
	v_add_u32_e32 v36, 2, v0
	v_cmp_eq_u32_e32 vcc, 1, v36
	v_cndmask_b32_e32 v37, v3, v5, vcc
	v_cmp_eq_u32_e64 s[8:9], 2, v36
	v_cmp_eq_u32_e64 s[10:11], 3, v36
	;; [unrolled: 1-line block ×14, first 2 shown]
	v_cndmask_b32_e32 v36, v2, v4, vcc
	v_cndmask_b32_e64 v37, v37, v7, s[8:9]
	v_cndmask_b32_e64 v36, v36, v6, s[8:9]
	;; [unrolled: 1-line block ×20, first 2 shown]
	ds_read_b64 v[38:39], v103 offset:16
	v_cndmask_b32_e64 v37, v37, v27, s[28:29]
	v_cndmask_b32_e64 v36, v36, v26, s[28:29]
	;; [unrolled: 1-line block ×8, first 2 shown]
	s_waitcnt lgkmcnt(0)
	v_fmac_f64_e32 v[34:35], v[36:37], v[38:39]
	v_cmp_ne_u32_e32 vcc, 6, v0
	s_and_saveexec_b64 s[44:45], vcc
	s_cbranch_execz .LBB15_317
; %bb.306:
	v_add_u32_e32 v36, 3, v0
	v_cmp_eq_u32_e32 vcc, 1, v36
	v_cndmask_b32_e32 v37, v3, v5, vcc
	v_cmp_eq_u32_e64 s[8:9], 2, v36
	v_cmp_eq_u32_e64 s[10:11], 3, v36
	v_cmp_eq_u32_e64 s[12:13], 4, v36
	v_cmp_eq_u32_e64 s[14:15], 5, v36
	v_cmp_eq_u32_e64 s[16:17], 6, v36
	v_cmp_eq_u32_e64 s[18:19], 7, v36
	v_cmp_eq_u32_e64 s[20:21], 8, v36
	v_cmp_eq_u32_e64 s[22:23], 9, v36
	v_cmp_eq_u32_e64 s[24:25], 10, v36
	v_cmp_eq_u32_e64 s[26:27], 11, v36
	v_cmp_eq_u32_e64 s[28:29], 12, v36
	v_cmp_eq_u32_e64 s[30:31], 13, v36
	v_cmp_eq_u32_e64 s[34:35], 14, v36
	v_cmp_eq_u32_e64 s[36:37], 15, v36
	v_cndmask_b32_e32 v36, v2, v4, vcc
	v_cndmask_b32_e64 v37, v37, v7, s[8:9]
	v_cndmask_b32_e64 v36, v36, v6, s[8:9]
	;; [unrolled: 1-line block ×20, first 2 shown]
	ds_read_b64 v[38:39], v103 offset:24
	v_cndmask_b32_e64 v37, v37, v27, s[28:29]
	v_cndmask_b32_e64 v36, v36, v26, s[28:29]
	;; [unrolled: 1-line block ×8, first 2 shown]
	s_waitcnt lgkmcnt(0)
	v_fmac_f64_e32 v[34:35], v[36:37], v[38:39]
	s_and_saveexec_b64 s[36:37], s[6:7]
	s_cbranch_execz .LBB15_316
; %bb.307:
	v_add_u32_e32 v36, 4, v0
	v_cmp_eq_u32_e32 vcc, 1, v36
	v_cndmask_b32_e32 v37, v3, v5, vcc
	v_cmp_eq_u32_e64 s[6:7], 2, v36
	v_cmp_eq_u32_e64 s[8:9], 3, v36
	;; [unrolled: 1-line block ×14, first 2 shown]
	v_cndmask_b32_e32 v36, v2, v4, vcc
	v_cndmask_b32_e64 v37, v37, v7, s[6:7]
	v_cndmask_b32_e64 v36, v36, v6, s[6:7]
	;; [unrolled: 1-line block ×20, first 2 shown]
	ds_read_b64 v[38:39], v103 offset:32
	v_cndmask_b32_e64 v37, v37, v27, s[26:27]
	v_cndmask_b32_e64 v36, v36, v26, s[26:27]
	;; [unrolled: 1-line block ×8, first 2 shown]
	s_waitcnt lgkmcnt(0)
	v_fmac_f64_e32 v[34:35], v[36:37], v[38:39]
	v_cmp_ne_u32_e32 vcc, 4, v0
	s_and_saveexec_b64 s[46:47], vcc
	s_cbranch_execz .LBB15_315
; %bb.308:
	v_add_u32_e32 v36, 5, v0
	v_cmp_eq_u32_e32 vcc, 1, v36
	v_cndmask_b32_e32 v37, v3, v5, vcc
	v_cmp_eq_u32_e64 s[6:7], 2, v36
	v_cmp_eq_u32_e64 s[8:9], 3, v36
	;; [unrolled: 1-line block ×14, first 2 shown]
	v_cndmask_b32_e32 v36, v2, v4, vcc
	v_cndmask_b32_e64 v37, v37, v7, s[6:7]
	v_cndmask_b32_e64 v36, v36, v6, s[6:7]
	;; [unrolled: 1-line block ×20, first 2 shown]
	ds_read_b64 v[38:39], v103 offset:40
	v_cndmask_b32_e64 v37, v37, v27, s[26:27]
	v_cndmask_b32_e64 v36, v36, v26, s[26:27]
	;; [unrolled: 1-line block ×8, first 2 shown]
	s_waitcnt lgkmcnt(0)
	v_fmac_f64_e32 v[34:35], v[36:37], v[38:39]
	s_and_saveexec_b64 s[34:35], s[4:5]
	s_cbranch_execz .LBB15_314
; %bb.309:
	v_add_u32_e32 v36, 6, v0
	v_cmp_eq_u32_e32 vcc, 1, v36
	v_cndmask_b32_e32 v37, v3, v5, vcc
	v_cmp_eq_u32_e64 s[4:5], 2, v36
	v_cmp_eq_u32_e64 s[6:7], 3, v36
	v_cmp_eq_u32_e64 s[8:9], 4, v36
	v_cmp_eq_u32_e64 s[10:11], 5, v36
	v_cmp_eq_u32_e64 s[12:13], 6, v36
	v_cmp_eq_u32_e64 s[14:15], 7, v36
	v_cmp_eq_u32_e64 s[16:17], 8, v36
	v_cmp_eq_u32_e64 s[18:19], 9, v36
	v_cmp_eq_u32_e64 s[20:21], 10, v36
	v_cmp_eq_u32_e64 s[22:23], 11, v36
	v_cmp_eq_u32_e64 s[24:25], 12, v36
	v_cmp_eq_u32_e64 s[26:27], 13, v36
	v_cmp_eq_u32_e64 s[28:29], 14, v36
	v_cmp_eq_u32_e64 s[30:31], 15, v36
	v_cndmask_b32_e32 v36, v2, v4, vcc
	v_cndmask_b32_e64 v37, v37, v7, s[4:5]
	v_cndmask_b32_e64 v36, v36, v6, s[4:5]
	;; [unrolled: 1-line block ×20, first 2 shown]
	ds_read_b64 v[38:39], v103 offset:48
	v_cndmask_b32_e64 v37, v37, v27, s[24:25]
	v_cndmask_b32_e64 v36, v36, v26, s[24:25]
	v_cndmask_b32_e64 v37, v37, v29, s[26:27]
	v_cndmask_b32_e64 v36, v36, v28, s[26:27]
	v_cndmask_b32_e64 v37, v37, v31, s[28:29]
	v_cndmask_b32_e64 v36, v36, v30, s[28:29]
	v_cndmask_b32_e64 v37, v37, v33, s[30:31]
	v_cndmask_b32_e64 v36, v36, v32, s[30:31]
	s_waitcnt lgkmcnt(0)
	v_fmac_f64_e32 v[34:35], v[36:37], v[38:39]
	v_cmp_ne_u32_e32 vcc, 2, v0
	s_and_saveexec_b64 s[48:49], vcc
	s_cbranch_execz .LBB15_313
; %bb.310:
	v_add_u32_e32 v36, 7, v0
	v_cmp_eq_u32_e32 vcc, 1, v36
	v_cndmask_b32_e32 v37, v3, v5, vcc
	v_cmp_eq_u32_e64 s[4:5], 2, v36
	v_cmp_eq_u32_e64 s[6:7], 3, v36
	;; [unrolled: 1-line block ×14, first 2 shown]
	v_cndmask_b32_e32 v36, v2, v4, vcc
	v_cndmask_b32_e64 v37, v37, v7, s[4:5]
	v_cndmask_b32_e64 v36, v36, v6, s[4:5]
	;; [unrolled: 1-line block ×20, first 2 shown]
	ds_read_b64 v[36:37], v103 offset:56
	v_cndmask_b32_e64 v21, v21, v27, s[24:25]
	v_cndmask_b32_e64 v20, v20, v26, s[24:25]
	;; [unrolled: 1-line block ×8, first 2 shown]
	s_waitcnt lgkmcnt(0)
	v_fmac_f64_e32 v[34:35], v[20:21], v[36:37]
	s_and_saveexec_b64 s[4:5], s[2:3]
	s_cbranch_execz .LBB15_312
; %bb.311:
	ds_read_b64 v[20:21], v103 offset:64
	s_waitcnt lgkmcnt(0)
	v_fmac_f64_e32 v[34:35], v[18:19], v[20:21]
.LBB15_312:
	s_or_b64 exec, exec, s[4:5]
.LBB15_313:
	s_or_b64 exec, exec, s[48:49]
.LBB15_314:
	s_or_b64 exec, exec, s[34:35]
.LBB15_315:
	s_or_b64 exec, exec, s[46:47]
.LBB15_316:
	s_or_b64 exec, exec, s[36:37]
.LBB15_317:
	s_or_b64 exec, exec, s[44:45]
.LBB15_318:
	s_or_b64 exec, exec, s[38:39]
.LBB15_319:
	s_or_b64 exec, exec, s[42:43]
	v_mov_b32_e32 v20, 0
	ds_read_b64 v[20:21], v20 offset:72
	s_waitcnt lgkmcnt(0)
	v_mul_f64 v[20:21], v[34:35], v[20:21]
.LBB15_320:
	s_or_b64 exec, exec, s[40:41]
	v_cmp_gt_u32_e32 vcc, 10, v0
	s_waitcnt vmcnt(6)
	ds_write_b64 v103, v[22:23]
	s_waitcnt lgkmcnt(0)
	; wave barrier
	s_waitcnt lgkmcnt(0)
	s_and_saveexec_b64 s[30:31], vcc
	s_cbranch_execz .LBB15_330
; %bb.321:
	s_and_b64 vcc, exec, s[0:1]
	s_cbranch_vccnz .LBB15_323
; %bb.322:
	v_cmp_eq_u32_e32 vcc, 1, v0
	s_waitcnt vmcnt(1)
	v_cndmask_b32_e32 v34, v3, v5, vcc
	v_cmp_eq_u32_e64 s[2:3], 2, v0
	v_cndmask_b32_e64 v34, v34, v7, s[2:3]
	v_cmp_eq_u32_e64 s[4:5], 3, v0
	v_cndmask_b32_e64 v34, v34, v9, s[4:5]
	;; [unrolled: 2-line block ×13, first 2 shown]
	v_cmp_eq_u32_e64 s[28:29], 15, v0
	s_waitcnt vmcnt(0)
	v_cndmask_b32_e64 v35, v34, v33, s[28:29]
	v_cndmask_b32_e32 v34, v2, v4, vcc
	v_cndmask_b32_e64 v34, v34, v6, s[2:3]
	v_cndmask_b32_e64 v34, v34, v8, s[4:5]
	;; [unrolled: 1-line block ×10, first 2 shown]
	ds_read_b64 v[36:37], v103
	v_cndmask_b32_e64 v34, v34, v26, s[22:23]
	v_cndmask_b32_e64 v34, v34, v28, s[24:25]
	;; [unrolled: 1-line block ×4, first 2 shown]
	s_waitcnt lgkmcnt(0)
	v_mul_f64 v[34:35], v[34:35], v[36:37]
	s_cbranch_execz .LBB15_324
	s_branch .LBB15_325
.LBB15_323:
                                        ; implicit-def: $vgpr34_vgpr35
.LBB15_324:
	ds_read_b64 v[34:35], v103
.LBB15_325:
	v_cmp_ne_u32_e32 vcc, 9, v0
	s_and_saveexec_b64 s[6:7], vcc
	s_cbranch_execz .LBB15_329
; %bb.326:
	v_mov_b32_e32 v36, 0x88
	v_lshl_add_u32 v38, v0, 3, v36
	s_mov_b64 s[8:9], 0
	v_pk_mov_b32 v[36:37], v[0:1], v[0:1] op_sel:[0,1]
.LBB15_327:                             ; =>This Inner Loop Header: Depth=1
	v_add_co_u32_e32 v36, vcc, 1, v36
	v_addc_co_u32_e32 v37, vcc, 0, v37, vcc
	v_cmp_eq_u32_e32 vcc, 1, v36
	s_waitcnt vmcnt(1)
	v_cndmask_b32_e32 v39, v3, v5, vcc
	v_cmp_eq_u32_e64 s[4:5], 2, v36
	v_cmp_lt_u32_e64 s[2:3], 8, v36
	v_cndmask_b32_e64 v39, v39, v7, s[4:5]
	v_cndmask_b32_e32 v42, v2, v4, vcc
	v_cmp_eq_u32_e32 vcc, 3, v36
	s_or_b64 s[8:9], s[2:3], s[8:9]
	v_cndmask_b32_e32 v39, v39, v9, vcc
	v_cndmask_b32_e64 v42, v42, v6, s[4:5]
	v_cmp_eq_u32_e64 s[2:3], 4, v36
	v_cndmask_b32_e64 v39, v39, v11, s[2:3]
	v_cndmask_b32_e32 v42, v42, v8, vcc
	v_cmp_eq_u32_e32 vcc, 5, v36
	v_cndmask_b32_e32 v39, v39, v13, vcc
	v_cndmask_b32_e64 v42, v42, v10, s[2:3]
	v_cmp_eq_u32_e64 s[2:3], 6, v36
	v_cndmask_b32_e64 v39, v39, v15, s[2:3]
	v_cndmask_b32_e32 v42, v42, v12, vcc
	v_cmp_eq_u32_e32 vcc, 7, v36
	;; [unrolled: 6-line block ×4, first 2 shown]
	v_cndmask_b32_e32 v39, v39, v25, vcc
	v_cndmask_b32_e64 v42, v42, v22, s[2:3]
	v_cmp_eq_u32_e64 s[2:3], 12, v36
	ds_read_b64 v[40:41], v38
	v_cndmask_b32_e64 v39, v39, v27, s[2:3]
	v_cndmask_b32_e32 v42, v42, v24, vcc
	v_cmp_eq_u32_e32 vcc, 13, v36
	v_cndmask_b32_e32 v39, v39, v29, vcc
	v_cndmask_b32_e64 v42, v42, v26, s[2:3]
	v_cmp_eq_u32_e64 s[2:3], 14, v36
	v_cndmask_b32_e64 v39, v39, v31, s[2:3]
	v_cndmask_b32_e32 v42, v42, v28, vcc
	v_cmp_eq_u32_e32 vcc, 15, v36
	s_waitcnt vmcnt(0)
	v_cndmask_b32_e32 v43, v39, v33, vcc
	v_cndmask_b32_e64 v39, v42, v30, s[2:3]
	v_cndmask_b32_e32 v42, v39, v32, vcc
	v_add_u32_e32 v38, 8, v38
	s_waitcnt lgkmcnt(0)
	v_fmac_f64_e32 v[34:35], v[42:43], v[40:41]
	s_andn2_b64 exec, exec, s[8:9]
	s_cbranch_execnz .LBB15_327
; %bb.328:
	s_or_b64 exec, exec, s[8:9]
.LBB15_329:
	s_or_b64 exec, exec, s[6:7]
	v_mov_b32_e32 v22, 0
	ds_read_b64 v[22:23], v22 offset:80
	s_waitcnt lgkmcnt(0)
	v_mul_f64 v[22:23], v[34:35], v[22:23]
.LBB15_330:
	s_or_b64 exec, exec, s[30:31]
	v_cmp_gt_u32_e32 vcc, 11, v0
	s_waitcnt vmcnt(5)
	ds_write_b64 v103, v[24:25]
	s_waitcnt lgkmcnt(0)
	; wave barrier
	s_waitcnt lgkmcnt(0)
	s_and_saveexec_b64 s[30:31], vcc
	s_cbranch_execz .LBB15_340
; %bb.331:
	s_and_b64 vcc, exec, s[0:1]
	s_cbranch_vccnz .LBB15_333
; %bb.332:
	v_cmp_eq_u32_e32 vcc, 1, v0
	s_waitcnt vmcnt(1)
	v_cndmask_b32_e32 v34, v3, v5, vcc
	v_cmp_eq_u32_e64 s[2:3], 2, v0
	v_cndmask_b32_e64 v34, v34, v7, s[2:3]
	v_cmp_eq_u32_e64 s[4:5], 3, v0
	v_cndmask_b32_e64 v34, v34, v9, s[4:5]
	v_cmp_eq_u32_e64 s[6:7], 4, v0
	v_cndmask_b32_e64 v34, v34, v11, s[6:7]
	v_cmp_eq_u32_e64 s[8:9], 5, v0
	v_cndmask_b32_e64 v34, v34, v13, s[8:9]
	v_cmp_eq_u32_e64 s[10:11], 6, v0
	v_cndmask_b32_e64 v34, v34, v15, s[10:11]
	v_cmp_eq_u32_e64 s[12:13], 7, v0
	v_cndmask_b32_e64 v34, v34, v17, s[12:13]
	v_cmp_eq_u32_e64 s[14:15], 8, v0
	v_cndmask_b32_e64 v34, v34, v19, s[14:15]
	v_cmp_eq_u32_e64 s[16:17], 9, v0
	v_cndmask_b32_e64 v34, v34, v21, s[16:17]
	v_cmp_eq_u32_e64 s[18:19], 10, v0
	v_cndmask_b32_e64 v34, v34, v23, s[18:19]
	v_cmp_eq_u32_e64 s[20:21], 11, v0
	v_cndmask_b32_e64 v34, v34, v25, s[20:21]
	v_cmp_eq_u32_e64 s[22:23], 12, v0
	v_cndmask_b32_e64 v34, v34, v27, s[22:23]
	v_cmp_eq_u32_e64 s[24:25], 13, v0
	v_cndmask_b32_e64 v34, v34, v29, s[24:25]
	v_cmp_eq_u32_e64 s[26:27], 14, v0
	v_cndmask_b32_e64 v34, v34, v31, s[26:27]
	v_cmp_eq_u32_e64 s[28:29], 15, v0
	s_waitcnt vmcnt(0)
	v_cndmask_b32_e64 v35, v34, v33, s[28:29]
	v_cndmask_b32_e32 v34, v2, v4, vcc
	v_cndmask_b32_e64 v34, v34, v6, s[2:3]
	v_cndmask_b32_e64 v34, v34, v8, s[4:5]
	;; [unrolled: 1-line block ×10, first 2 shown]
	ds_read_b64 v[36:37], v103
	v_cndmask_b32_e64 v34, v34, v26, s[22:23]
	v_cndmask_b32_e64 v34, v34, v28, s[24:25]
	;; [unrolled: 1-line block ×4, first 2 shown]
	s_waitcnt lgkmcnt(0)
	v_mul_f64 v[34:35], v[34:35], v[36:37]
	s_cbranch_execz .LBB15_334
	s_branch .LBB15_335
.LBB15_333:
                                        ; implicit-def: $vgpr34_vgpr35
.LBB15_334:
	ds_read_b64 v[34:35], v103
.LBB15_335:
	v_cmp_ne_u32_e32 vcc, 10, v0
	s_and_saveexec_b64 s[6:7], vcc
	s_cbranch_execz .LBB15_339
; %bb.336:
	v_mov_b32_e32 v36, 0x88
	v_lshl_add_u32 v38, v0, 3, v36
	s_mov_b64 s[8:9], 0
	v_pk_mov_b32 v[36:37], v[0:1], v[0:1] op_sel:[0,1]
.LBB15_337:                             ; =>This Inner Loop Header: Depth=1
	v_add_co_u32_e32 v36, vcc, 1, v36
	v_addc_co_u32_e32 v37, vcc, 0, v37, vcc
	v_cmp_eq_u32_e32 vcc, 1, v36
	s_waitcnt vmcnt(1)
	v_cndmask_b32_e32 v39, v3, v5, vcc
	v_cmp_eq_u32_e64 s[4:5], 2, v36
	v_cmp_lt_u32_e64 s[2:3], 9, v36
	v_cndmask_b32_e64 v39, v39, v7, s[4:5]
	v_cndmask_b32_e32 v42, v2, v4, vcc
	v_cmp_eq_u32_e32 vcc, 3, v36
	s_or_b64 s[8:9], s[2:3], s[8:9]
	v_cndmask_b32_e32 v39, v39, v9, vcc
	v_cndmask_b32_e64 v42, v42, v6, s[4:5]
	v_cmp_eq_u32_e64 s[2:3], 4, v36
	v_cndmask_b32_e64 v39, v39, v11, s[2:3]
	v_cndmask_b32_e32 v42, v42, v8, vcc
	v_cmp_eq_u32_e32 vcc, 5, v36
	v_cndmask_b32_e32 v39, v39, v13, vcc
	v_cndmask_b32_e64 v42, v42, v10, s[2:3]
	v_cmp_eq_u32_e64 s[2:3], 6, v36
	v_cndmask_b32_e64 v39, v39, v15, s[2:3]
	v_cndmask_b32_e32 v42, v42, v12, vcc
	v_cmp_eq_u32_e32 vcc, 7, v36
	;; [unrolled: 6-line block ×4, first 2 shown]
	v_cndmask_b32_e32 v39, v39, v25, vcc
	v_cndmask_b32_e64 v42, v42, v22, s[2:3]
	v_cmp_eq_u32_e64 s[2:3], 12, v36
	ds_read_b64 v[40:41], v38
	v_cndmask_b32_e64 v39, v39, v27, s[2:3]
	v_cndmask_b32_e32 v42, v42, v24, vcc
	v_cmp_eq_u32_e32 vcc, 13, v36
	v_cndmask_b32_e32 v39, v39, v29, vcc
	v_cndmask_b32_e64 v42, v42, v26, s[2:3]
	v_cmp_eq_u32_e64 s[2:3], 14, v36
	v_cndmask_b32_e64 v39, v39, v31, s[2:3]
	v_cndmask_b32_e32 v42, v42, v28, vcc
	v_cmp_eq_u32_e32 vcc, 15, v36
	s_waitcnt vmcnt(0)
	v_cndmask_b32_e32 v43, v39, v33, vcc
	v_cndmask_b32_e64 v39, v42, v30, s[2:3]
	v_cndmask_b32_e32 v42, v39, v32, vcc
	v_add_u32_e32 v38, 8, v38
	s_waitcnt lgkmcnt(0)
	v_fmac_f64_e32 v[34:35], v[42:43], v[40:41]
	s_andn2_b64 exec, exec, s[8:9]
	s_cbranch_execnz .LBB15_337
; %bb.338:
	s_or_b64 exec, exec, s[8:9]
.LBB15_339:
	s_or_b64 exec, exec, s[6:7]
	v_mov_b32_e32 v24, 0
	ds_read_b64 v[24:25], v24 offset:88
	s_waitcnt lgkmcnt(0)
	v_mul_f64 v[24:25], v[34:35], v[24:25]
.LBB15_340:
	s_or_b64 exec, exec, s[30:31]
	v_cmp_gt_u32_e32 vcc, 12, v0
	s_waitcnt vmcnt(4)
	ds_write_b64 v103, v[26:27]
	s_waitcnt lgkmcnt(0)
	; wave barrier
	s_waitcnt lgkmcnt(0)
	s_and_saveexec_b64 s[30:31], vcc
	s_cbranch_execz .LBB15_350
; %bb.341:
	s_and_b64 vcc, exec, s[0:1]
	s_cbranch_vccnz .LBB15_343
; %bb.342:
	v_cmp_eq_u32_e32 vcc, 1, v0
	s_waitcnt vmcnt(1)
	v_cndmask_b32_e32 v34, v3, v5, vcc
	v_cmp_eq_u32_e64 s[2:3], 2, v0
	v_cndmask_b32_e64 v34, v34, v7, s[2:3]
	v_cmp_eq_u32_e64 s[4:5], 3, v0
	v_cndmask_b32_e64 v34, v34, v9, s[4:5]
	;; [unrolled: 2-line block ×13, first 2 shown]
	v_cmp_eq_u32_e64 s[28:29], 15, v0
	s_waitcnt vmcnt(0)
	v_cndmask_b32_e64 v35, v34, v33, s[28:29]
	v_cndmask_b32_e32 v34, v2, v4, vcc
	v_cndmask_b32_e64 v34, v34, v6, s[2:3]
	v_cndmask_b32_e64 v34, v34, v8, s[4:5]
	v_cndmask_b32_e64 v34, v34, v10, s[6:7]
	v_cndmask_b32_e64 v34, v34, v12, s[8:9]
	v_cndmask_b32_e64 v34, v34, v14, s[10:11]
	v_cndmask_b32_e64 v34, v34, v16, s[12:13]
	v_cndmask_b32_e64 v34, v34, v18, s[14:15]
	v_cndmask_b32_e64 v34, v34, v20, s[16:17]
	v_cndmask_b32_e64 v34, v34, v22, s[18:19]
	v_cndmask_b32_e64 v34, v34, v24, s[20:21]
	ds_read_b64 v[36:37], v103
	v_cndmask_b32_e64 v34, v34, v26, s[22:23]
	v_cndmask_b32_e64 v34, v34, v28, s[24:25]
	;; [unrolled: 1-line block ×4, first 2 shown]
	s_waitcnt lgkmcnt(0)
	v_mul_f64 v[34:35], v[34:35], v[36:37]
	s_cbranch_execz .LBB15_344
	s_branch .LBB15_345
.LBB15_343:
                                        ; implicit-def: $vgpr34_vgpr35
.LBB15_344:
	ds_read_b64 v[34:35], v103
.LBB15_345:
	v_cmp_ne_u32_e32 vcc, 11, v0
	s_and_saveexec_b64 s[6:7], vcc
	s_cbranch_execz .LBB15_349
; %bb.346:
	v_mov_b32_e32 v36, 0x88
	v_lshl_add_u32 v38, v0, 3, v36
	s_mov_b64 s[8:9], 0
	v_pk_mov_b32 v[36:37], v[0:1], v[0:1] op_sel:[0,1]
.LBB15_347:                             ; =>This Inner Loop Header: Depth=1
	v_add_co_u32_e32 v36, vcc, 1, v36
	v_addc_co_u32_e32 v37, vcc, 0, v37, vcc
	v_cmp_eq_u32_e32 vcc, 1, v36
	s_waitcnt vmcnt(1)
	v_cndmask_b32_e32 v39, v3, v5, vcc
	v_cmp_eq_u32_e64 s[4:5], 2, v36
	v_cmp_lt_u32_e64 s[2:3], 10, v36
	v_cndmask_b32_e64 v39, v39, v7, s[4:5]
	v_cndmask_b32_e32 v42, v2, v4, vcc
	v_cmp_eq_u32_e32 vcc, 3, v36
	s_or_b64 s[8:9], s[2:3], s[8:9]
	v_cndmask_b32_e32 v39, v39, v9, vcc
	v_cndmask_b32_e64 v42, v42, v6, s[4:5]
	v_cmp_eq_u32_e64 s[2:3], 4, v36
	v_cndmask_b32_e64 v39, v39, v11, s[2:3]
	v_cndmask_b32_e32 v42, v42, v8, vcc
	v_cmp_eq_u32_e32 vcc, 5, v36
	v_cndmask_b32_e32 v39, v39, v13, vcc
	v_cndmask_b32_e64 v42, v42, v10, s[2:3]
	v_cmp_eq_u32_e64 s[2:3], 6, v36
	v_cndmask_b32_e64 v39, v39, v15, s[2:3]
	v_cndmask_b32_e32 v42, v42, v12, vcc
	v_cmp_eq_u32_e32 vcc, 7, v36
	;; [unrolled: 6-line block ×4, first 2 shown]
	v_cndmask_b32_e32 v39, v39, v25, vcc
	v_cndmask_b32_e64 v42, v42, v22, s[2:3]
	v_cmp_eq_u32_e64 s[2:3], 12, v36
	ds_read_b64 v[40:41], v38
	v_cndmask_b32_e64 v39, v39, v27, s[2:3]
	v_cndmask_b32_e32 v42, v42, v24, vcc
	v_cmp_eq_u32_e32 vcc, 13, v36
	v_cndmask_b32_e32 v39, v39, v29, vcc
	v_cndmask_b32_e64 v42, v42, v26, s[2:3]
	v_cmp_eq_u32_e64 s[2:3], 14, v36
	v_cndmask_b32_e64 v39, v39, v31, s[2:3]
	v_cndmask_b32_e32 v42, v42, v28, vcc
	v_cmp_eq_u32_e32 vcc, 15, v36
	s_waitcnt vmcnt(0)
	v_cndmask_b32_e32 v43, v39, v33, vcc
	v_cndmask_b32_e64 v39, v42, v30, s[2:3]
	v_cndmask_b32_e32 v42, v39, v32, vcc
	v_add_u32_e32 v38, 8, v38
	s_waitcnt lgkmcnt(0)
	v_fmac_f64_e32 v[34:35], v[42:43], v[40:41]
	s_andn2_b64 exec, exec, s[8:9]
	s_cbranch_execnz .LBB15_347
; %bb.348:
	s_or_b64 exec, exec, s[8:9]
.LBB15_349:
	s_or_b64 exec, exec, s[6:7]
	v_mov_b32_e32 v26, 0
	ds_read_b64 v[26:27], v26 offset:96
	s_waitcnt lgkmcnt(0)
	v_mul_f64 v[26:27], v[34:35], v[26:27]
.LBB15_350:
	s_or_b64 exec, exec, s[30:31]
	v_cmp_gt_u32_e32 vcc, 13, v0
	s_waitcnt vmcnt(3)
	ds_write_b64 v103, v[28:29]
	s_waitcnt lgkmcnt(0)
	; wave barrier
	s_waitcnt lgkmcnt(0)
	s_and_saveexec_b64 s[30:31], vcc
	s_cbranch_execz .LBB15_360
; %bb.351:
	s_and_b64 vcc, exec, s[0:1]
	s_cbranch_vccnz .LBB15_353
; %bb.352:
	v_cmp_eq_u32_e32 vcc, 1, v0
	s_waitcnt vmcnt(1)
	v_cndmask_b32_e32 v34, v3, v5, vcc
	v_cmp_eq_u32_e64 s[2:3], 2, v0
	v_cndmask_b32_e64 v34, v34, v7, s[2:3]
	v_cmp_eq_u32_e64 s[4:5], 3, v0
	v_cndmask_b32_e64 v34, v34, v9, s[4:5]
	;; [unrolled: 2-line block ×13, first 2 shown]
	v_cmp_eq_u32_e64 s[28:29], 15, v0
	s_waitcnt vmcnt(0)
	v_cndmask_b32_e64 v35, v34, v33, s[28:29]
	v_cndmask_b32_e32 v34, v2, v4, vcc
	v_cndmask_b32_e64 v34, v34, v6, s[2:3]
	v_cndmask_b32_e64 v34, v34, v8, s[4:5]
	;; [unrolled: 1-line block ×10, first 2 shown]
	ds_read_b64 v[36:37], v103
	v_cndmask_b32_e64 v34, v34, v26, s[22:23]
	v_cndmask_b32_e64 v34, v34, v28, s[24:25]
	;; [unrolled: 1-line block ×4, first 2 shown]
	s_waitcnt lgkmcnt(0)
	v_mul_f64 v[34:35], v[34:35], v[36:37]
	s_cbranch_execz .LBB15_354
	s_branch .LBB15_355
.LBB15_353:
                                        ; implicit-def: $vgpr34_vgpr35
.LBB15_354:
	ds_read_b64 v[34:35], v103
.LBB15_355:
	v_cmp_ne_u32_e32 vcc, 12, v0
	s_and_saveexec_b64 s[6:7], vcc
	s_cbranch_execz .LBB15_359
; %bb.356:
	v_mov_b32_e32 v36, 0x88
	v_lshl_add_u32 v38, v0, 3, v36
	s_mov_b64 s[8:9], 0
	v_pk_mov_b32 v[36:37], v[0:1], v[0:1] op_sel:[0,1]
.LBB15_357:                             ; =>This Inner Loop Header: Depth=1
	v_add_co_u32_e32 v36, vcc, 1, v36
	v_addc_co_u32_e32 v37, vcc, 0, v37, vcc
	v_cmp_eq_u32_e32 vcc, 1, v36
	s_waitcnt vmcnt(1)
	v_cndmask_b32_e32 v39, v3, v5, vcc
	v_cmp_eq_u32_e64 s[4:5], 2, v36
	v_cmp_lt_u32_e64 s[2:3], 11, v36
	v_cndmask_b32_e64 v39, v39, v7, s[4:5]
	v_cndmask_b32_e32 v42, v2, v4, vcc
	v_cmp_eq_u32_e32 vcc, 3, v36
	s_or_b64 s[8:9], s[2:3], s[8:9]
	v_cndmask_b32_e32 v39, v39, v9, vcc
	v_cndmask_b32_e64 v42, v42, v6, s[4:5]
	v_cmp_eq_u32_e64 s[2:3], 4, v36
	v_cndmask_b32_e64 v39, v39, v11, s[2:3]
	v_cndmask_b32_e32 v42, v42, v8, vcc
	v_cmp_eq_u32_e32 vcc, 5, v36
	v_cndmask_b32_e32 v39, v39, v13, vcc
	v_cndmask_b32_e64 v42, v42, v10, s[2:3]
	v_cmp_eq_u32_e64 s[2:3], 6, v36
	v_cndmask_b32_e64 v39, v39, v15, s[2:3]
	v_cndmask_b32_e32 v42, v42, v12, vcc
	v_cmp_eq_u32_e32 vcc, 7, v36
	;; [unrolled: 6-line block ×4, first 2 shown]
	v_cndmask_b32_e32 v39, v39, v25, vcc
	v_cndmask_b32_e64 v42, v42, v22, s[2:3]
	v_cmp_eq_u32_e64 s[2:3], 12, v36
	ds_read_b64 v[40:41], v38
	v_cndmask_b32_e64 v39, v39, v27, s[2:3]
	v_cndmask_b32_e32 v42, v42, v24, vcc
	v_cmp_eq_u32_e32 vcc, 13, v36
	v_cndmask_b32_e32 v39, v39, v29, vcc
	v_cndmask_b32_e64 v42, v42, v26, s[2:3]
	v_cmp_eq_u32_e64 s[2:3], 14, v36
	v_cndmask_b32_e64 v39, v39, v31, s[2:3]
	v_cndmask_b32_e32 v42, v42, v28, vcc
	v_cmp_eq_u32_e32 vcc, 15, v36
	s_waitcnt vmcnt(0)
	v_cndmask_b32_e32 v43, v39, v33, vcc
	v_cndmask_b32_e64 v39, v42, v30, s[2:3]
	v_cndmask_b32_e32 v42, v39, v32, vcc
	v_add_u32_e32 v38, 8, v38
	s_waitcnt lgkmcnt(0)
	v_fmac_f64_e32 v[34:35], v[42:43], v[40:41]
	s_andn2_b64 exec, exec, s[8:9]
	s_cbranch_execnz .LBB15_357
; %bb.358:
	s_or_b64 exec, exec, s[8:9]
.LBB15_359:
	s_or_b64 exec, exec, s[6:7]
	v_mov_b32_e32 v28, 0
	ds_read_b64 v[28:29], v28 offset:104
	s_waitcnt lgkmcnt(0)
	v_mul_f64 v[28:29], v[34:35], v[28:29]
.LBB15_360:
	s_or_b64 exec, exec, s[30:31]
	v_cmp_gt_u32_e64 s[2:3], 14, v0
	s_waitcnt vmcnt(2)
	ds_write_b64 v103, v[30:31]
	s_waitcnt lgkmcnt(0)
	; wave barrier
	s_waitcnt lgkmcnt(0)
	s_and_saveexec_b64 s[34:35], s[2:3]
	s_cbranch_execz .LBB15_370
; %bb.361:
	s_and_b64 vcc, exec, s[0:1]
	s_cbranch_vccnz .LBB15_363
; %bb.362:
	v_cmp_eq_u32_e32 vcc, 1, v0
	s_waitcnt vmcnt(1)
	v_cndmask_b32_e32 v34, v3, v5, vcc
	v_cmp_eq_u32_e64 s[4:5], 2, v0
	v_cndmask_b32_e64 v34, v34, v7, s[4:5]
	v_cmp_eq_u32_e64 s[6:7], 3, v0
	v_cndmask_b32_e64 v34, v34, v9, s[6:7]
	;; [unrolled: 2-line block ×13, first 2 shown]
	v_cmp_eq_u32_e64 s[30:31], 15, v0
	s_waitcnt vmcnt(0)
	v_cndmask_b32_e64 v35, v34, v33, s[30:31]
	v_cndmask_b32_e32 v34, v2, v4, vcc
	v_cndmask_b32_e64 v34, v34, v6, s[4:5]
	v_cndmask_b32_e64 v34, v34, v8, s[6:7]
	;; [unrolled: 1-line block ×10, first 2 shown]
	ds_read_b64 v[36:37], v103
	v_cndmask_b32_e64 v34, v34, v26, s[24:25]
	v_cndmask_b32_e64 v34, v34, v28, s[26:27]
	;; [unrolled: 1-line block ×4, first 2 shown]
	s_waitcnt lgkmcnt(0)
	v_mul_f64 v[34:35], v[34:35], v[36:37]
	s_cbranch_execz .LBB15_364
	s_branch .LBB15_365
.LBB15_363:
                                        ; implicit-def: $vgpr34_vgpr35
.LBB15_364:
	ds_read_b64 v[34:35], v103
.LBB15_365:
	v_cmp_ne_u32_e32 vcc, 13, v0
	s_and_saveexec_b64 s[8:9], vcc
	s_cbranch_execz .LBB15_369
; %bb.366:
	v_mov_b32_e32 v36, 0x88
	v_lshl_add_u32 v38, v0, 3, v36
	s_mov_b64 s[10:11], 0
	v_pk_mov_b32 v[36:37], v[0:1], v[0:1] op_sel:[0,1]
.LBB15_367:                             ; =>This Inner Loop Header: Depth=1
	v_add_co_u32_e32 v36, vcc, 1, v36
	v_addc_co_u32_e32 v37, vcc, 0, v37, vcc
	v_cmp_eq_u32_e32 vcc, 1, v36
	s_waitcnt vmcnt(1)
	v_cndmask_b32_e32 v39, v3, v5, vcc
	v_cmp_eq_u32_e64 s[6:7], 2, v36
	v_cmp_lt_u32_e64 s[4:5], 12, v36
	v_cndmask_b32_e64 v39, v39, v7, s[6:7]
	v_cndmask_b32_e32 v42, v2, v4, vcc
	v_cmp_eq_u32_e32 vcc, 3, v36
	s_or_b64 s[10:11], s[4:5], s[10:11]
	v_cndmask_b32_e32 v39, v39, v9, vcc
	v_cndmask_b32_e64 v42, v42, v6, s[6:7]
	v_cmp_eq_u32_e64 s[4:5], 4, v36
	v_cndmask_b32_e64 v39, v39, v11, s[4:5]
	v_cndmask_b32_e32 v42, v42, v8, vcc
	v_cmp_eq_u32_e32 vcc, 5, v36
	v_cndmask_b32_e32 v39, v39, v13, vcc
	v_cndmask_b32_e64 v42, v42, v10, s[4:5]
	v_cmp_eq_u32_e64 s[4:5], 6, v36
	v_cndmask_b32_e64 v39, v39, v15, s[4:5]
	v_cndmask_b32_e32 v42, v42, v12, vcc
	v_cmp_eq_u32_e32 vcc, 7, v36
	;; [unrolled: 6-line block ×4, first 2 shown]
	v_cndmask_b32_e32 v39, v39, v25, vcc
	v_cndmask_b32_e64 v42, v42, v22, s[4:5]
	v_cmp_eq_u32_e64 s[4:5], 12, v36
	ds_read_b64 v[40:41], v38
	v_cndmask_b32_e64 v39, v39, v27, s[4:5]
	v_cndmask_b32_e32 v42, v42, v24, vcc
	v_cmp_eq_u32_e32 vcc, 13, v36
	v_cndmask_b32_e32 v39, v39, v29, vcc
	v_cndmask_b32_e64 v42, v42, v26, s[4:5]
	v_cmp_eq_u32_e64 s[4:5], 14, v36
	v_cndmask_b32_e64 v39, v39, v31, s[4:5]
	v_cndmask_b32_e32 v42, v42, v28, vcc
	v_cmp_eq_u32_e32 vcc, 15, v36
	s_waitcnt vmcnt(0)
	v_cndmask_b32_e32 v43, v39, v33, vcc
	v_cndmask_b32_e64 v39, v42, v30, s[4:5]
	v_cndmask_b32_e32 v42, v39, v32, vcc
	v_add_u32_e32 v38, 8, v38
	s_waitcnt lgkmcnt(0)
	v_fmac_f64_e32 v[34:35], v[42:43], v[40:41]
	s_andn2_b64 exec, exec, s[10:11]
	s_cbranch_execnz .LBB15_367
; %bb.368:
	s_or_b64 exec, exec, s[10:11]
.LBB15_369:
	s_or_b64 exec, exec, s[8:9]
	v_mov_b32_e32 v30, 0
	ds_read_b64 v[30:31], v30 offset:112
	s_waitcnt lgkmcnt(0)
	v_mul_f64 v[30:31], v[34:35], v[30:31]
.LBB15_370:
	s_or_b64 exec, exec, s[34:35]
	v_cmp_ne_u32_e32 vcc, 15, v0
	s_waitcnt vmcnt(0)
	ds_write_b64 v103, v[32:33]
	s_waitcnt lgkmcnt(0)
	; wave barrier
	s_waitcnt lgkmcnt(0)
	s_and_saveexec_b64 s[30:31], vcc
	s_cbranch_execz .LBB15_380
; %bb.371:
	s_and_b64 vcc, exec, s[0:1]
	s_cbranch_vccnz .LBB15_373
; %bb.372:
	v_cmp_eq_u32_e32 vcc, 1, v0
	v_cndmask_b32_e32 v34, v3, v5, vcc
	v_cmp_eq_u32_e64 s[0:1], 2, v0
	v_cndmask_b32_e64 v34, v34, v7, s[0:1]
	v_cmp_eq_u32_e64 s[4:5], 3, v0
	v_cndmask_b32_e64 v34, v34, v9, s[4:5]
	;; [unrolled: 2-line block ×14, first 2 shown]
	v_cndmask_b32_e32 v34, v2, v4, vcc
	v_cndmask_b32_e64 v34, v34, v6, s[0:1]
	v_cndmask_b32_e64 v34, v34, v8, s[4:5]
	;; [unrolled: 1-line block ×10, first 2 shown]
	ds_read_b64 v[36:37], v103
	v_cndmask_b32_e64 v34, v34, v26, s[22:23]
	v_cndmask_b32_e64 v34, v34, v28, s[24:25]
	;; [unrolled: 1-line block ×4, first 2 shown]
	s_waitcnt lgkmcnt(0)
	v_mul_f64 v[34:35], v[34:35], v[36:37]
	s_cbranch_execz .LBB15_374
	s_branch .LBB15_375
.LBB15_373:
                                        ; implicit-def: $vgpr34_vgpr35
.LBB15_374:
	ds_read_b64 v[34:35], v103
.LBB15_375:
	s_and_saveexec_b64 s[4:5], s[2:3]
	s_cbranch_execz .LBB15_379
; %bb.376:
	v_mov_b32_e32 v36, 0x88
	v_lshl_add_u32 v36, v0, 3, v36
	s_mov_b64 s[6:7], 0
.LBB15_377:                             ; =>This Inner Loop Header: Depth=1
	v_add_co_u32_e32 v0, vcc, 1, v0
	v_addc_co_u32_e32 v1, vcc, 0, v1, vcc
	v_cmp_eq_u32_e32 vcc, 1, v0
	v_cndmask_b32_e32 v37, v3, v5, vcc
	v_cmp_eq_u32_e64 s[2:3], 2, v0
	v_cmp_lt_u32_e64 s[0:1], 13, v0
	v_cndmask_b32_e64 v37, v37, v7, s[2:3]
	v_cndmask_b32_e32 v40, v2, v4, vcc
	v_cmp_eq_u32_e32 vcc, 3, v0
	s_or_b64 s[6:7], s[0:1], s[6:7]
	v_cndmask_b32_e32 v37, v37, v9, vcc
	v_cndmask_b32_e64 v40, v40, v6, s[2:3]
	v_cmp_eq_u32_e64 s[0:1], 4, v0
	v_cndmask_b32_e64 v37, v37, v11, s[0:1]
	v_cndmask_b32_e32 v40, v40, v8, vcc
	v_cmp_eq_u32_e32 vcc, 5, v0
	v_cndmask_b32_e32 v37, v37, v13, vcc
	v_cndmask_b32_e64 v40, v40, v10, s[0:1]
	v_cmp_eq_u32_e64 s[0:1], 6, v0
	v_cndmask_b32_e64 v37, v37, v15, s[0:1]
	v_cndmask_b32_e32 v40, v40, v12, vcc
	v_cmp_eq_u32_e32 vcc, 7, v0
	;; [unrolled: 6-line block ×4, first 2 shown]
	v_cndmask_b32_e32 v37, v37, v25, vcc
	v_cndmask_b32_e64 v40, v40, v22, s[0:1]
	v_cmp_eq_u32_e64 s[0:1], 12, v0
	ds_read_b64 v[38:39], v36
	v_cndmask_b32_e64 v37, v37, v27, s[0:1]
	v_cndmask_b32_e32 v40, v40, v24, vcc
	v_cmp_eq_u32_e32 vcc, 13, v0
	v_cndmask_b32_e32 v37, v37, v29, vcc
	v_cndmask_b32_e64 v40, v40, v26, s[0:1]
	v_cmp_eq_u32_e64 s[0:1], 14, v0
	v_cndmask_b32_e64 v37, v37, v31, s[0:1]
	v_cndmask_b32_e32 v40, v40, v28, vcc
	v_cmp_eq_u32_e32 vcc, 15, v0
	v_cndmask_b32_e32 v41, v37, v33, vcc
	v_cndmask_b32_e64 v37, v40, v30, s[0:1]
	v_cndmask_b32_e32 v40, v37, v32, vcc
	v_add_u32_e32 v36, 8, v36
	s_waitcnt lgkmcnt(0)
	v_fmac_f64_e32 v[34:35], v[40:41], v[38:39]
	s_andn2_b64 exec, exec, s[6:7]
	s_cbranch_execnz .LBB15_377
; %bb.378:
	s_or_b64 exec, exec, s[6:7]
.LBB15_379:
	s_or_b64 exec, exec, s[4:5]
	v_mov_b32_e32 v0, 0
	ds_read_b64 v[0:1], v0 offset:120
	s_waitcnt lgkmcnt(0)
	v_mul_f64 v[32:33], v[34:35], v[0:1]
.LBB15_380:
	s_or_b64 exec, exec, s[30:31]
	v_pk_mov_b32 v[64:65], v[32:33], v[32:33] op_sel:[0,1]
	v_pk_mov_b32 v[62:63], v[30:31], v[30:31] op_sel:[0,1]
	;; [unrolled: 1-line block ×16, first 2 shown]
.LBB15_381:
	global_store_dwordx2 v[66:67], v[34:35], off
	global_store_dwordx2 v[68:69], v[36:37], off
	;; [unrolled: 1-line block ×16, first 2 shown]
.LBB15_382:
	s_endpgm
	.section	.rodata,"a",@progbits
	.p2align	6, 0x0
	.amdhsa_kernel _ZN9rocsolver6v33100L18trti2_kernel_smallILi16EdPdEEv13rocblas_fill_17rocblas_diagonal_T1_iil
		.amdhsa_group_segment_fixed_size 256
		.amdhsa_private_segment_fixed_size 0
		.amdhsa_kernarg_size 32
		.amdhsa_user_sgpr_count 6
		.amdhsa_user_sgpr_private_segment_buffer 1
		.amdhsa_user_sgpr_dispatch_ptr 0
		.amdhsa_user_sgpr_queue_ptr 0
		.amdhsa_user_sgpr_kernarg_segment_ptr 1
		.amdhsa_user_sgpr_dispatch_id 0
		.amdhsa_user_sgpr_flat_scratch_init 0
		.amdhsa_user_sgpr_kernarg_preload_length 0
		.amdhsa_user_sgpr_kernarg_preload_offset 0
		.amdhsa_user_sgpr_private_segment_size 0
		.amdhsa_uses_dynamic_stack 0
		.amdhsa_system_sgpr_private_segment_wavefront_offset 0
		.amdhsa_system_sgpr_workgroup_id_x 1
		.amdhsa_system_sgpr_workgroup_id_y 0
		.amdhsa_system_sgpr_workgroup_id_z 0
		.amdhsa_system_sgpr_workgroup_info 0
		.amdhsa_system_vgpr_workitem_id 0
		.amdhsa_next_free_vgpr 126
		.amdhsa_next_free_sgpr 50
		.amdhsa_accum_offset 128
		.amdhsa_reserve_vcc 1
		.amdhsa_reserve_flat_scratch 0
		.amdhsa_float_round_mode_32 0
		.amdhsa_float_round_mode_16_64 0
		.amdhsa_float_denorm_mode_32 3
		.amdhsa_float_denorm_mode_16_64 3
		.amdhsa_dx10_clamp 1
		.amdhsa_ieee_mode 1
		.amdhsa_fp16_overflow 0
		.amdhsa_tg_split 0
		.amdhsa_exception_fp_ieee_invalid_op 0
		.amdhsa_exception_fp_denorm_src 0
		.amdhsa_exception_fp_ieee_div_zero 0
		.amdhsa_exception_fp_ieee_overflow 0
		.amdhsa_exception_fp_ieee_underflow 0
		.amdhsa_exception_fp_ieee_inexact 0
		.amdhsa_exception_int_div_zero 0
	.end_amdhsa_kernel
	.section	.text._ZN9rocsolver6v33100L18trti2_kernel_smallILi16EdPdEEv13rocblas_fill_17rocblas_diagonal_T1_iil,"axG",@progbits,_ZN9rocsolver6v33100L18trti2_kernel_smallILi16EdPdEEv13rocblas_fill_17rocblas_diagonal_T1_iil,comdat
.Lfunc_end15:
	.size	_ZN9rocsolver6v33100L18trti2_kernel_smallILi16EdPdEEv13rocblas_fill_17rocblas_diagonal_T1_iil, .Lfunc_end15-_ZN9rocsolver6v33100L18trti2_kernel_smallILi16EdPdEEv13rocblas_fill_17rocblas_diagonal_T1_iil
                                        ; -- End function
	.section	.AMDGPU.csdata,"",@progbits
; Kernel info:
; codeLenInByte = 33832
; NumSgprs: 54
; NumVgprs: 126
; NumAgprs: 0
; TotalNumVgprs: 126
; ScratchSize: 0
; MemoryBound: 0
; FloatMode: 240
; IeeeMode: 1
; LDSByteSize: 256 bytes/workgroup (compile time only)
; SGPRBlocks: 6
; VGPRBlocks: 15
; NumSGPRsForWavesPerEU: 54
; NumVGPRsForWavesPerEU: 126
; AccumOffset: 128
; Occupancy: 4
; WaveLimiterHint : 0
; COMPUTE_PGM_RSRC2:SCRATCH_EN: 0
; COMPUTE_PGM_RSRC2:USER_SGPR: 6
; COMPUTE_PGM_RSRC2:TRAP_HANDLER: 0
; COMPUTE_PGM_RSRC2:TGID_X_EN: 1
; COMPUTE_PGM_RSRC2:TGID_Y_EN: 0
; COMPUTE_PGM_RSRC2:TGID_Z_EN: 0
; COMPUTE_PGM_RSRC2:TIDIG_COMP_CNT: 0
; COMPUTE_PGM_RSRC3_GFX90A:ACCUM_OFFSET: 31
; COMPUTE_PGM_RSRC3_GFX90A:TG_SPLIT: 0
	.section	.text._ZN9rocsolver6v33100L18trti2_kernel_smallILi17EdPdEEv13rocblas_fill_17rocblas_diagonal_T1_iil,"axG",@progbits,_ZN9rocsolver6v33100L18trti2_kernel_smallILi17EdPdEEv13rocblas_fill_17rocblas_diagonal_T1_iil,comdat
	.globl	_ZN9rocsolver6v33100L18trti2_kernel_smallILi17EdPdEEv13rocblas_fill_17rocblas_diagonal_T1_iil ; -- Begin function _ZN9rocsolver6v33100L18trti2_kernel_smallILi17EdPdEEv13rocblas_fill_17rocblas_diagonal_T1_iil
	.p2align	8
	.type	_ZN9rocsolver6v33100L18trti2_kernel_smallILi17EdPdEEv13rocblas_fill_17rocblas_diagonal_T1_iil,@function
_ZN9rocsolver6v33100L18trti2_kernel_smallILi17EdPdEEv13rocblas_fill_17rocblas_diagonal_T1_iil: ; @_ZN9rocsolver6v33100L18trti2_kernel_smallILi17EdPdEEv13rocblas_fill_17rocblas_diagonal_T1_iil
; %bb.0:
	s_add_u32 s0, s0, s9
	s_addc_u32 s1, s1, 0
	v_cmp_gt_u32_e32 vcc, 17, v0
	s_and_saveexec_b64 s[6:7], vcc
	s_cbranch_execz .LBB16_312
; %bb.1:
	s_load_dwordx8 s[12:19], s[4:5], 0x0
	s_ashr_i32 s6, s8, 31
	v_lshlrev_b32_e32 v1, 3, v0
	v_mov_b32_e32 v53, 0
	s_waitcnt lgkmcnt(0)
	s_mul_i32 s7, s8, s19
	s_mul_hi_u32 s9, s8, s18
	s_add_i32 s7, s9, s7
	s_mul_i32 s6, s6, s18
	s_add_i32 s7, s7, s6
	s_mul_i32 s6, s8, s18
	s_ashr_i32 s5, s16, 31
	s_lshl_b64 s[6:7], s[6:7], 3
	s_mov_b32 s4, s16
	s_add_u32 s6, s14, s6
	s_addc_u32 s7, s15, s7
	s_lshl_b64 s[4:5], s[4:5], 3
	s_add_u32 s4, s6, s4
	s_addc_u32 s5, s7, s5
	v_mov_b32_e32 v3, s5
	v_add_co_u32_e32 v2, vcc, s4, v1
	s_ashr_i32 s7, s17, 31
	s_mov_b32 s6, s17
	v_addc_co_u32_e32 v3, vcc, 0, v3, vcc
	s_lshl_b64 s[6:7], s[6:7], 3
	v_add_co_u32_e32 v4, vcc, s6, v2
	s_add_i32 s6, s17, s17
	v_add_u32_e32 v8, s6, v0
	v_mov_b32_e32 v5, s7
	v_ashrrev_i32_e32 v9, 31, v8
	v_addc_co_u32_e32 v5, vcc, v3, v5, vcc
	v_lshlrev_b64 v[6:7], 3, v[8:9]
	v_mov_b32_e32 v9, s5
	v_add_co_u32_e32 v6, vcc, s4, v6
	global_load_dwordx2 v[14:15], v1, s[4:5]
	v_addc_co_u32_e32 v7, vcc, v9, v7, vcc
	global_load_dwordx2 v[20:21], v[4:5], off
	global_load_dwordx2 v[22:23], v[6:7], off
	v_add_u32_e32 v10, s17, v8
	v_ashrrev_i32_e32 v11, 31, v10
	v_lshlrev_b64 v[8:9], 3, v[10:11]
	v_mov_b32_e32 v11, s5
	v_add_co_u32_e32 v8, vcc, s4, v8
	v_addc_co_u32_e32 v9, vcc, v11, v9, vcc
	global_load_dwordx2 v[24:25], v[8:9], off
	v_add_u32_e32 v10, s17, v10
	v_ashrrev_i32_e32 v11, 31, v10
	v_add_u32_e32 v12, s17, v10
	v_lshlrev_b64 v[10:11], 3, v[10:11]
	v_mov_b32_e32 v17, s5
	v_add_co_u32_e32 v10, vcc, s4, v10
	v_addc_co_u32_e32 v11, vcc, v17, v11, vcc
	global_load_dwordx2 v[36:37], v[10:11], off
	v_ashrrev_i32_e32 v13, 31, v12
	v_add_u32_e32 v16, s17, v12
	v_lshlrev_b64 v[12:13], 3, v[12:13]
	v_mov_b32_e32 v19, s5
	v_ashrrev_i32_e32 v17, 31, v16
	v_add_co_u32_e32 v12, vcc, s4, v12
	v_add_u32_e32 v18, s17, v16
	v_addc_co_u32_e32 v13, vcc, v19, v13, vcc
	v_lshlrev_b64 v[16:17], 3, v[16:17]
	v_mov_b32_e32 v27, s5
	v_ashrrev_i32_e32 v19, 31, v18
	v_add_co_u32_e32 v16, vcc, s4, v16
	v_add_u32_e32 v26, s17, v18
	v_addc_co_u32_e32 v17, vcc, v27, v17, vcc
	v_lshlrev_b64 v[18:19], 3, v[18:19]
	v_mov_b32_e32 v28, s5
	v_ashrrev_i32_e32 v27, 31, v26
	v_add_co_u32_e32 v18, vcc, s4, v18
	v_addc_co_u32_e32 v19, vcc, v28, v19, vcc
	v_lshlrev_b64 v[28:29], 3, v[26:27]
	v_mov_b32_e32 v30, s5
	v_mov_b32_e32 v52, s5
	s_cmpk_lg_i32 s13, 0x84
	s_cselect_b64 s[8:9], -1, 0
	s_cmpk_eq_i32 s13, 0x84
	s_waitcnt vmcnt(4)
	buffer_store_dword v15, off, s[0:3], 0 offset:4
	buffer_store_dword v14, off, s[0:3], 0
	s_waitcnt vmcnt(5)
	buffer_store_dword v21, off, s[0:3], 0 offset:12
	buffer_store_dword v20, off, s[0:3], 0 offset:8
	s_waitcnt vmcnt(6)
	buffer_store_dword v23, off, s[0:3], 0 offset:20
	buffer_store_dword v22, off, s[0:3], 0 offset:16
	;; [unrolled: 3-line block ×3, first 2 shown]
	v_add_u32_e32 v20, s17, v26
	v_add_co_u32_e32 v22, vcc, s4, v28
	v_ashrrev_i32_e32 v21, 31, v20
	v_addc_co_u32_e32 v23, vcc, v30, v29, vcc
	v_lshlrev_b64 v[14:15], 3, v[20:21]
	v_add_u32_e32 v24, s17, v20
	v_mov_b32_e32 v21, s5
	v_add_co_u32_e32 v14, vcc, s4, v14
	v_ashrrev_i32_e32 v25, 31, v24
	v_addc_co_u32_e32 v15, vcc, v21, v15, vcc
	v_lshlrev_b64 v[20:21], 3, v[24:25]
	v_add_u32_e32 v26, s17, v24
	v_mov_b32_e32 v25, s5
	;; [unrolled: 6-line block ×3, first 2 shown]
	v_add_co_u32_e32 v24, vcc, s4, v24
	v_ashrrev_i32_e32 v29, 31, v28
	v_addc_co_u32_e32 v25, vcc, v27, v25, vcc
	v_lshlrev_b64 v[26:27], 3, v[28:29]
	v_mov_b32_e32 v29, s5
	v_add_co_u32_e32 v26, vcc, s4, v26
	global_load_dwordx2 v[38:39], v[12:13], off
	global_load_dwordx2 v[40:41], v[16:17], off
	;; [unrolled: 1-line block ×4, first 2 shown]
	v_addc_co_u32_e32 v27, vcc, v29, v27, vcc
	global_load_dwordx2 v[46:47], v[14:15], off
	global_load_dwordx2 v[48:49], v[20:21], off
	;; [unrolled: 1-line block ×4, first 2 shown]
	v_add_u32_e32 v30, s17, v28
	v_ashrrev_i32_e32 v31, 31, v30
	v_lshlrev_b64 v[28:29], 3, v[30:31]
	v_mov_b32_e32 v31, s5
	v_add_co_u32_e32 v28, vcc, s4, v28
	v_add_u32_e32 v30, s17, v30
	v_addc_co_u32_e32 v29, vcc, v31, v29, vcc
	v_ashrrev_i32_e32 v31, 31, v30
	v_lshlrev_b64 v[32:33], 3, v[30:31]
	v_mov_b32_e32 v31, s5
	v_add_co_u32_e32 v32, vcc, s4, v32
	v_add_u32_e32 v30, s17, v30
	v_addc_co_u32_e32 v33, vcc, v31, v33, vcc
	v_ashrrev_i32_e32 v31, 31, v30
	global_load_dwordx2 v[56:57], v[28:29], off
	v_lshlrev_b64 v[34:35], 3, v[30:31]
	v_mov_b32_e32 v31, s5
	v_add_co_u32_e32 v34, vcc, s4, v34
	v_add_u32_e32 v30, s17, v30
	v_addc_co_u32_e32 v35, vcc, v31, v35, vcc
	v_ashrrev_i32_e32 v31, 31, v30
	global_load_dwordx2 v[58:59], v[32:33], off
	global_load_dwordx2 v[60:61], v[34:35], off
	v_lshlrev_b64 v[30:31], 3, v[30:31]
	v_add_co_u32_e32 v30, vcc, s4, v30
	v_addc_co_u32_e32 v31, vcc, v52, v31, vcc
	s_waitcnt vmcnt(19)
	buffer_store_dword v37, off, s[0:3], 0 offset:36
	buffer_store_dword v36, off, s[0:3], 0 offset:32
	global_load_dwordx2 v[36:37], v[30:31], off
	s_waitcnt vmcnt(13)
	buffer_store_dword v39, off, s[0:3], 0 offset:44
	buffer_store_dword v38, off, s[0:3], 0 offset:40
	s_waitcnt vmcnt(14)
	buffer_store_dword v41, off, s[0:3], 0 offset:52
	buffer_store_dword v40, off, s[0:3], 0 offset:48
	s_waitcnt vmcnt(15)
	buffer_store_dword v43, off, s[0:3], 0 offset:60
	buffer_store_dword v42, off, s[0:3], 0 offset:56
	s_waitcnt vmcnt(16)
	buffer_store_dword v45, off, s[0:3], 0 offset:68
	buffer_store_dword v44, off, s[0:3], 0 offset:64
	s_waitcnt vmcnt(17)
	buffer_store_dword v46, off, s[0:3], 0 offset:72
	buffer_store_dword v47, off, s[0:3], 0 offset:76
	s_waitcnt vmcnt(18)
	buffer_store_dword v48, off, s[0:3], 0 offset:80
	buffer_store_dword v49, off, s[0:3], 0 offset:84
	s_waitcnt vmcnt(19)
	buffer_store_dword v50, off, s[0:3], 0 offset:88
	buffer_store_dword v51, off, s[0:3], 0 offset:92
	s_waitcnt vmcnt(20)
	buffer_store_dword v54, off, s[0:3], 0 offset:96
	buffer_store_dword v55, off, s[0:3], 0 offset:100
	s_waitcnt vmcnt(21)
	buffer_store_dword v56, off, s[0:3], 0 offset:104
	buffer_store_dword v57, off, s[0:3], 0 offset:108
	s_waitcnt vmcnt(22)
	buffer_store_dword v59, off, s[0:3], 0 offset:116
	buffer_store_dword v58, off, s[0:3], 0 offset:112
	s_waitcnt vmcnt(23)
	buffer_store_dword v60, off, s[0:3], 0 offset:120
	buffer_store_dword v61, off, s[0:3], 0 offset:124
	s_waitcnt vmcnt(22)
	buffer_store_dword v36, off, s[0:3], 0 offset:128
	buffer_store_dword v37, off, s[0:3], 0 offset:132
	v_mov_b32_e32 v36, 0
	v_mov_b32_e32 v37, 0xbff00000
	s_cbranch_scc1 .LBB16_3
; %bb.2:
	v_lshl_add_u32 v46, v0, 3, v53
	buffer_load_dword v36, v46, s[0:3], 0 offen
	buffer_load_dword v37, v46, s[0:3], 0 offen offset:4
	s_waitcnt vmcnt(0)
	v_div_scale_f64 v[38:39], s[4:5], v[36:37], v[36:37], 1.0
	v_rcp_f64_e32 v[40:41], v[38:39]
	v_div_scale_f64 v[42:43], vcc, 1.0, v[36:37], 1.0
	v_fma_f64 v[44:45], -v[38:39], v[40:41], 1.0
	v_fmac_f64_e32 v[40:41], v[40:41], v[44:45]
	v_fma_f64 v[44:45], -v[38:39], v[40:41], 1.0
	v_fmac_f64_e32 v[40:41], v[40:41], v[44:45]
	v_mul_f64 v[44:45], v[42:43], v[40:41]
	v_fma_f64 v[38:39], -v[38:39], v[44:45], v[42:43]
	v_div_fmas_f64 v[38:39], v[38:39], v[40:41], v[44:45]
	v_div_fixup_f64 v[36:37], v[38:39], v[36:37], 1.0
	buffer_store_dword v36, v46, s[0:3], 0 offen
	buffer_store_dword v37, v46, s[0:3], 0 offen offset:4
	v_xor_b32_e32 v37, 0x80000000, v37
.LBB16_3:
	s_cmpk_eq_i32 s12, 0x79
	v_add_u32_e32 v38, 0x90, v1
	v_add_u32_e32 v39, 0, v1
	s_mov_b64 s[4:5], -1
	ds_write_b64 v1, v[36:37]
	s_cbranch_scc1 .LBB16_157
; %bb.4:
	buffer_load_dword v36, off, s[0:3], 0 offset:120
	buffer_load_dword v37, off, s[0:3], 0 offset:124
	v_cmp_eq_u32_e64 s[4:5], 16, v0
	s_waitcnt vmcnt(0)
	ds_write_b64 v38, v[36:37]
	s_waitcnt lgkmcnt(0)
	; wave barrier
	s_waitcnt lgkmcnt(0)
	s_and_saveexec_b64 s[6:7], s[4:5]
	s_cbranch_execz .LBB16_10
; %bb.5:
	s_and_b64 vcc, exec, s[8:9]
	s_cbranch_vccz .LBB16_7
; %bb.6:
	buffer_load_dword v36, v39, s[0:3], 0 offen
	buffer_load_dword v37, v39, s[0:3], 0 offen offset:4
	ds_read_b64 v[40:41], v38
	s_waitcnt vmcnt(0) lgkmcnt(0)
	v_mul_f64 v[36:37], v[36:37], v[40:41]
	s_cbranch_execz .LBB16_8
	s_branch .LBB16_9
.LBB16_7:
                                        ; implicit-def: $vgpr36_vgpr37
.LBB16_8:
	ds_read_b64 v[36:37], v38
.LBB16_9:
	v_mov_b32_e32 v40, 0
	ds_read_b64 v[40:41], v40 offset:120
	s_waitcnt lgkmcnt(0)
	v_mul_f64 v[36:37], v[36:37], v[40:41]
	buffer_store_dword v37, off, s[0:3], 0 offset:124
	buffer_store_dword v36, off, s[0:3], 0 offset:120
.LBB16_10:
	s_or_b64 exec, exec, s[6:7]
	buffer_load_dword v36, off, s[0:3], 0 offset:112
	buffer_load_dword v37, off, s[0:3], 0 offset:116
	v_or_b32_e32 v40, 8, v53
	v_add_u32_e32 v41, 16, v53
	v_add_u32_e32 v42, 24, v53
	;; [unrolled: 1-line block ×13, first 2 shown]
	v_cmp_lt_u32_e64 s[6:7], 14, v0
	s_waitcnt vmcnt(0)
	ds_write_b64 v38, v[36:37]
	s_waitcnt lgkmcnt(0)
	; wave barrier
	s_waitcnt lgkmcnt(0)
	s_and_saveexec_b64 s[10:11], s[6:7]
	s_cbranch_execz .LBB16_16
; %bb.11:
	s_andn2_b64 vcc, exec, s[8:9]
	s_cbranch_vccnz .LBB16_13
; %bb.12:
	buffer_load_dword v36, v39, s[0:3], 0 offen
	buffer_load_dword v37, v39, s[0:3], 0 offen offset:4
	ds_read_b64 v[54:55], v38
	s_waitcnt vmcnt(0) lgkmcnt(0)
	v_mul_f64 v[36:37], v[36:37], v[54:55]
	s_cbranch_execz .LBB16_14
	s_branch .LBB16_15
.LBB16_13:
                                        ; implicit-def: $vgpr36_vgpr37
.LBB16_14:
	ds_read_b64 v[36:37], v38
.LBB16_15:
	buffer_load_dword v58, off, s[0:3], 0 offset:120
	buffer_load_dword v59, off, s[0:3], 0 offset:124
	v_mov_b32_e32 v54, 0
	ds_read2_b64 v[54:57], v54 offset0:14 offset1:33
	s_waitcnt vmcnt(0) lgkmcnt(0)
	v_fma_f64 v[56:57], v[58:59], v[56:57], v[36:37]
	v_cndmask_b32_e64 v37, v37, v57, s[4:5]
	v_cndmask_b32_e64 v36, v36, v56, s[4:5]
	v_mul_f64 v[36:37], v[36:37], v[54:55]
	buffer_store_dword v37, off, s[0:3], 0 offset:116
	buffer_store_dword v36, off, s[0:3], 0 offset:112
.LBB16_16:
	s_or_b64 exec, exec, s[10:11]
	buffer_load_dword v36, off, s[0:3], 0 offset:104
	buffer_load_dword v37, off, s[0:3], 0 offset:108
	v_cmp_lt_u32_e64 s[4:5], 13, v0
	s_waitcnt vmcnt(0)
	ds_write_b64 v38, v[36:37]
	s_waitcnt lgkmcnt(0)
	; wave barrier
	s_waitcnt lgkmcnt(0)
	s_and_saveexec_b64 s[10:11], s[4:5]
	s_cbranch_execz .LBB16_26
; %bb.17:
	s_andn2_b64 vcc, exec, s[8:9]
	s_cbranch_vccnz .LBB16_19
; %bb.18:
	buffer_load_dword v36, v39, s[0:3], 0 offen
	buffer_load_dword v37, v39, s[0:3], 0 offen offset:4
	ds_read_b64 v[54:55], v38
	s_waitcnt vmcnt(0) lgkmcnt(0)
	v_mul_f64 v[36:37], v[36:37], v[54:55]
	s_cbranch_execz .LBB16_20
	s_branch .LBB16_21
.LBB16_19:
                                        ; implicit-def: $vgpr36_vgpr37
.LBB16_20:
	ds_read_b64 v[36:37], v38
.LBB16_21:
	s_and_saveexec_b64 s[12:13], s[6:7]
	s_cbranch_execz .LBB16_25
; %bb.22:
	v_add_u32_e32 v54, -14, v0
	s_movk_i32 s14, 0x100
	s_mov_b64 s[6:7], 0
.LBB16_23:                              ; =>This Inner Loop Header: Depth=1
	buffer_load_dword v56, v53, s[0:3], 0 offen
	buffer_load_dword v57, v53, s[0:3], 0 offen offset:4
	v_mov_b32_e32 v55, s14
	ds_read_b64 v[58:59], v55
	v_add_u32_e32 v54, -1, v54
	s_add_i32 s14, s14, 8
	v_cmp_eq_u32_e32 vcc, 0, v54
	v_add_u32_e32 v53, 8, v53
	s_or_b64 s[6:7], vcc, s[6:7]
	s_waitcnt vmcnt(0) lgkmcnt(0)
	v_fmac_f64_e32 v[36:37], v[56:57], v[58:59]
	s_andn2_b64 exec, exec, s[6:7]
	s_cbranch_execnz .LBB16_23
; %bb.24:
	s_or_b64 exec, exec, s[6:7]
.LBB16_25:
	s_or_b64 exec, exec, s[12:13]
	v_mov_b32_e32 v53, 0
	ds_read_b64 v[54:55], v53 offset:104
	s_waitcnt lgkmcnt(0)
	v_mul_f64 v[36:37], v[36:37], v[54:55]
	buffer_store_dword v37, off, s[0:3], 0 offset:108
	buffer_store_dword v36, off, s[0:3], 0 offset:104
.LBB16_26:
	s_or_b64 exec, exec, s[10:11]
	buffer_load_dword v36, off, s[0:3], 0 offset:96
	buffer_load_dword v37, off, s[0:3], 0 offset:100
	v_cmp_lt_u32_e64 s[6:7], 12, v0
	s_waitcnt vmcnt(0)
	ds_write_b64 v38, v[36:37]
	s_waitcnt lgkmcnt(0)
	; wave barrier
	s_waitcnt lgkmcnt(0)
	s_and_saveexec_b64 s[10:11], s[6:7]
	s_cbranch_execz .LBB16_36
; %bb.27:
	s_andn2_b64 vcc, exec, s[8:9]
	s_cbranch_vccnz .LBB16_29
; %bb.28:
	buffer_load_dword v36, v39, s[0:3], 0 offen
	buffer_load_dword v37, v39, s[0:3], 0 offen offset:4
	ds_read_b64 v[54:55], v38
	s_waitcnt vmcnt(0) lgkmcnt(0)
	v_mul_f64 v[36:37], v[36:37], v[54:55]
	s_cbranch_execz .LBB16_30
	s_branch .LBB16_31
.LBB16_29:
                                        ; implicit-def: $vgpr36_vgpr37
.LBB16_30:
	ds_read_b64 v[36:37], v38
.LBB16_31:
	s_and_saveexec_b64 s[12:13], s[4:5]
	s_cbranch_execz .LBB16_35
; %bb.32:
	v_add_u32_e32 v53, -13, v0
	s_movk_i32 s14, 0xf8
	s_mov_b64 s[4:5], 0
.LBB16_33:                              ; =>This Inner Loop Header: Depth=1
	buffer_load_dword v54, v52, s[0:3], 0 offen
	buffer_load_dword v55, v52, s[0:3], 0 offen offset:4
	v_mov_b32_e32 v56, s14
	ds_read_b64 v[56:57], v56
	v_add_u32_e32 v53, -1, v53
	s_add_i32 s14, s14, 8
	v_cmp_eq_u32_e32 vcc, 0, v53
	v_add_u32_e32 v52, 8, v52
	s_or_b64 s[4:5], vcc, s[4:5]
	s_waitcnt vmcnt(0) lgkmcnt(0)
	v_fmac_f64_e32 v[36:37], v[54:55], v[56:57]
	s_andn2_b64 exec, exec, s[4:5]
	s_cbranch_execnz .LBB16_33
; %bb.34:
	s_or_b64 exec, exec, s[4:5]
.LBB16_35:
	s_or_b64 exec, exec, s[12:13]
	v_mov_b32_e32 v52, 0
	ds_read_b64 v[52:53], v52 offset:96
	s_waitcnt lgkmcnt(0)
	v_mul_f64 v[36:37], v[36:37], v[52:53]
	buffer_store_dword v37, off, s[0:3], 0 offset:100
	buffer_store_dword v36, off, s[0:3], 0 offset:96
.LBB16_36:
	;; [unrolled: 58-line block ×8, first 2 shown]
	s_or_b64 exec, exec, s[10:11]
	buffer_load_dword v36, off, s[0:3], 0 offset:40
	buffer_load_dword v37, off, s[0:3], 0 offset:44
	v_cmp_lt_u32_e64 s[4:5], 5, v0
	s_waitcnt vmcnt(0)
	ds_write_b64 v38, v[36:37]
	s_waitcnt lgkmcnt(0)
	; wave barrier
	s_waitcnt lgkmcnt(0)
	s_and_saveexec_b64 s[10:11], s[4:5]
	s_cbranch_execz .LBB16_106
; %bb.97:
	s_andn2_b64 vcc, exec, s[8:9]
	s_cbranch_vccnz .LBB16_99
; %bb.98:
	buffer_load_dword v36, v39, s[0:3], 0 offen
	buffer_load_dword v37, v39, s[0:3], 0 offen offset:4
	ds_read_b64 v[46:47], v38
	s_waitcnt vmcnt(0) lgkmcnt(0)
	v_mul_f64 v[36:37], v[36:37], v[46:47]
	s_cbranch_execz .LBB16_100
	s_branch .LBB16_101
.LBB16_99:
                                        ; implicit-def: $vgpr36_vgpr37
.LBB16_100:
	ds_read_b64 v[36:37], v38
.LBB16_101:
	s_and_saveexec_b64 s[12:13], s[6:7]
	s_cbranch_execz .LBB16_105
; %bb.102:
	v_add_u32_e32 v46, -6, v0
	s_movk_i32 s14, 0xc0
	s_mov_b64 s[6:7], 0
.LBB16_103:                             ; =>This Inner Loop Header: Depth=1
	buffer_load_dword v48, v45, s[0:3], 0 offen
	buffer_load_dword v49, v45, s[0:3], 0 offen offset:4
	v_mov_b32_e32 v47, s14
	ds_read_b64 v[50:51], v47
	v_add_u32_e32 v46, -1, v46
	s_add_i32 s14, s14, 8
	v_cmp_eq_u32_e32 vcc, 0, v46
	v_add_u32_e32 v45, 8, v45
	s_or_b64 s[6:7], vcc, s[6:7]
	s_waitcnt vmcnt(0) lgkmcnt(0)
	v_fmac_f64_e32 v[36:37], v[48:49], v[50:51]
	s_andn2_b64 exec, exec, s[6:7]
	s_cbranch_execnz .LBB16_103
; %bb.104:
	s_or_b64 exec, exec, s[6:7]
.LBB16_105:
	s_or_b64 exec, exec, s[12:13]
	v_mov_b32_e32 v45, 0
	ds_read_b64 v[46:47], v45 offset:40
	s_waitcnt lgkmcnt(0)
	v_mul_f64 v[36:37], v[36:37], v[46:47]
	buffer_store_dword v37, off, s[0:3], 0 offset:44
	buffer_store_dword v36, off, s[0:3], 0 offset:40
.LBB16_106:
	s_or_b64 exec, exec, s[10:11]
	buffer_load_dword v36, off, s[0:3], 0 offset:32
	buffer_load_dword v37, off, s[0:3], 0 offset:36
	v_cmp_lt_u32_e64 s[6:7], 4, v0
	s_waitcnt vmcnt(0)
	ds_write_b64 v38, v[36:37]
	s_waitcnt lgkmcnt(0)
	; wave barrier
	s_waitcnt lgkmcnt(0)
	s_and_saveexec_b64 s[10:11], s[6:7]
	s_cbranch_execz .LBB16_116
; %bb.107:
	s_andn2_b64 vcc, exec, s[8:9]
	s_cbranch_vccnz .LBB16_109
; %bb.108:
	buffer_load_dword v36, v39, s[0:3], 0 offen
	buffer_load_dword v37, v39, s[0:3], 0 offen offset:4
	ds_read_b64 v[46:47], v38
	s_waitcnt vmcnt(0) lgkmcnt(0)
	v_mul_f64 v[36:37], v[36:37], v[46:47]
	s_cbranch_execz .LBB16_110
	s_branch .LBB16_111
.LBB16_109:
                                        ; implicit-def: $vgpr36_vgpr37
.LBB16_110:
	ds_read_b64 v[36:37], v38
.LBB16_111:
	s_and_saveexec_b64 s[12:13], s[4:5]
	s_cbranch_execz .LBB16_115
; %bb.112:
	v_add_u32_e32 v45, -5, v0
	s_movk_i32 s14, 0xb8
	s_mov_b64 s[4:5], 0
.LBB16_113:                             ; =>This Inner Loop Header: Depth=1
	buffer_load_dword v46, v44, s[0:3], 0 offen
	buffer_load_dword v47, v44, s[0:3], 0 offen offset:4
	v_mov_b32_e32 v48, s14
	ds_read_b64 v[48:49], v48
	v_add_u32_e32 v45, -1, v45
	s_add_i32 s14, s14, 8
	v_cmp_eq_u32_e32 vcc, 0, v45
	v_add_u32_e32 v44, 8, v44
	s_or_b64 s[4:5], vcc, s[4:5]
	s_waitcnt vmcnt(0) lgkmcnt(0)
	v_fmac_f64_e32 v[36:37], v[46:47], v[48:49]
	s_andn2_b64 exec, exec, s[4:5]
	s_cbranch_execnz .LBB16_113
; %bb.114:
	s_or_b64 exec, exec, s[4:5]
.LBB16_115:
	s_or_b64 exec, exec, s[12:13]
	v_mov_b32_e32 v44, 0
	ds_read_b64 v[44:45], v44 offset:32
	s_waitcnt lgkmcnt(0)
	v_mul_f64 v[36:37], v[36:37], v[44:45]
	buffer_store_dword v37, off, s[0:3], 0 offset:36
	buffer_store_dword v36, off, s[0:3], 0 offset:32
.LBB16_116:
	;; [unrolled: 58-line block ×5, first 2 shown]
	s_or_b64 exec, exec, s[10:11]
	buffer_load_dword v36, off, s[0:3], 0
	buffer_load_dword v37, off, s[0:3], 0 offset:4
	v_cmp_ne_u32_e32 vcc, 0, v0
	s_waitcnt vmcnt(0)
	ds_write_b64 v38, v[36:37]
	s_waitcnt lgkmcnt(0)
	; wave barrier
	s_waitcnt lgkmcnt(0)
	s_and_saveexec_b64 s[6:7], vcc
	s_cbranch_execz .LBB16_156
; %bb.147:
	s_andn2_b64 vcc, exec, s[8:9]
	s_cbranch_vccnz .LBB16_149
; %bb.148:
	buffer_load_dword v36, v39, s[0:3], 0 offen
	buffer_load_dword v37, v39, s[0:3], 0 offen offset:4
	ds_read_b64 v[42:43], v38
	s_waitcnt vmcnt(0) lgkmcnt(0)
	v_mul_f64 v[36:37], v[36:37], v[42:43]
	s_cbranch_execz .LBB16_150
	s_branch .LBB16_151
.LBB16_149:
                                        ; implicit-def: $vgpr36_vgpr37
.LBB16_150:
	ds_read_b64 v[36:37], v38
.LBB16_151:
	s_and_saveexec_b64 s[10:11], s[4:5]
	s_cbranch_execz .LBB16_155
; %bb.152:
	v_add_u32_e32 v41, -1, v0
	s_movk_i32 s12, 0x98
	s_mov_b64 s[4:5], 0
.LBB16_153:                             ; =>This Inner Loop Header: Depth=1
	buffer_load_dword v42, v40, s[0:3], 0 offen
	buffer_load_dword v43, v40, s[0:3], 0 offen offset:4
	v_mov_b32_e32 v44, s12
	ds_read_b64 v[44:45], v44
	v_add_u32_e32 v41, -1, v41
	s_add_i32 s12, s12, 8
	v_cmp_eq_u32_e32 vcc, 0, v41
	v_add_u32_e32 v40, 8, v40
	s_or_b64 s[4:5], vcc, s[4:5]
	s_waitcnt vmcnt(0) lgkmcnt(0)
	v_fmac_f64_e32 v[36:37], v[42:43], v[44:45]
	s_andn2_b64 exec, exec, s[4:5]
	s_cbranch_execnz .LBB16_153
; %bb.154:
	s_or_b64 exec, exec, s[4:5]
.LBB16_155:
	s_or_b64 exec, exec, s[10:11]
	v_mov_b32_e32 v40, 0
	ds_read_b64 v[40:41], v40
	s_waitcnt lgkmcnt(0)
	v_mul_f64 v[36:37], v[36:37], v[40:41]
	buffer_store_dword v37, off, s[0:3], 0 offset:4
	buffer_store_dword v36, off, s[0:3], 0
.LBB16_156:
	s_or_b64 exec, exec, s[6:7]
	s_mov_b64 s[4:5], 0
.LBB16_157:
	s_and_b64 vcc, exec, s[4:5]
	s_cbranch_vccz .LBB16_311
; %bb.158:
	buffer_load_dword v36, off, s[0:3], 0 offset:8
	buffer_load_dword v37, off, s[0:3], 0 offset:12
	v_cmp_eq_u32_e64 s[6:7], 0, v0
	s_waitcnt vmcnt(0)
	ds_write_b64 v38, v[36:37]
	s_waitcnt lgkmcnt(0)
	; wave barrier
	s_waitcnt lgkmcnt(0)
	s_and_saveexec_b64 s[4:5], s[6:7]
	s_cbranch_execz .LBB16_164
; %bb.159:
	s_and_b64 vcc, exec, s[8:9]
	s_cbranch_vccz .LBB16_161
; %bb.160:
	buffer_load_dword v36, v39, s[0:3], 0 offen
	buffer_load_dword v37, v39, s[0:3], 0 offen offset:4
	ds_read_b64 v[40:41], v38
	s_waitcnt vmcnt(0) lgkmcnt(0)
	v_mul_f64 v[36:37], v[36:37], v[40:41]
	s_cbranch_execz .LBB16_162
	s_branch .LBB16_163
.LBB16_161:
                                        ; implicit-def: $vgpr36_vgpr37
.LBB16_162:
	ds_read_b64 v[36:37], v38
.LBB16_163:
	v_mov_b32_e32 v40, 0
	ds_read_b64 v[40:41], v40 offset:8
	s_waitcnt lgkmcnt(0)
	v_mul_f64 v[36:37], v[36:37], v[40:41]
	buffer_store_dword v37, off, s[0:3], 0 offset:12
	buffer_store_dword v36, off, s[0:3], 0 offset:8
.LBB16_164:
	s_or_b64 exec, exec, s[4:5]
	buffer_load_dword v36, off, s[0:3], 0 offset:16
	buffer_load_dword v37, off, s[0:3], 0 offset:20
	v_cndmask_b32_e64 v40, 0, 1, s[8:9]
	v_cmp_gt_u32_e32 vcc, 2, v0
	v_cmp_ne_u32_e64 s[4:5], 1, v40
	s_waitcnt vmcnt(0)
	ds_write_b64 v38, v[36:37]
	s_waitcnt lgkmcnt(0)
	; wave barrier
	s_waitcnt lgkmcnt(0)
	s_and_saveexec_b64 s[8:9], vcc
	s_cbranch_execz .LBB16_172
; %bb.165:
	s_and_b64 vcc, exec, s[4:5]
	s_cbranch_vccnz .LBB16_167
; %bb.166:
	buffer_load_dword v36, v39, s[0:3], 0 offen
	buffer_load_dword v37, v39, s[0:3], 0 offen offset:4
	ds_read_b64 v[40:41], v38
	s_waitcnt vmcnt(0) lgkmcnt(0)
	v_mul_f64 v[36:37], v[36:37], v[40:41]
	s_cbranch_execz .LBB16_168
	s_branch .LBB16_169
.LBB16_167:
                                        ; implicit-def: $vgpr36_vgpr37
.LBB16_168:
	ds_read_b64 v[36:37], v38
.LBB16_169:
	s_and_saveexec_b64 s[10:11], s[6:7]
	s_cbranch_execz .LBB16_171
; %bb.170:
	buffer_load_dword v40, v39, s[0:3], 0 offen offset:8
	buffer_load_dword v41, v39, s[0:3], 0 offen offset:12
	ds_read_b64 v[42:43], v38 offset:8
	s_waitcnt vmcnt(0) lgkmcnt(0)
	v_fmac_f64_e32 v[36:37], v[40:41], v[42:43]
.LBB16_171:
	s_or_b64 exec, exec, s[10:11]
	v_mov_b32_e32 v40, 0
	ds_read_b64 v[40:41], v40 offset:16
	s_waitcnt lgkmcnt(0)
	v_mul_f64 v[36:37], v[36:37], v[40:41]
	buffer_store_dword v37, off, s[0:3], 0 offset:20
	buffer_store_dword v36, off, s[0:3], 0 offset:16
.LBB16_172:
	s_or_b64 exec, exec, s[8:9]
	buffer_load_dword v36, off, s[0:3], 0 offset:24
	buffer_load_dword v37, off, s[0:3], 0 offset:28
	v_cmp_gt_u32_e32 vcc, 3, v0
	s_waitcnt vmcnt(0)
	ds_write_b64 v38, v[36:37]
	s_waitcnt lgkmcnt(0)
	; wave barrier
	s_waitcnt lgkmcnt(0)
	s_and_saveexec_b64 s[8:9], vcc
	s_cbranch_execz .LBB16_180
; %bb.173:
	s_and_b64 vcc, exec, s[4:5]
	s_cbranch_vccnz .LBB16_175
; %bb.174:
	buffer_load_dword v36, v39, s[0:3], 0 offen
	buffer_load_dword v37, v39, s[0:3], 0 offen offset:4
	ds_read_b64 v[40:41], v38
	s_waitcnt vmcnt(0) lgkmcnt(0)
	v_mul_f64 v[36:37], v[36:37], v[40:41]
	s_cbranch_execz .LBB16_176
	s_branch .LBB16_177
.LBB16_175:
                                        ; implicit-def: $vgpr36_vgpr37
.LBB16_176:
	ds_read_b64 v[36:37], v38
.LBB16_177:
	v_cmp_ne_u32_e32 vcc, 2, v0
	s_and_saveexec_b64 s[10:11], vcc
	s_cbranch_execz .LBB16_179
; %bb.178:
	buffer_load_dword v41, v39, s[0:3], 0 offen offset:12
	buffer_load_dword v42, off, s[0:3], 0 offset:16
	buffer_load_dword v40, v39, s[0:3], 0 offen offset:8
	buffer_load_dword v43, off, s[0:3], 0 offset:20
	v_mov_b32_e32 v46, 0
	ds_read_b64 v[44:45], v38 offset:8
	ds_read_b64 v[46:47], v46 offset:160
	s_waitcnt vmcnt(1) lgkmcnt(1)
	v_fmac_f64_e32 v[36:37], v[40:41], v[44:45]
	s_waitcnt vmcnt(0) lgkmcnt(0)
	v_fma_f64 v[40:41], v[42:43], v[46:47], v[36:37]
	v_cndmask_b32_e64 v37, v37, v41, s[6:7]
	v_cndmask_b32_e64 v36, v36, v40, s[6:7]
.LBB16_179:
	s_or_b64 exec, exec, s[10:11]
	v_mov_b32_e32 v40, 0
	ds_read_b64 v[40:41], v40 offset:24
	s_waitcnt lgkmcnt(0)
	v_mul_f64 v[36:37], v[36:37], v[40:41]
	buffer_store_dword v37, off, s[0:3], 0 offset:28
	buffer_store_dword v36, off, s[0:3], 0 offset:24
.LBB16_180:
	s_or_b64 exec, exec, s[8:9]
	buffer_load_dword v36, off, s[0:3], 0 offset:32
	buffer_load_dword v37, off, s[0:3], 0 offset:36
	v_cmp_gt_u32_e32 vcc, 4, v0
	s_waitcnt vmcnt(0)
	ds_write_b64 v38, v[36:37]
	s_waitcnt lgkmcnt(0)
	; wave barrier
	s_waitcnt lgkmcnt(0)
	s_and_saveexec_b64 s[6:7], vcc
	s_cbranch_execz .LBB16_190
; %bb.181:
	s_and_b64 vcc, exec, s[4:5]
	s_cbranch_vccnz .LBB16_183
; %bb.182:
	buffer_load_dword v36, v39, s[0:3], 0 offen
	buffer_load_dword v37, v39, s[0:3], 0 offen offset:4
	ds_read_b64 v[40:41], v38
	s_waitcnt vmcnt(0) lgkmcnt(0)
	v_mul_f64 v[36:37], v[36:37], v[40:41]
	s_cbranch_execz .LBB16_184
	s_branch .LBB16_185
.LBB16_183:
                                        ; implicit-def: $vgpr36_vgpr37
.LBB16_184:
	ds_read_b64 v[36:37], v38
.LBB16_185:
	v_cmp_ne_u32_e32 vcc, 3, v0
	s_and_saveexec_b64 s[8:9], vcc
	s_cbranch_execz .LBB16_189
; %bb.186:
	v_mov_b32_e32 v41, 0
	v_add_u32_e32 v40, 0x98, v1
	v_add3_u32 v41, v1, v41, 8
	s_mov_b64 s[10:11], 0
	v_mov_b32_e32 v42, v0
.LBB16_187:                             ; =>This Inner Loop Header: Depth=1
	buffer_load_dword v44, v41, s[0:3], 0 offen
	buffer_load_dword v45, v41, s[0:3], 0 offen offset:4
	ds_read_b64 v[46:47], v40
	v_add_u32_e32 v42, 1, v42
	v_cmp_lt_u32_e32 vcc, 2, v42
	v_add_u32_e32 v40, 8, v40
	v_add_u32_e32 v41, 8, v41
	s_or_b64 s[10:11], vcc, s[10:11]
	s_waitcnt vmcnt(0) lgkmcnt(0)
	v_fmac_f64_e32 v[36:37], v[44:45], v[46:47]
	s_andn2_b64 exec, exec, s[10:11]
	s_cbranch_execnz .LBB16_187
; %bb.188:
	s_or_b64 exec, exec, s[10:11]
.LBB16_189:
	s_or_b64 exec, exec, s[8:9]
	v_mov_b32_e32 v40, 0
	ds_read_b64 v[40:41], v40 offset:32
	s_waitcnt lgkmcnt(0)
	v_mul_f64 v[36:37], v[36:37], v[40:41]
	buffer_store_dword v37, off, s[0:3], 0 offset:36
	buffer_store_dword v36, off, s[0:3], 0 offset:32
.LBB16_190:
	s_or_b64 exec, exec, s[6:7]
	buffer_load_dword v36, off, s[0:3], 0 offset:40
	buffer_load_dword v37, off, s[0:3], 0 offset:44
	v_cmp_gt_u32_e32 vcc, 5, v0
	s_waitcnt vmcnt(0)
	ds_write_b64 v38, v[36:37]
	s_waitcnt lgkmcnt(0)
	; wave barrier
	s_waitcnt lgkmcnt(0)
	s_and_saveexec_b64 s[6:7], vcc
	s_cbranch_execz .LBB16_200
; %bb.191:
	s_and_b64 vcc, exec, s[4:5]
	s_cbranch_vccnz .LBB16_193
; %bb.192:
	buffer_load_dword v36, v39, s[0:3], 0 offen
	buffer_load_dword v37, v39, s[0:3], 0 offen offset:4
	ds_read_b64 v[40:41], v38
	s_waitcnt vmcnt(0) lgkmcnt(0)
	v_mul_f64 v[36:37], v[36:37], v[40:41]
	s_cbranch_execz .LBB16_194
	s_branch .LBB16_195
.LBB16_193:
                                        ; implicit-def: $vgpr36_vgpr37
.LBB16_194:
	ds_read_b64 v[36:37], v38
.LBB16_195:
	v_cmp_ne_u32_e32 vcc, 4, v0
	s_and_saveexec_b64 s[8:9], vcc
	s_cbranch_execz .LBB16_199
; %bb.196:
	v_mov_b32_e32 v41, 0
	v_add_u32_e32 v40, 0x98, v1
	v_add3_u32 v41, v1, v41, 8
	s_mov_b64 s[10:11], 0
	v_mov_b32_e32 v42, v0
.LBB16_197:                             ; =>This Inner Loop Header: Depth=1
	buffer_load_dword v44, v41, s[0:3], 0 offen
	buffer_load_dword v45, v41, s[0:3], 0 offen offset:4
	ds_read_b64 v[46:47], v40
	v_add_u32_e32 v42, 1, v42
	v_cmp_lt_u32_e32 vcc, 3, v42
	v_add_u32_e32 v40, 8, v40
	v_add_u32_e32 v41, 8, v41
	s_or_b64 s[10:11], vcc, s[10:11]
	s_waitcnt vmcnt(0) lgkmcnt(0)
	v_fmac_f64_e32 v[36:37], v[44:45], v[46:47]
	s_andn2_b64 exec, exec, s[10:11]
	s_cbranch_execnz .LBB16_197
; %bb.198:
	s_or_b64 exec, exec, s[10:11]
.LBB16_199:
	s_or_b64 exec, exec, s[8:9]
	v_mov_b32_e32 v40, 0
	ds_read_b64 v[40:41], v40 offset:40
	s_waitcnt lgkmcnt(0)
	v_mul_f64 v[36:37], v[36:37], v[40:41]
	buffer_store_dword v37, off, s[0:3], 0 offset:44
	buffer_store_dword v36, off, s[0:3], 0 offset:40
.LBB16_200:
	;; [unrolled: 60-line block ×11, first 2 shown]
	s_or_b64 exec, exec, s[6:7]
	buffer_load_dword v36, off, s[0:3], 0 offset:120
	buffer_load_dword v37, off, s[0:3], 0 offset:124
	v_cmp_gt_u32_e64 s[6:7], 15, v0
	s_waitcnt vmcnt(0)
	ds_write_b64 v38, v[36:37]
	s_waitcnt lgkmcnt(0)
	; wave barrier
	s_waitcnt lgkmcnt(0)
	s_and_saveexec_b64 s[8:9], s[6:7]
	s_cbranch_execz .LBB16_300
; %bb.291:
	s_and_b64 vcc, exec, s[4:5]
	s_cbranch_vccnz .LBB16_293
; %bb.292:
	buffer_load_dword v36, v39, s[0:3], 0 offen
	buffer_load_dword v37, v39, s[0:3], 0 offen offset:4
	ds_read_b64 v[40:41], v38
	s_waitcnt vmcnt(0) lgkmcnt(0)
	v_mul_f64 v[36:37], v[36:37], v[40:41]
	s_cbranch_execz .LBB16_294
	s_branch .LBB16_295
.LBB16_293:
                                        ; implicit-def: $vgpr36_vgpr37
.LBB16_294:
	ds_read_b64 v[36:37], v38
.LBB16_295:
	v_cmp_ne_u32_e32 vcc, 14, v0
	s_and_saveexec_b64 s[10:11], vcc
	s_cbranch_execz .LBB16_299
; %bb.296:
	v_mov_b32_e32 v41, 0
	v_add_u32_e32 v40, 0x98, v1
	v_add3_u32 v41, v1, v41, 8
	s_mov_b64 s[12:13], 0
	v_mov_b32_e32 v42, v0
.LBB16_297:                             ; =>This Inner Loop Header: Depth=1
	buffer_load_dword v44, v41, s[0:3], 0 offen
	buffer_load_dword v45, v41, s[0:3], 0 offen offset:4
	ds_read_b64 v[46:47], v40
	v_add_u32_e32 v42, 1, v42
	v_cmp_lt_u32_e32 vcc, 13, v42
	v_add_u32_e32 v40, 8, v40
	v_add_u32_e32 v41, 8, v41
	s_or_b64 s[12:13], vcc, s[12:13]
	s_waitcnt vmcnt(0) lgkmcnt(0)
	v_fmac_f64_e32 v[36:37], v[44:45], v[46:47]
	s_andn2_b64 exec, exec, s[12:13]
	s_cbranch_execnz .LBB16_297
; %bb.298:
	s_or_b64 exec, exec, s[12:13]
.LBB16_299:
	s_or_b64 exec, exec, s[10:11]
	v_mov_b32_e32 v40, 0
	ds_read_b64 v[40:41], v40 offset:120
	s_waitcnt lgkmcnt(0)
	v_mul_f64 v[36:37], v[36:37], v[40:41]
	buffer_store_dword v37, off, s[0:3], 0 offset:124
	buffer_store_dword v36, off, s[0:3], 0 offset:120
.LBB16_300:
	s_or_b64 exec, exec, s[8:9]
	buffer_load_dword v36, off, s[0:3], 0 offset:128
	buffer_load_dword v37, off, s[0:3], 0 offset:132
	v_cmp_ne_u32_e32 vcc, 16, v0
	s_waitcnt vmcnt(0)
	ds_write_b64 v38, v[36:37]
	s_waitcnt lgkmcnt(0)
	; wave barrier
	s_waitcnt lgkmcnt(0)
	s_and_saveexec_b64 s[8:9], vcc
	s_cbranch_execz .LBB16_310
; %bb.301:
	s_and_b64 vcc, exec, s[4:5]
	s_cbranch_vccnz .LBB16_303
; %bb.302:
	buffer_load_dword v36, v39, s[0:3], 0 offen
	buffer_load_dword v37, v39, s[0:3], 0 offen offset:4
	ds_read_b64 v[40:41], v38
	s_waitcnt vmcnt(0) lgkmcnt(0)
	v_mul_f64 v[36:37], v[36:37], v[40:41]
	s_cbranch_execz .LBB16_304
	s_branch .LBB16_305
.LBB16_303:
                                        ; implicit-def: $vgpr36_vgpr37
.LBB16_304:
	ds_read_b64 v[36:37], v38
.LBB16_305:
	s_and_saveexec_b64 s[4:5], s[6:7]
	s_cbranch_execz .LBB16_309
; %bb.306:
	v_mov_b32_e32 v39, 0
	v_add_u32_e32 v38, 0x98, v1
	v_add3_u32 v1, v1, v39, 8
	s_mov_b64 s[6:7], 0
.LBB16_307:                             ; =>This Inner Loop Header: Depth=1
	buffer_load_dword v40, v1, s[0:3], 0 offen
	buffer_load_dword v41, v1, s[0:3], 0 offen offset:4
	ds_read_b64 v[42:43], v38
	v_add_u32_e32 v0, 1, v0
	v_cmp_lt_u32_e32 vcc, 14, v0
	v_add_u32_e32 v38, 8, v38
	v_add_u32_e32 v1, 8, v1
	s_or_b64 s[6:7], vcc, s[6:7]
	s_waitcnt vmcnt(0) lgkmcnt(0)
	v_fmac_f64_e32 v[36:37], v[40:41], v[42:43]
	s_andn2_b64 exec, exec, s[6:7]
	s_cbranch_execnz .LBB16_307
; %bb.308:
	s_or_b64 exec, exec, s[6:7]
.LBB16_309:
	s_or_b64 exec, exec, s[4:5]
	v_mov_b32_e32 v0, 0
	ds_read_b64 v[0:1], v0 offset:128
	s_waitcnt lgkmcnt(0)
	v_mul_f64 v[0:1], v[36:37], v[0:1]
	buffer_store_dword v1, off, s[0:3], 0 offset:132
	buffer_store_dword v0, off, s[0:3], 0 offset:128
.LBB16_310:
	s_or_b64 exec, exec, s[8:9]
.LBB16_311:
	buffer_load_dword v0, off, s[0:3], 0
	buffer_load_dword v1, off, s[0:3], 0 offset:4
	buffer_load_dword v36, off, s[0:3], 0 offset:8
	;; [unrolled: 1-line block ×15, first 2 shown]
	s_waitcnt vmcnt(14)
	global_store_dwordx2 v[2:3], v[0:1], off
	s_waitcnt vmcnt(13)
	global_store_dwordx2 v[4:5], v[36:37], off
	;; [unrolled: 2-line block ×8, first 2 shown]
	buffer_load_dword v1, off, s[0:3], 0 offset:68
	buffer_load_dword v0, off, s[0:3], 0 offset:64
	s_waitcnt vmcnt(0)
	global_store_dwordx2 v[22:23], v[0:1], off
	buffer_load_dword v0, off, s[0:3], 0 offset:72
	s_nop 0
	buffer_load_dword v1, off, s[0:3], 0 offset:76
	s_waitcnt vmcnt(0)
	global_store_dwordx2 v[14:15], v[0:1], off
	buffer_load_dword v0, off, s[0:3], 0 offset:80
	s_nop 0
	;; [unrolled: 5-line block ×8, first 2 shown]
	buffer_load_dword v1, off, s[0:3], 0 offset:132
	s_waitcnt vmcnt(0)
	global_store_dwordx2 v[30:31], v[0:1], off
.LBB16_312:
	s_endpgm
	.section	.rodata,"a",@progbits
	.p2align	6, 0x0
	.amdhsa_kernel _ZN9rocsolver6v33100L18trti2_kernel_smallILi17EdPdEEv13rocblas_fill_17rocblas_diagonal_T1_iil
		.amdhsa_group_segment_fixed_size 280
		.amdhsa_private_segment_fixed_size 144
		.amdhsa_kernarg_size 32
		.amdhsa_user_sgpr_count 8
		.amdhsa_user_sgpr_private_segment_buffer 1
		.amdhsa_user_sgpr_dispatch_ptr 0
		.amdhsa_user_sgpr_queue_ptr 0
		.amdhsa_user_sgpr_kernarg_segment_ptr 1
		.amdhsa_user_sgpr_dispatch_id 0
		.amdhsa_user_sgpr_flat_scratch_init 1
		.amdhsa_user_sgpr_kernarg_preload_length 0
		.amdhsa_user_sgpr_kernarg_preload_offset 0
		.amdhsa_user_sgpr_private_segment_size 0
		.amdhsa_uses_dynamic_stack 0
		.amdhsa_system_sgpr_private_segment_wavefront_offset 1
		.amdhsa_system_sgpr_workgroup_id_x 1
		.amdhsa_system_sgpr_workgroup_id_y 0
		.amdhsa_system_sgpr_workgroup_id_z 0
		.amdhsa_system_sgpr_workgroup_info 0
		.amdhsa_system_vgpr_workitem_id 0
		.amdhsa_next_free_vgpr 62
		.amdhsa_next_free_sgpr 20
		.amdhsa_accum_offset 64
		.amdhsa_reserve_vcc 1
		.amdhsa_reserve_flat_scratch 0
		.amdhsa_float_round_mode_32 0
		.amdhsa_float_round_mode_16_64 0
		.amdhsa_float_denorm_mode_32 3
		.amdhsa_float_denorm_mode_16_64 3
		.amdhsa_dx10_clamp 1
		.amdhsa_ieee_mode 1
		.amdhsa_fp16_overflow 0
		.amdhsa_tg_split 0
		.amdhsa_exception_fp_ieee_invalid_op 0
		.amdhsa_exception_fp_denorm_src 0
		.amdhsa_exception_fp_ieee_div_zero 0
		.amdhsa_exception_fp_ieee_overflow 0
		.amdhsa_exception_fp_ieee_underflow 0
		.amdhsa_exception_fp_ieee_inexact 0
		.amdhsa_exception_int_div_zero 0
	.end_amdhsa_kernel
	.section	.text._ZN9rocsolver6v33100L18trti2_kernel_smallILi17EdPdEEv13rocblas_fill_17rocblas_diagonal_T1_iil,"axG",@progbits,_ZN9rocsolver6v33100L18trti2_kernel_smallILi17EdPdEEv13rocblas_fill_17rocblas_diagonal_T1_iil,comdat
.Lfunc_end16:
	.size	_ZN9rocsolver6v33100L18trti2_kernel_smallILi17EdPdEEv13rocblas_fill_17rocblas_diagonal_T1_iil, .Lfunc_end16-_ZN9rocsolver6v33100L18trti2_kernel_smallILi17EdPdEEv13rocblas_fill_17rocblas_diagonal_T1_iil
                                        ; -- End function
	.section	.AMDGPU.csdata,"",@progbits
; Kernel info:
; codeLenInByte = 9648
; NumSgprs: 24
; NumVgprs: 62
; NumAgprs: 0
; TotalNumVgprs: 62
; ScratchSize: 144
; MemoryBound: 0
; FloatMode: 240
; IeeeMode: 1
; LDSByteSize: 280 bytes/workgroup (compile time only)
; SGPRBlocks: 2
; VGPRBlocks: 7
; NumSGPRsForWavesPerEU: 24
; NumVGPRsForWavesPerEU: 62
; AccumOffset: 64
; Occupancy: 8
; WaveLimiterHint : 0
; COMPUTE_PGM_RSRC2:SCRATCH_EN: 1
; COMPUTE_PGM_RSRC2:USER_SGPR: 8
; COMPUTE_PGM_RSRC2:TRAP_HANDLER: 0
; COMPUTE_PGM_RSRC2:TGID_X_EN: 1
; COMPUTE_PGM_RSRC2:TGID_Y_EN: 0
; COMPUTE_PGM_RSRC2:TGID_Z_EN: 0
; COMPUTE_PGM_RSRC2:TIDIG_COMP_CNT: 0
; COMPUTE_PGM_RSRC3_GFX90A:ACCUM_OFFSET: 15
; COMPUTE_PGM_RSRC3_GFX90A:TG_SPLIT: 0
	.section	.text._ZN9rocsolver6v33100L18trti2_kernel_smallILi18EdPdEEv13rocblas_fill_17rocblas_diagonal_T1_iil,"axG",@progbits,_ZN9rocsolver6v33100L18trti2_kernel_smallILi18EdPdEEv13rocblas_fill_17rocblas_diagonal_T1_iil,comdat
	.globl	_ZN9rocsolver6v33100L18trti2_kernel_smallILi18EdPdEEv13rocblas_fill_17rocblas_diagonal_T1_iil ; -- Begin function _ZN9rocsolver6v33100L18trti2_kernel_smallILi18EdPdEEv13rocblas_fill_17rocblas_diagonal_T1_iil
	.p2align	8
	.type	_ZN9rocsolver6v33100L18trti2_kernel_smallILi18EdPdEEv13rocblas_fill_17rocblas_diagonal_T1_iil,@function
_ZN9rocsolver6v33100L18trti2_kernel_smallILi18EdPdEEv13rocblas_fill_17rocblas_diagonal_T1_iil: ; @_ZN9rocsolver6v33100L18trti2_kernel_smallILi18EdPdEEv13rocblas_fill_17rocblas_diagonal_T1_iil
; %bb.0:
	s_add_u32 s0, s0, s9
	s_addc_u32 s1, s1, 0
	v_cmp_gt_u32_e32 vcc, 18, v0
	s_and_saveexec_b64 s[6:7], vcc
	s_cbranch_execz .LBB17_332
; %bb.1:
	s_load_dwordx8 s[12:19], s[4:5], 0x0
	s_ashr_i32 s6, s8, 31
	v_lshlrev_b32_e32 v1, 3, v0
	v_mov_b32_e32 v56, 0
	s_waitcnt lgkmcnt(0)
	s_mul_i32 s7, s8, s19
	s_mul_hi_u32 s9, s8, s18
	s_add_i32 s7, s9, s7
	s_mul_i32 s6, s6, s18
	s_add_i32 s7, s7, s6
	s_mul_i32 s6, s8, s18
	s_ashr_i32 s5, s16, 31
	s_lshl_b64 s[6:7], s[6:7], 3
	s_mov_b32 s4, s16
	s_add_u32 s6, s14, s6
	s_addc_u32 s7, s15, s7
	s_lshl_b64 s[4:5], s[4:5], 3
	s_add_u32 s4, s6, s4
	s_addc_u32 s5, s7, s5
	v_mov_b32_e32 v3, s5
	v_add_co_u32_e32 v2, vcc, s4, v1
	s_ashr_i32 s7, s17, 31
	s_mov_b32 s6, s17
	v_addc_co_u32_e32 v3, vcc, 0, v3, vcc
	s_lshl_b64 s[6:7], s[6:7], 3
	global_load_dwordx2 v[16:17], v1, s[4:5]
	v_mov_b32_e32 v5, s7
	v_add_co_u32_e32 v4, vcc, s6, v2
	v_addc_co_u32_e32 v5, vcc, v3, v5, vcc
	global_load_dwordx2 v[18:19], v[4:5], off
	s_add_i32 s6, s17, s17
	v_add_u32_e32 v6, s6, v0
	v_ashrrev_i32_e32 v7, 31, v6
	v_add_u32_e32 v8, s17, v6
	v_lshlrev_b64 v[6:7], 3, v[6:7]
	v_mov_b32_e32 v11, s5
	v_ashrrev_i32_e32 v9, 31, v8
	v_add_co_u32_e32 v6, vcc, s4, v6
	v_add_u32_e32 v10, s17, v8
	v_addc_co_u32_e32 v7, vcc, v11, v7, vcc
	v_lshlrev_b64 v[8:9], 3, v[8:9]
	v_mov_b32_e32 v13, s5
	v_ashrrev_i32_e32 v11, 31, v10
	v_add_co_u32_e32 v8, vcc, s4, v8
	v_add_u32_e32 v12, s17, v10
	v_addc_co_u32_e32 v9, vcc, v13, v9, vcc
	v_lshlrev_b64 v[10:11], 3, v[10:11]
	v_mov_b32_e32 v15, s5
	v_add_co_u32_e32 v10, vcc, s4, v10
	v_addc_co_u32_e32 v11, vcc, v15, v11, vcc
	global_load_dwordx2 v[38:39], v[6:7], off
	global_load_dwordx2 v[40:41], v[8:9], off
	;; [unrolled: 1-line block ×3, first 2 shown]
	v_add_u32_e32 v14, s17, v12
	v_add_u32_e32 v20, s17, v14
	v_add_u32_e32 v22, s17, v20
	v_add_u32_e32 v26, s17, v22
	v_add_u32_e32 v28, s17, v26
	v_add_u32_e32 v30, s17, v28
	v_add_u32_e32 v32, s17, v30
	v_add_u32_e32 v34, s17, v32
	v_add_u32_e32 v36, s17, v34
	v_add_u32_e32 v44, s17, v36
	v_ashrrev_i32_e32 v13, 31, v12
	v_ashrrev_i32_e32 v15, 31, v14
	v_add_u32_e32 v46, s17, v44
	v_lshlrev_b64 v[12:13], 3, v[12:13]
	v_lshlrev_b64 v[24:25], 3, v[14:15]
	v_add_u32_e32 v14, s17, v46
	v_mov_b32_e32 v21, s5
	v_add_co_u32_e32 v12, vcc, s4, v12
	v_ashrrev_i32_e32 v15, 31, v14
	v_addc_co_u32_e32 v13, vcc, v21, v13, vcc
	v_lshlrev_b64 v[14:15], 3, v[14:15]
	v_mov_b32_e32 v23, s5
	v_add_co_u32_e32 v14, vcc, s4, v14
	v_addc_co_u32_e32 v15, vcc, v23, v15, vcc
	v_mov_b32_e32 v27, s5
	global_load_dwordx2 v[48:49], v[14:15], off
	v_ashrrev_i32_e32 v21, 31, v20
	v_ashrrev_i32_e32 v23, 31, v22
	v_ashrrev_i32_e32 v29, 31, v28
	v_ashrrev_i32_e32 v31, 31, v30
	s_waitcnt vmcnt(5)
	buffer_store_dword v17, off, s[0:3], 0 offset:4
	buffer_store_dword v16, off, s[0:3], 0
	s_waitcnt vmcnt(6)
	buffer_store_dword v19, off, s[0:3], 0 offset:12
	buffer_store_dword v18, off, s[0:3], 0 offset:8
	v_add_co_u32_e32 v16, vcc, s4, v24
	v_addc_co_u32_e32 v17, vcc, v27, v25, vcc
	v_lshlrev_b64 v[18:19], 3, v[20:21]
	v_mov_b32_e32 v20, s5
	v_add_co_u32_e32 v18, vcc, s4, v18
	v_addc_co_u32_e32 v19, vcc, v20, v19, vcc
	v_lshlrev_b64 v[20:21], 3, v[22:23]
	v_mov_b32_e32 v22, s5
	v_add_co_u32_e32 v20, vcc, s4, v20
	v_ashrrev_i32_e32 v27, 31, v26
	v_addc_co_u32_e32 v21, vcc, v22, v21, vcc
	v_lshlrev_b64 v[22:23], 3, v[26:27]
	v_mov_b32_e32 v24, s5
	v_add_co_u32_e32 v22, vcc, s4, v22
	v_addc_co_u32_e32 v23, vcc, v24, v23, vcc
	v_lshlrev_b64 v[24:25], 3, v[28:29]
	v_mov_b32_e32 v26, s5
	v_add_co_u32_e32 v24, vcc, s4, v24
	;; [unrolled: 4-line block ×3, first 2 shown]
	v_ashrrev_i32_e32 v33, 31, v32
	v_addc_co_u32_e32 v27, vcc, v28, v27, vcc
	v_lshlrev_b64 v[28:29], 3, v[32:33]
	v_mov_b32_e32 v30, s5
	v_add_co_u32_e32 v28, vcc, s4, v28
	global_load_dwordx2 v[50:51], v[12:13], off
	global_load_dwordx2 v[52:53], v[16:17], off
	;; [unrolled: 1-line block ×4, first 2 shown]
	v_addc_co_u32_e32 v29, vcc, v30, v29, vcc
	global_load_dwordx2 v[60:61], v[22:23], off
	global_load_dwordx2 v[62:63], v[24:25], off
	;; [unrolled: 1-line block ×4, first 2 shown]
	v_ashrrev_i32_e32 v35, 31, v34
	v_lshlrev_b64 v[30:31], 3, v[34:35]
	v_mov_b32_e32 v32, s5
	v_add_co_u32_e32 v30, vcc, s4, v30
	v_ashrrev_i32_e32 v37, 31, v36
	v_addc_co_u32_e32 v31, vcc, v32, v31, vcc
	v_lshlrev_b64 v[32:33], 3, v[36:37]
	v_mov_b32_e32 v34, s5
	v_add_co_u32_e32 v32, vcc, s4, v32
	v_ashrrev_i32_e32 v45, 31, v44
	v_addc_co_u32_e32 v33, vcc, v34, v33, vcc
	v_lshlrev_b64 v[34:35], 3, v[44:45]
	v_mov_b32_e32 v36, s5
	v_add_co_u32_e32 v34, vcc, s4, v34
	v_ashrrev_i32_e32 v47, 31, v46
	global_load_dwordx2 v[68:69], v[30:31], off
	v_addc_co_u32_e32 v35, vcc, v36, v35, vcc
	v_lshlrev_b64 v[36:37], 3, v[46:47]
	v_mov_b32_e32 v44, s5
	v_add_co_u32_e32 v36, vcc, s4, v36
	v_addc_co_u32_e32 v37, vcc, v44, v37, vcc
	global_load_dwordx2 v[44:45], v[32:33], off
	global_load_dwordx2 v[46:47], v[34:35], off
	s_cmpk_lg_i32 s13, 0x84
	s_waitcnt vmcnt(18)
	buffer_store_dword v39, off, s[0:3], 0 offset:20
	buffer_store_dword v38, off, s[0:3], 0 offset:16
	global_load_dwordx2 v[38:39], v[36:37], off
	s_waitcnt vmcnt(20)
	buffer_store_dword v41, off, s[0:3], 0 offset:28
	buffer_store_dword v40, off, s[0:3], 0 offset:24
	s_waitcnt vmcnt(21)
	buffer_store_dword v43, off, s[0:3], 0 offset:36
	buffer_store_dword v42, off, s[0:3], 0 offset:32
	;; [unrolled: 3-line block ×14, first 2 shown]
	buffer_store_dword v48, off, s[0:3], 0 offset:136
	buffer_store_dword v49, off, s[0:3], 0 offset:140
	v_mov_b32_e32 v38, 0
	s_cselect_b64 s[8:9], -1, 0
	s_cmpk_eq_i32 s13, 0x84
	v_mov_b32_e32 v39, 0xbff00000
	s_cbranch_scc1 .LBB17_3
; %bb.2:
	v_lshl_add_u32 v48, v0, 3, v56
	buffer_load_dword v38, v48, s[0:3], 0 offen
	buffer_load_dword v39, v48, s[0:3], 0 offen offset:4
	s_waitcnt vmcnt(0)
	v_div_scale_f64 v[40:41], s[4:5], v[38:39], v[38:39], 1.0
	v_rcp_f64_e32 v[42:43], v[40:41]
	v_div_scale_f64 v[44:45], vcc, 1.0, v[38:39], 1.0
	v_fma_f64 v[46:47], -v[40:41], v[42:43], 1.0
	v_fmac_f64_e32 v[42:43], v[42:43], v[46:47]
	v_fma_f64 v[46:47], -v[40:41], v[42:43], 1.0
	v_fmac_f64_e32 v[42:43], v[42:43], v[46:47]
	v_mul_f64 v[46:47], v[44:45], v[42:43]
	v_fma_f64 v[40:41], -v[40:41], v[46:47], v[44:45]
	v_div_fmas_f64 v[40:41], v[40:41], v[42:43], v[46:47]
	v_div_fixup_f64 v[38:39], v[40:41], v[38:39], 1.0
	buffer_store_dword v38, v48, s[0:3], 0 offen
	buffer_store_dword v39, v48, s[0:3], 0 offen offset:4
	v_xor_b32_e32 v39, 0x80000000, v39
.LBB17_3:
	s_cmpk_eq_i32 s12, 0x79
	v_add_u32_e32 v40, 0x90, v1
	v_add_u32_e32 v41, 0, v1
	s_mov_b64 s[4:5], -1
	ds_write_b64 v1, v[38:39]
	s_cbranch_scc1 .LBB17_167
; %bb.4:
	buffer_load_dword v38, off, s[0:3], 0 offset:128
	buffer_load_dword v39, off, s[0:3], 0 offset:132
	v_cmp_eq_u32_e64 s[4:5], 17, v0
	s_waitcnt vmcnt(0)
	ds_write_b64 v40, v[38:39]
	s_waitcnt lgkmcnt(0)
	; wave barrier
	s_waitcnt lgkmcnt(0)
	s_and_saveexec_b64 s[6:7], s[4:5]
	s_cbranch_execz .LBB17_10
; %bb.5:
	s_and_b64 vcc, exec, s[8:9]
	s_cbranch_vccz .LBB17_7
; %bb.6:
	buffer_load_dword v38, v41, s[0:3], 0 offen
	buffer_load_dword v39, v41, s[0:3], 0 offen offset:4
	ds_read_b64 v[42:43], v40
	s_waitcnt vmcnt(0) lgkmcnt(0)
	v_mul_f64 v[38:39], v[38:39], v[42:43]
	s_cbranch_execz .LBB17_8
	s_branch .LBB17_9
.LBB17_7:
                                        ; implicit-def: $vgpr38_vgpr39
.LBB17_8:
	ds_read_b64 v[38:39], v40
.LBB17_9:
	v_mov_b32_e32 v42, 0
	ds_read_b64 v[42:43], v42 offset:128
	s_waitcnt lgkmcnt(0)
	v_mul_f64 v[38:39], v[38:39], v[42:43]
	buffer_store_dword v39, off, s[0:3], 0 offset:132
	buffer_store_dword v38, off, s[0:3], 0 offset:128
.LBB17_10:
	s_or_b64 exec, exec, s[6:7]
	buffer_load_dword v38, off, s[0:3], 0 offset:120
	buffer_load_dword v39, off, s[0:3], 0 offset:124
	v_or_b32_e32 v42, 8, v56
	v_add_u32_e32 v43, 16, v56
	v_add_u32_e32 v44, 24, v56
	;; [unrolled: 1-line block ×14, first 2 shown]
	v_cmp_lt_u32_e64 s[6:7], 15, v0
	s_waitcnt vmcnt(0)
	ds_write_b64 v40, v[38:39]
	s_waitcnt lgkmcnt(0)
	; wave barrier
	s_waitcnt lgkmcnt(0)
	s_and_saveexec_b64 s[10:11], s[6:7]
	s_cbranch_execz .LBB17_16
; %bb.11:
	s_andn2_b64 vcc, exec, s[8:9]
	s_cbranch_vccnz .LBB17_13
; %bb.12:
	buffer_load_dword v38, v41, s[0:3], 0 offen
	buffer_load_dword v39, v41, s[0:3], 0 offen offset:4
	ds_read_b64 v[58:59], v40
	s_waitcnt vmcnt(0) lgkmcnt(0)
	v_mul_f64 v[38:39], v[38:39], v[58:59]
	s_cbranch_execz .LBB17_14
	s_branch .LBB17_15
.LBB17_13:
                                        ; implicit-def: $vgpr38_vgpr39
.LBB17_14:
	ds_read_b64 v[38:39], v40
.LBB17_15:
	buffer_load_dword v62, off, s[0:3], 0 offset:128
	buffer_load_dword v63, off, s[0:3], 0 offset:132
	v_mov_b32_e32 v57, 0
	ds_read2_b64 v[58:61], v57 offset0:15 offset1:34
	s_waitcnt vmcnt(0) lgkmcnt(0)
	v_fma_f64 v[60:61], v[62:63], v[60:61], v[38:39]
	v_cndmask_b32_e64 v39, v39, v61, s[4:5]
	v_cndmask_b32_e64 v38, v38, v60, s[4:5]
	v_mul_f64 v[38:39], v[38:39], v[58:59]
	buffer_store_dword v39, off, s[0:3], 0 offset:124
	buffer_store_dword v38, off, s[0:3], 0 offset:120
.LBB17_16:
	s_or_b64 exec, exec, s[10:11]
	buffer_load_dword v38, off, s[0:3], 0 offset:112
	buffer_load_dword v39, off, s[0:3], 0 offset:116
	v_cmp_lt_u32_e64 s[4:5], 14, v0
	s_waitcnt vmcnt(0)
	ds_write_b64 v40, v[38:39]
	s_waitcnt lgkmcnt(0)
	; wave barrier
	s_waitcnt lgkmcnt(0)
	s_and_saveexec_b64 s[10:11], s[4:5]
	s_cbranch_execz .LBB17_26
; %bb.17:
	s_andn2_b64 vcc, exec, s[8:9]
	s_cbranch_vccnz .LBB17_19
; %bb.18:
	buffer_load_dword v38, v41, s[0:3], 0 offen
	buffer_load_dword v39, v41, s[0:3], 0 offen offset:4
	ds_read_b64 v[58:59], v40
	s_waitcnt vmcnt(0) lgkmcnt(0)
	v_mul_f64 v[38:39], v[38:39], v[58:59]
	s_cbranch_execz .LBB17_20
	s_branch .LBB17_21
.LBB17_19:
                                        ; implicit-def: $vgpr38_vgpr39
.LBB17_20:
	ds_read_b64 v[38:39], v40
.LBB17_21:
	s_and_saveexec_b64 s[12:13], s[6:7]
	s_cbranch_execz .LBB17_25
; %bb.22:
	v_add_u32_e32 v57, -15, v0
	s_movk_i32 s14, 0x108
	s_mov_b64 s[6:7], 0
.LBB17_23:                              ; =>This Inner Loop Header: Depth=1
	buffer_load_dword v58, v56, s[0:3], 0 offen
	buffer_load_dword v59, v56, s[0:3], 0 offen offset:4
	v_mov_b32_e32 v60, s14
	ds_read_b64 v[60:61], v60
	v_add_u32_e32 v57, -1, v57
	s_add_i32 s14, s14, 8
	v_cmp_eq_u32_e32 vcc, 0, v57
	v_add_u32_e32 v56, 8, v56
	s_or_b64 s[6:7], vcc, s[6:7]
	s_waitcnt vmcnt(0) lgkmcnt(0)
	v_fmac_f64_e32 v[38:39], v[58:59], v[60:61]
	s_andn2_b64 exec, exec, s[6:7]
	s_cbranch_execnz .LBB17_23
; %bb.24:
	s_or_b64 exec, exec, s[6:7]
.LBB17_25:
	s_or_b64 exec, exec, s[12:13]
	v_mov_b32_e32 v56, 0
	ds_read_b64 v[56:57], v56 offset:112
	s_waitcnt lgkmcnt(0)
	v_mul_f64 v[38:39], v[38:39], v[56:57]
	buffer_store_dword v39, off, s[0:3], 0 offset:116
	buffer_store_dword v38, off, s[0:3], 0 offset:112
.LBB17_26:
	s_or_b64 exec, exec, s[10:11]
	buffer_load_dword v38, off, s[0:3], 0 offset:104
	buffer_load_dword v39, off, s[0:3], 0 offset:108
	v_cmp_lt_u32_e64 s[6:7], 13, v0
	s_waitcnt vmcnt(0)
	ds_write_b64 v40, v[38:39]
	s_waitcnt lgkmcnt(0)
	; wave barrier
	s_waitcnt lgkmcnt(0)
	s_and_saveexec_b64 s[10:11], s[6:7]
	s_cbranch_execz .LBB17_36
; %bb.27:
	s_andn2_b64 vcc, exec, s[8:9]
	s_cbranch_vccnz .LBB17_29
; %bb.28:
	buffer_load_dword v38, v41, s[0:3], 0 offen
	buffer_load_dword v39, v41, s[0:3], 0 offen offset:4
	ds_read_b64 v[56:57], v40
	s_waitcnt vmcnt(0) lgkmcnt(0)
	v_mul_f64 v[38:39], v[38:39], v[56:57]
	s_cbranch_execz .LBB17_30
	s_branch .LBB17_31
.LBB17_29:
                                        ; implicit-def: $vgpr38_vgpr39
.LBB17_30:
	ds_read_b64 v[38:39], v40
.LBB17_31:
	s_and_saveexec_b64 s[12:13], s[4:5]
	s_cbranch_execz .LBB17_35
; %bb.32:
	v_add_u32_e32 v56, -14, v0
	s_movk_i32 s14, 0x100
	s_mov_b64 s[4:5], 0
.LBB17_33:                              ; =>This Inner Loop Header: Depth=1
	buffer_load_dword v58, v55, s[0:3], 0 offen
	buffer_load_dword v59, v55, s[0:3], 0 offen offset:4
	v_mov_b32_e32 v57, s14
	ds_read_b64 v[60:61], v57
	v_add_u32_e32 v56, -1, v56
	s_add_i32 s14, s14, 8
	v_cmp_eq_u32_e32 vcc, 0, v56
	v_add_u32_e32 v55, 8, v55
	s_or_b64 s[4:5], vcc, s[4:5]
	s_waitcnt vmcnt(0) lgkmcnt(0)
	v_fmac_f64_e32 v[38:39], v[58:59], v[60:61]
	s_andn2_b64 exec, exec, s[4:5]
	s_cbranch_execnz .LBB17_33
; %bb.34:
	s_or_b64 exec, exec, s[4:5]
.LBB17_35:
	s_or_b64 exec, exec, s[12:13]
	v_mov_b32_e32 v55, 0
	ds_read_b64 v[56:57], v55 offset:104
	s_waitcnt lgkmcnt(0)
	v_mul_f64 v[38:39], v[38:39], v[56:57]
	buffer_store_dword v39, off, s[0:3], 0 offset:108
	buffer_store_dword v38, off, s[0:3], 0 offset:104
.LBB17_36:
	;; [unrolled: 58-line block ×8, first 2 shown]
	s_or_b64 exec, exec, s[10:11]
	buffer_load_dword v38, off, s[0:3], 0 offset:48
	buffer_load_dword v39, off, s[0:3], 0 offset:52
	v_cmp_lt_u32_e64 s[4:5], 6, v0
	s_waitcnt vmcnt(0)
	ds_write_b64 v40, v[38:39]
	s_waitcnt lgkmcnt(0)
	; wave barrier
	s_waitcnt lgkmcnt(0)
	s_and_saveexec_b64 s[10:11], s[4:5]
	s_cbranch_execz .LBB17_106
; %bb.97:
	s_andn2_b64 vcc, exec, s[8:9]
	s_cbranch_vccnz .LBB17_99
; %bb.98:
	buffer_load_dword v38, v41, s[0:3], 0 offen
	buffer_load_dword v39, v41, s[0:3], 0 offen offset:4
	ds_read_b64 v[50:51], v40
	s_waitcnt vmcnt(0) lgkmcnt(0)
	v_mul_f64 v[38:39], v[38:39], v[50:51]
	s_cbranch_execz .LBB17_100
	s_branch .LBB17_101
.LBB17_99:
                                        ; implicit-def: $vgpr38_vgpr39
.LBB17_100:
	ds_read_b64 v[38:39], v40
.LBB17_101:
	s_and_saveexec_b64 s[12:13], s[6:7]
	s_cbranch_execz .LBB17_105
; %bb.102:
	v_add_u32_e32 v49, -7, v0
	s_movk_i32 s14, 0xc8
	s_mov_b64 s[6:7], 0
.LBB17_103:                             ; =>This Inner Loop Header: Depth=1
	buffer_load_dword v50, v48, s[0:3], 0 offen
	buffer_load_dword v51, v48, s[0:3], 0 offen offset:4
	v_mov_b32_e32 v52, s14
	ds_read_b64 v[52:53], v52
	v_add_u32_e32 v49, -1, v49
	s_add_i32 s14, s14, 8
	v_cmp_eq_u32_e32 vcc, 0, v49
	v_add_u32_e32 v48, 8, v48
	s_or_b64 s[6:7], vcc, s[6:7]
	s_waitcnt vmcnt(0) lgkmcnt(0)
	v_fmac_f64_e32 v[38:39], v[50:51], v[52:53]
	s_andn2_b64 exec, exec, s[6:7]
	s_cbranch_execnz .LBB17_103
; %bb.104:
	s_or_b64 exec, exec, s[6:7]
.LBB17_105:
	s_or_b64 exec, exec, s[12:13]
	v_mov_b32_e32 v48, 0
	ds_read_b64 v[48:49], v48 offset:48
	s_waitcnt lgkmcnt(0)
	v_mul_f64 v[38:39], v[38:39], v[48:49]
	buffer_store_dword v39, off, s[0:3], 0 offset:52
	buffer_store_dword v38, off, s[0:3], 0 offset:48
.LBB17_106:
	s_or_b64 exec, exec, s[10:11]
	buffer_load_dword v38, off, s[0:3], 0 offset:40
	buffer_load_dword v39, off, s[0:3], 0 offset:44
	v_cmp_lt_u32_e64 s[6:7], 5, v0
	s_waitcnt vmcnt(0)
	ds_write_b64 v40, v[38:39]
	s_waitcnt lgkmcnt(0)
	; wave barrier
	s_waitcnt lgkmcnt(0)
	s_and_saveexec_b64 s[10:11], s[6:7]
	s_cbranch_execz .LBB17_116
; %bb.107:
	s_andn2_b64 vcc, exec, s[8:9]
	s_cbranch_vccnz .LBB17_109
; %bb.108:
	buffer_load_dword v38, v41, s[0:3], 0 offen
	buffer_load_dword v39, v41, s[0:3], 0 offen offset:4
	ds_read_b64 v[48:49], v40
	s_waitcnt vmcnt(0) lgkmcnt(0)
	v_mul_f64 v[38:39], v[38:39], v[48:49]
	s_cbranch_execz .LBB17_110
	s_branch .LBB17_111
.LBB17_109:
                                        ; implicit-def: $vgpr38_vgpr39
.LBB17_110:
	ds_read_b64 v[38:39], v40
.LBB17_111:
	s_and_saveexec_b64 s[12:13], s[4:5]
	s_cbranch_execz .LBB17_115
; %bb.112:
	v_add_u32_e32 v48, -6, v0
	s_movk_i32 s14, 0xc0
	s_mov_b64 s[4:5], 0
.LBB17_113:                             ; =>This Inner Loop Header: Depth=1
	buffer_load_dword v50, v47, s[0:3], 0 offen
	buffer_load_dword v51, v47, s[0:3], 0 offen offset:4
	v_mov_b32_e32 v49, s14
	ds_read_b64 v[52:53], v49
	v_add_u32_e32 v48, -1, v48
	s_add_i32 s14, s14, 8
	v_cmp_eq_u32_e32 vcc, 0, v48
	v_add_u32_e32 v47, 8, v47
	s_or_b64 s[4:5], vcc, s[4:5]
	s_waitcnt vmcnt(0) lgkmcnt(0)
	v_fmac_f64_e32 v[38:39], v[50:51], v[52:53]
	s_andn2_b64 exec, exec, s[4:5]
	s_cbranch_execnz .LBB17_113
; %bb.114:
	s_or_b64 exec, exec, s[4:5]
.LBB17_115:
	s_or_b64 exec, exec, s[12:13]
	v_mov_b32_e32 v47, 0
	ds_read_b64 v[48:49], v47 offset:40
	s_waitcnt lgkmcnt(0)
	v_mul_f64 v[38:39], v[38:39], v[48:49]
	buffer_store_dword v39, off, s[0:3], 0 offset:44
	buffer_store_dword v38, off, s[0:3], 0 offset:40
.LBB17_116:
	;; [unrolled: 58-line block ×6, first 2 shown]
	s_or_b64 exec, exec, s[10:11]
	buffer_load_dword v38, off, s[0:3], 0
	buffer_load_dword v39, off, s[0:3], 0 offset:4
	v_cmp_ne_u32_e32 vcc, 0, v0
	s_waitcnt vmcnt(0)
	ds_write_b64 v40, v[38:39]
	s_waitcnt lgkmcnt(0)
	; wave barrier
	s_waitcnt lgkmcnt(0)
	s_and_saveexec_b64 s[4:5], vcc
	s_cbranch_execz .LBB17_166
; %bb.157:
	s_andn2_b64 vcc, exec, s[8:9]
	s_cbranch_vccnz .LBB17_159
; %bb.158:
	buffer_load_dword v38, v41, s[0:3], 0 offen
	buffer_load_dword v39, v41, s[0:3], 0 offen offset:4
	ds_read_b64 v[44:45], v40
	s_waitcnt vmcnt(0) lgkmcnt(0)
	v_mul_f64 v[38:39], v[38:39], v[44:45]
	s_cbranch_execz .LBB17_160
	s_branch .LBB17_161
.LBB17_159:
                                        ; implicit-def: $vgpr38_vgpr39
.LBB17_160:
	ds_read_b64 v[38:39], v40
.LBB17_161:
	s_and_saveexec_b64 s[10:11], s[6:7]
	s_cbranch_execz .LBB17_165
; %bb.162:
	v_add_u32_e32 v43, -1, v0
	s_movk_i32 s12, 0x98
	s_mov_b64 s[6:7], 0
.LBB17_163:                             ; =>This Inner Loop Header: Depth=1
	buffer_load_dword v44, v42, s[0:3], 0 offen
	buffer_load_dword v45, v42, s[0:3], 0 offen offset:4
	v_mov_b32_e32 v46, s12
	ds_read_b64 v[46:47], v46
	v_add_u32_e32 v43, -1, v43
	s_add_i32 s12, s12, 8
	v_cmp_eq_u32_e32 vcc, 0, v43
	v_add_u32_e32 v42, 8, v42
	s_or_b64 s[6:7], vcc, s[6:7]
	s_waitcnt vmcnt(0) lgkmcnt(0)
	v_fmac_f64_e32 v[38:39], v[44:45], v[46:47]
	s_andn2_b64 exec, exec, s[6:7]
	s_cbranch_execnz .LBB17_163
; %bb.164:
	s_or_b64 exec, exec, s[6:7]
.LBB17_165:
	s_or_b64 exec, exec, s[10:11]
	v_mov_b32_e32 v42, 0
	ds_read_b64 v[42:43], v42
	s_waitcnt lgkmcnt(0)
	v_mul_f64 v[38:39], v[38:39], v[42:43]
	buffer_store_dword v39, off, s[0:3], 0 offset:4
	buffer_store_dword v38, off, s[0:3], 0
.LBB17_166:
	s_or_b64 exec, exec, s[4:5]
	s_mov_b64 s[4:5], 0
.LBB17_167:
	s_and_b64 vcc, exec, s[4:5]
	s_cbranch_vccz .LBB17_331
; %bb.168:
	buffer_load_dword v38, off, s[0:3], 0 offset:8
	buffer_load_dword v39, off, s[0:3], 0 offset:12
	v_cmp_eq_u32_e64 s[6:7], 0, v0
	s_waitcnt vmcnt(0)
	ds_write_b64 v40, v[38:39]
	s_waitcnt lgkmcnt(0)
	; wave barrier
	s_waitcnt lgkmcnt(0)
	s_and_saveexec_b64 s[4:5], s[6:7]
	s_cbranch_execz .LBB17_174
; %bb.169:
	s_and_b64 vcc, exec, s[8:9]
	s_cbranch_vccz .LBB17_171
; %bb.170:
	buffer_load_dword v38, v41, s[0:3], 0 offen
	buffer_load_dword v39, v41, s[0:3], 0 offen offset:4
	ds_read_b64 v[42:43], v40
	s_waitcnt vmcnt(0) lgkmcnt(0)
	v_mul_f64 v[38:39], v[38:39], v[42:43]
	s_cbranch_execz .LBB17_172
	s_branch .LBB17_173
.LBB17_171:
                                        ; implicit-def: $vgpr38_vgpr39
.LBB17_172:
	ds_read_b64 v[38:39], v40
.LBB17_173:
	v_mov_b32_e32 v42, 0
	ds_read_b64 v[42:43], v42 offset:8
	s_waitcnt lgkmcnt(0)
	v_mul_f64 v[38:39], v[38:39], v[42:43]
	buffer_store_dword v39, off, s[0:3], 0 offset:12
	buffer_store_dword v38, off, s[0:3], 0 offset:8
.LBB17_174:
	s_or_b64 exec, exec, s[4:5]
	buffer_load_dword v38, off, s[0:3], 0 offset:16
	buffer_load_dword v39, off, s[0:3], 0 offset:20
	v_cndmask_b32_e64 v42, 0, 1, s[8:9]
	v_cmp_gt_u32_e32 vcc, 2, v0
	v_cmp_ne_u32_e64 s[4:5], 1, v42
	s_waitcnt vmcnt(0)
	ds_write_b64 v40, v[38:39]
	s_waitcnt lgkmcnt(0)
	; wave barrier
	s_waitcnt lgkmcnt(0)
	s_and_saveexec_b64 s[8:9], vcc
	s_cbranch_execz .LBB17_182
; %bb.175:
	s_and_b64 vcc, exec, s[4:5]
	s_cbranch_vccnz .LBB17_177
; %bb.176:
	buffer_load_dword v38, v41, s[0:3], 0 offen
	buffer_load_dword v39, v41, s[0:3], 0 offen offset:4
	ds_read_b64 v[42:43], v40
	s_waitcnt vmcnt(0) lgkmcnt(0)
	v_mul_f64 v[38:39], v[38:39], v[42:43]
	s_cbranch_execz .LBB17_178
	s_branch .LBB17_179
.LBB17_177:
                                        ; implicit-def: $vgpr38_vgpr39
.LBB17_178:
	ds_read_b64 v[38:39], v40
.LBB17_179:
	s_and_saveexec_b64 s[10:11], s[6:7]
	s_cbranch_execz .LBB17_181
; %bb.180:
	buffer_load_dword v42, v41, s[0:3], 0 offen offset:8
	buffer_load_dword v43, v41, s[0:3], 0 offen offset:12
	ds_read_b64 v[44:45], v40 offset:8
	s_waitcnt vmcnt(0) lgkmcnt(0)
	v_fmac_f64_e32 v[38:39], v[42:43], v[44:45]
.LBB17_181:
	s_or_b64 exec, exec, s[10:11]
	v_mov_b32_e32 v42, 0
	ds_read_b64 v[42:43], v42 offset:16
	s_waitcnt lgkmcnt(0)
	v_mul_f64 v[38:39], v[38:39], v[42:43]
	buffer_store_dword v39, off, s[0:3], 0 offset:20
	buffer_store_dword v38, off, s[0:3], 0 offset:16
.LBB17_182:
	s_or_b64 exec, exec, s[8:9]
	buffer_load_dword v38, off, s[0:3], 0 offset:24
	buffer_load_dword v39, off, s[0:3], 0 offset:28
	v_cmp_gt_u32_e32 vcc, 3, v0
	s_waitcnt vmcnt(0)
	ds_write_b64 v40, v[38:39]
	s_waitcnt lgkmcnt(0)
	; wave barrier
	s_waitcnt lgkmcnt(0)
	s_and_saveexec_b64 s[8:9], vcc
	s_cbranch_execz .LBB17_190
; %bb.183:
	s_and_b64 vcc, exec, s[4:5]
	s_cbranch_vccnz .LBB17_185
; %bb.184:
	buffer_load_dword v38, v41, s[0:3], 0 offen
	buffer_load_dword v39, v41, s[0:3], 0 offen offset:4
	ds_read_b64 v[42:43], v40
	s_waitcnt vmcnt(0) lgkmcnt(0)
	v_mul_f64 v[38:39], v[38:39], v[42:43]
	s_cbranch_execz .LBB17_186
	s_branch .LBB17_187
.LBB17_185:
                                        ; implicit-def: $vgpr38_vgpr39
.LBB17_186:
	ds_read_b64 v[38:39], v40
.LBB17_187:
	v_cmp_ne_u32_e32 vcc, 2, v0
	s_and_saveexec_b64 s[10:11], vcc
	s_cbranch_execz .LBB17_189
; %bb.188:
	buffer_load_dword v43, v41, s[0:3], 0 offen offset:12
	buffer_load_dword v44, off, s[0:3], 0 offset:16
	buffer_load_dword v42, v41, s[0:3], 0 offen offset:8
	buffer_load_dword v45, off, s[0:3], 0 offset:20
	v_mov_b32_e32 v48, 0
	ds_read_b64 v[46:47], v40 offset:8
	ds_read_b64 v[48:49], v48 offset:160
	s_waitcnt vmcnt(1) lgkmcnt(1)
	v_fmac_f64_e32 v[38:39], v[42:43], v[46:47]
	s_waitcnt vmcnt(0) lgkmcnt(0)
	v_fma_f64 v[42:43], v[44:45], v[48:49], v[38:39]
	v_cndmask_b32_e64 v39, v39, v43, s[6:7]
	v_cndmask_b32_e64 v38, v38, v42, s[6:7]
.LBB17_189:
	s_or_b64 exec, exec, s[10:11]
	v_mov_b32_e32 v42, 0
	ds_read_b64 v[42:43], v42 offset:24
	s_waitcnt lgkmcnt(0)
	v_mul_f64 v[38:39], v[38:39], v[42:43]
	buffer_store_dword v39, off, s[0:3], 0 offset:28
	buffer_store_dword v38, off, s[0:3], 0 offset:24
.LBB17_190:
	s_or_b64 exec, exec, s[8:9]
	buffer_load_dword v38, off, s[0:3], 0 offset:32
	buffer_load_dword v39, off, s[0:3], 0 offset:36
	v_cmp_gt_u32_e32 vcc, 4, v0
	s_waitcnt vmcnt(0)
	ds_write_b64 v40, v[38:39]
	s_waitcnt lgkmcnt(0)
	; wave barrier
	s_waitcnt lgkmcnt(0)
	s_and_saveexec_b64 s[6:7], vcc
	s_cbranch_execz .LBB17_200
; %bb.191:
	s_and_b64 vcc, exec, s[4:5]
	s_cbranch_vccnz .LBB17_193
; %bb.192:
	buffer_load_dword v38, v41, s[0:3], 0 offen
	buffer_load_dword v39, v41, s[0:3], 0 offen offset:4
	ds_read_b64 v[42:43], v40
	s_waitcnt vmcnt(0) lgkmcnt(0)
	v_mul_f64 v[38:39], v[38:39], v[42:43]
	s_cbranch_execz .LBB17_194
	s_branch .LBB17_195
.LBB17_193:
                                        ; implicit-def: $vgpr38_vgpr39
.LBB17_194:
	ds_read_b64 v[38:39], v40
.LBB17_195:
	v_cmp_ne_u32_e32 vcc, 3, v0
	s_and_saveexec_b64 s[8:9], vcc
	s_cbranch_execz .LBB17_199
; %bb.196:
	v_mov_b32_e32 v43, 0
	v_add_u32_e32 v42, 0x98, v1
	v_add3_u32 v43, v1, v43, 8
	s_mov_b64 s[10:11], 0
	v_mov_b32_e32 v44, v0
.LBB17_197:                             ; =>This Inner Loop Header: Depth=1
	buffer_load_dword v46, v43, s[0:3], 0 offen
	buffer_load_dword v47, v43, s[0:3], 0 offen offset:4
	ds_read_b64 v[48:49], v42
	v_add_u32_e32 v44, 1, v44
	v_cmp_lt_u32_e32 vcc, 2, v44
	v_add_u32_e32 v42, 8, v42
	v_add_u32_e32 v43, 8, v43
	s_or_b64 s[10:11], vcc, s[10:11]
	s_waitcnt vmcnt(0) lgkmcnt(0)
	v_fmac_f64_e32 v[38:39], v[46:47], v[48:49]
	s_andn2_b64 exec, exec, s[10:11]
	s_cbranch_execnz .LBB17_197
; %bb.198:
	s_or_b64 exec, exec, s[10:11]
.LBB17_199:
	s_or_b64 exec, exec, s[8:9]
	v_mov_b32_e32 v42, 0
	ds_read_b64 v[42:43], v42 offset:32
	s_waitcnt lgkmcnt(0)
	v_mul_f64 v[38:39], v[38:39], v[42:43]
	buffer_store_dword v39, off, s[0:3], 0 offset:36
	buffer_store_dword v38, off, s[0:3], 0 offset:32
.LBB17_200:
	s_or_b64 exec, exec, s[6:7]
	buffer_load_dword v38, off, s[0:3], 0 offset:40
	buffer_load_dword v39, off, s[0:3], 0 offset:44
	v_cmp_gt_u32_e32 vcc, 5, v0
	s_waitcnt vmcnt(0)
	ds_write_b64 v40, v[38:39]
	s_waitcnt lgkmcnt(0)
	; wave barrier
	s_waitcnt lgkmcnt(0)
	s_and_saveexec_b64 s[6:7], vcc
	s_cbranch_execz .LBB17_210
; %bb.201:
	s_and_b64 vcc, exec, s[4:5]
	s_cbranch_vccnz .LBB17_203
; %bb.202:
	buffer_load_dword v38, v41, s[0:3], 0 offen
	buffer_load_dword v39, v41, s[0:3], 0 offen offset:4
	ds_read_b64 v[42:43], v40
	s_waitcnt vmcnt(0) lgkmcnt(0)
	v_mul_f64 v[38:39], v[38:39], v[42:43]
	s_cbranch_execz .LBB17_204
	s_branch .LBB17_205
.LBB17_203:
                                        ; implicit-def: $vgpr38_vgpr39
.LBB17_204:
	ds_read_b64 v[38:39], v40
.LBB17_205:
	v_cmp_ne_u32_e32 vcc, 4, v0
	s_and_saveexec_b64 s[8:9], vcc
	s_cbranch_execz .LBB17_209
; %bb.206:
	v_mov_b32_e32 v43, 0
	v_add_u32_e32 v42, 0x98, v1
	v_add3_u32 v43, v1, v43, 8
	s_mov_b64 s[10:11], 0
	v_mov_b32_e32 v44, v0
.LBB17_207:                             ; =>This Inner Loop Header: Depth=1
	buffer_load_dword v46, v43, s[0:3], 0 offen
	buffer_load_dword v47, v43, s[0:3], 0 offen offset:4
	ds_read_b64 v[48:49], v42
	v_add_u32_e32 v44, 1, v44
	v_cmp_lt_u32_e32 vcc, 3, v44
	v_add_u32_e32 v42, 8, v42
	v_add_u32_e32 v43, 8, v43
	s_or_b64 s[10:11], vcc, s[10:11]
	s_waitcnt vmcnt(0) lgkmcnt(0)
	v_fmac_f64_e32 v[38:39], v[46:47], v[48:49]
	s_andn2_b64 exec, exec, s[10:11]
	s_cbranch_execnz .LBB17_207
; %bb.208:
	s_or_b64 exec, exec, s[10:11]
.LBB17_209:
	s_or_b64 exec, exec, s[8:9]
	v_mov_b32_e32 v42, 0
	ds_read_b64 v[42:43], v42 offset:40
	s_waitcnt lgkmcnt(0)
	v_mul_f64 v[38:39], v[38:39], v[42:43]
	buffer_store_dword v39, off, s[0:3], 0 offset:44
	buffer_store_dword v38, off, s[0:3], 0 offset:40
.LBB17_210:
	;; [unrolled: 60-line block ×12, first 2 shown]
	s_or_b64 exec, exec, s[6:7]
	buffer_load_dword v38, off, s[0:3], 0 offset:128
	buffer_load_dword v39, off, s[0:3], 0 offset:132
	v_cmp_gt_u32_e64 s[6:7], 16, v0
	s_waitcnt vmcnt(0)
	ds_write_b64 v40, v[38:39]
	s_waitcnt lgkmcnt(0)
	; wave barrier
	s_waitcnt lgkmcnt(0)
	s_and_saveexec_b64 s[8:9], s[6:7]
	s_cbranch_execz .LBB17_320
; %bb.311:
	s_and_b64 vcc, exec, s[4:5]
	s_cbranch_vccnz .LBB17_313
; %bb.312:
	buffer_load_dword v38, v41, s[0:3], 0 offen
	buffer_load_dword v39, v41, s[0:3], 0 offen offset:4
	ds_read_b64 v[42:43], v40
	s_waitcnt vmcnt(0) lgkmcnt(0)
	v_mul_f64 v[38:39], v[38:39], v[42:43]
	s_cbranch_execz .LBB17_314
	s_branch .LBB17_315
.LBB17_313:
                                        ; implicit-def: $vgpr38_vgpr39
.LBB17_314:
	ds_read_b64 v[38:39], v40
.LBB17_315:
	v_cmp_ne_u32_e32 vcc, 15, v0
	s_and_saveexec_b64 s[10:11], vcc
	s_cbranch_execz .LBB17_319
; %bb.316:
	v_mov_b32_e32 v43, 0
	v_add_u32_e32 v42, 0x98, v1
	v_add3_u32 v43, v1, v43, 8
	s_mov_b64 s[12:13], 0
	v_mov_b32_e32 v44, v0
.LBB17_317:                             ; =>This Inner Loop Header: Depth=1
	buffer_load_dword v46, v43, s[0:3], 0 offen
	buffer_load_dword v47, v43, s[0:3], 0 offen offset:4
	ds_read_b64 v[48:49], v42
	v_add_u32_e32 v44, 1, v44
	v_cmp_lt_u32_e32 vcc, 14, v44
	v_add_u32_e32 v42, 8, v42
	v_add_u32_e32 v43, 8, v43
	s_or_b64 s[12:13], vcc, s[12:13]
	s_waitcnt vmcnt(0) lgkmcnt(0)
	v_fmac_f64_e32 v[38:39], v[46:47], v[48:49]
	s_andn2_b64 exec, exec, s[12:13]
	s_cbranch_execnz .LBB17_317
; %bb.318:
	s_or_b64 exec, exec, s[12:13]
.LBB17_319:
	s_or_b64 exec, exec, s[10:11]
	v_mov_b32_e32 v42, 0
	ds_read_b64 v[42:43], v42 offset:128
	s_waitcnt lgkmcnt(0)
	v_mul_f64 v[38:39], v[38:39], v[42:43]
	buffer_store_dword v39, off, s[0:3], 0 offset:132
	buffer_store_dword v38, off, s[0:3], 0 offset:128
.LBB17_320:
	s_or_b64 exec, exec, s[8:9]
	buffer_load_dword v38, off, s[0:3], 0 offset:136
	buffer_load_dword v39, off, s[0:3], 0 offset:140
	v_cmp_ne_u32_e32 vcc, 17, v0
	s_waitcnt vmcnt(0)
	ds_write_b64 v40, v[38:39]
	s_waitcnt lgkmcnt(0)
	; wave barrier
	s_waitcnt lgkmcnt(0)
	s_and_saveexec_b64 s[8:9], vcc
	s_cbranch_execz .LBB17_330
; %bb.321:
	s_and_b64 vcc, exec, s[4:5]
	s_cbranch_vccnz .LBB17_323
; %bb.322:
	buffer_load_dword v38, v41, s[0:3], 0 offen
	buffer_load_dword v39, v41, s[0:3], 0 offen offset:4
	ds_read_b64 v[42:43], v40
	s_waitcnt vmcnt(0) lgkmcnt(0)
	v_mul_f64 v[38:39], v[38:39], v[42:43]
	s_cbranch_execz .LBB17_324
	s_branch .LBB17_325
.LBB17_323:
                                        ; implicit-def: $vgpr38_vgpr39
.LBB17_324:
	ds_read_b64 v[38:39], v40
.LBB17_325:
	s_and_saveexec_b64 s[4:5], s[6:7]
	s_cbranch_execz .LBB17_329
; %bb.326:
	v_mov_b32_e32 v41, 0
	v_add_u32_e32 v40, 0x98, v1
	v_add3_u32 v1, v1, v41, 8
	s_mov_b64 s[6:7], 0
.LBB17_327:                             ; =>This Inner Loop Header: Depth=1
	buffer_load_dword v42, v1, s[0:3], 0 offen
	buffer_load_dword v43, v1, s[0:3], 0 offen offset:4
	ds_read_b64 v[44:45], v40
	v_add_u32_e32 v0, 1, v0
	v_cmp_lt_u32_e32 vcc, 15, v0
	v_add_u32_e32 v40, 8, v40
	v_add_u32_e32 v1, 8, v1
	s_or_b64 s[6:7], vcc, s[6:7]
	s_waitcnt vmcnt(0) lgkmcnt(0)
	v_fmac_f64_e32 v[38:39], v[42:43], v[44:45]
	s_andn2_b64 exec, exec, s[6:7]
	s_cbranch_execnz .LBB17_327
; %bb.328:
	s_or_b64 exec, exec, s[6:7]
.LBB17_329:
	s_or_b64 exec, exec, s[4:5]
	v_mov_b32_e32 v0, 0
	ds_read_b64 v[0:1], v0 offset:136
	s_waitcnt lgkmcnt(0)
	v_mul_f64 v[0:1], v[38:39], v[0:1]
	buffer_store_dword v1, off, s[0:3], 0 offset:140
	buffer_store_dword v0, off, s[0:3], 0 offset:136
.LBB17_330:
	s_or_b64 exec, exec, s[8:9]
.LBB17_331:
	buffer_load_dword v0, off, s[0:3], 0
	buffer_load_dword v1, off, s[0:3], 0 offset:4
	buffer_load_dword v38, off, s[0:3], 0 offset:8
	;; [unrolled: 1-line block ×35, first 2 shown]
	s_waitcnt vmcnt(34)
	global_store_dwordx2 v[2:3], v[0:1], off
	s_waitcnt vmcnt(33)
	global_store_dwordx2 v[4:5], v[38:39], off
	;; [unrolled: 2-line block ×9, first 2 shown]
	global_store_dwordx2 v[22:23], v[52:53], off
	global_store_dwordx2 v[24:25], v[54:55], off
	;; [unrolled: 1-line block ×3, first 2 shown]
	s_waitcnt vmcnt(22)
	global_store_dwordx2 v[28:29], v[60:61], off
	s_waitcnt vmcnt(21)
	global_store_dwordx2 v[30:31], v[62:63], off
	;; [unrolled: 2-line block ×6, first 2 shown]
.LBB17_332:
	s_endpgm
	.section	.rodata,"a",@progbits
	.p2align	6, 0x0
	.amdhsa_kernel _ZN9rocsolver6v33100L18trti2_kernel_smallILi18EdPdEEv13rocblas_fill_17rocblas_diagonal_T1_iil
		.amdhsa_group_segment_fixed_size 288
		.amdhsa_private_segment_fixed_size 160
		.amdhsa_kernarg_size 32
		.amdhsa_user_sgpr_count 8
		.amdhsa_user_sgpr_private_segment_buffer 1
		.amdhsa_user_sgpr_dispatch_ptr 0
		.amdhsa_user_sgpr_queue_ptr 0
		.amdhsa_user_sgpr_kernarg_segment_ptr 1
		.amdhsa_user_sgpr_dispatch_id 0
		.amdhsa_user_sgpr_flat_scratch_init 1
		.amdhsa_user_sgpr_kernarg_preload_length 0
		.amdhsa_user_sgpr_kernarg_preload_offset 0
		.amdhsa_user_sgpr_private_segment_size 0
		.amdhsa_uses_dynamic_stack 0
		.amdhsa_system_sgpr_private_segment_wavefront_offset 1
		.amdhsa_system_sgpr_workgroup_id_x 1
		.amdhsa_system_sgpr_workgroup_id_y 0
		.amdhsa_system_sgpr_workgroup_id_z 0
		.amdhsa_system_sgpr_workgroup_info 0
		.amdhsa_system_vgpr_workitem_id 0
		.amdhsa_next_free_vgpr 72
		.amdhsa_next_free_sgpr 20
		.amdhsa_accum_offset 72
		.amdhsa_reserve_vcc 1
		.amdhsa_reserve_flat_scratch 0
		.amdhsa_float_round_mode_32 0
		.amdhsa_float_round_mode_16_64 0
		.amdhsa_float_denorm_mode_32 3
		.amdhsa_float_denorm_mode_16_64 3
		.amdhsa_dx10_clamp 1
		.amdhsa_ieee_mode 1
		.amdhsa_fp16_overflow 0
		.amdhsa_tg_split 0
		.amdhsa_exception_fp_ieee_invalid_op 0
		.amdhsa_exception_fp_denorm_src 0
		.amdhsa_exception_fp_ieee_div_zero 0
		.amdhsa_exception_fp_ieee_overflow 0
		.amdhsa_exception_fp_ieee_underflow 0
		.amdhsa_exception_fp_ieee_inexact 0
		.amdhsa_exception_int_div_zero 0
	.end_amdhsa_kernel
	.section	.text._ZN9rocsolver6v33100L18trti2_kernel_smallILi18EdPdEEv13rocblas_fill_17rocblas_diagonal_T1_iil,"axG",@progbits,_ZN9rocsolver6v33100L18trti2_kernel_smallILi18EdPdEEv13rocblas_fill_17rocblas_diagonal_T1_iil,comdat
.Lfunc_end17:
	.size	_ZN9rocsolver6v33100L18trti2_kernel_smallILi18EdPdEEv13rocblas_fill_17rocblas_diagonal_T1_iil, .Lfunc_end17-_ZN9rocsolver6v33100L18trti2_kernel_smallILi18EdPdEEv13rocblas_fill_17rocblas_diagonal_T1_iil
                                        ; -- End function
	.section	.AMDGPU.csdata,"",@progbits
; Kernel info:
; codeLenInByte = 10200
; NumSgprs: 24
; NumVgprs: 72
; NumAgprs: 0
; TotalNumVgprs: 72
; ScratchSize: 160
; MemoryBound: 0
; FloatMode: 240
; IeeeMode: 1
; LDSByteSize: 288 bytes/workgroup (compile time only)
; SGPRBlocks: 2
; VGPRBlocks: 8
; NumSGPRsForWavesPerEU: 24
; NumVGPRsForWavesPerEU: 72
; AccumOffset: 72
; Occupancy: 7
; WaveLimiterHint : 0
; COMPUTE_PGM_RSRC2:SCRATCH_EN: 1
; COMPUTE_PGM_RSRC2:USER_SGPR: 8
; COMPUTE_PGM_RSRC2:TRAP_HANDLER: 0
; COMPUTE_PGM_RSRC2:TGID_X_EN: 1
; COMPUTE_PGM_RSRC2:TGID_Y_EN: 0
; COMPUTE_PGM_RSRC2:TGID_Z_EN: 0
; COMPUTE_PGM_RSRC2:TIDIG_COMP_CNT: 0
; COMPUTE_PGM_RSRC3_GFX90A:ACCUM_OFFSET: 17
; COMPUTE_PGM_RSRC3_GFX90A:TG_SPLIT: 0
	.section	.text._ZN9rocsolver6v33100L18trti2_kernel_smallILi19EdPdEEv13rocblas_fill_17rocblas_diagonal_T1_iil,"axG",@progbits,_ZN9rocsolver6v33100L18trti2_kernel_smallILi19EdPdEEv13rocblas_fill_17rocblas_diagonal_T1_iil,comdat
	.globl	_ZN9rocsolver6v33100L18trti2_kernel_smallILi19EdPdEEv13rocblas_fill_17rocblas_diagonal_T1_iil ; -- Begin function _ZN9rocsolver6v33100L18trti2_kernel_smallILi19EdPdEEv13rocblas_fill_17rocblas_diagonal_T1_iil
	.p2align	8
	.type	_ZN9rocsolver6v33100L18trti2_kernel_smallILi19EdPdEEv13rocblas_fill_17rocblas_diagonal_T1_iil,@function
_ZN9rocsolver6v33100L18trti2_kernel_smallILi19EdPdEEv13rocblas_fill_17rocblas_diagonal_T1_iil: ; @_ZN9rocsolver6v33100L18trti2_kernel_smallILi19EdPdEEv13rocblas_fill_17rocblas_diagonal_T1_iil
; %bb.0:
	s_add_u32 s0, s0, s9
	s_addc_u32 s1, s1, 0
	v_cmp_gt_u32_e32 vcc, 19, v0
	s_and_saveexec_b64 s[6:7], vcc
	s_cbranch_execz .LBB18_352
; %bb.1:
	s_load_dwordx8 s[12:19], s[4:5], 0x0
	s_ashr_i32 s6, s8, 31
	v_lshlrev_b32_e32 v1, 3, v0
	s_waitcnt lgkmcnt(0)
	s_mul_i32 s7, s8, s19
	s_mul_hi_u32 s9, s8, s18
	s_add_i32 s7, s9, s7
	s_mul_i32 s6, s6, s18
	s_add_i32 s7, s7, s6
	s_mul_i32 s6, s8, s18
	s_ashr_i32 s5, s16, 31
	s_lshl_b64 s[6:7], s[6:7], 3
	s_mov_b32 s4, s16
	s_add_u32 s6, s14, s6
	s_addc_u32 s7, s15, s7
	s_lshl_b64 s[4:5], s[4:5], 3
	s_add_u32 s4, s6, s4
	s_addc_u32 s5, s7, s5
	v_mov_b32_e32 v3, s5
	v_add_co_u32_e32 v2, vcc, s4, v1
	s_ashr_i32 s7, s17, 31
	s_mov_b32 s6, s17
	v_addc_co_u32_e32 v3, vcc, 0, v3, vcc
	s_lshl_b64 s[6:7], s[6:7], 3
	v_add_co_u32_e32 v4, vcc, s6, v2
	s_add_i32 s6, s17, s17
	v_add_u32_e32 v8, s6, v0
	v_mov_b32_e32 v5, s7
	v_ashrrev_i32_e32 v9, 31, v8
	v_addc_co_u32_e32 v5, vcc, v3, v5, vcc
	v_lshlrev_b64 v[6:7], 3, v[8:9]
	v_mov_b32_e32 v9, s5
	v_add_co_u32_e32 v6, vcc, s4, v6
	global_load_dwordx2 v[20:21], v1, s[4:5]
	v_addc_co_u32_e32 v7, vcc, v9, v7, vcc
	global_load_dwordx2 v[22:23], v[4:5], off
	global_load_dwordx2 v[24:25], v[6:7], off
	v_add_u32_e32 v10, s17, v8
	v_ashrrev_i32_e32 v11, 31, v10
	v_lshlrev_b64 v[8:9], 3, v[10:11]
	v_mov_b32_e32 v11, s5
	v_add_co_u32_e32 v8, vcc, s4, v8
	v_addc_co_u32_e32 v9, vcc, v11, v9, vcc
	global_load_dwordx2 v[26:27], v[8:9], off
	v_add_u32_e32 v12, s17, v10
	v_ashrrev_i32_e32 v13, 31, v12
	v_lshlrev_b64 v[10:11], 3, v[12:13]
	v_mov_b32_e32 v13, s5
	v_add_co_u32_e32 v10, vcc, s4, v10
	v_addc_co_u32_e32 v11, vcc, v13, v11, vcc
	global_load_dwordx2 v[40:41], v[10:11], off
	v_add_u32_e32 v14, s17, v12
	v_add_u32_e32 v16, s17, v14
	;; [unrolled: 1-line block ×7, first 2 shown]
	v_ashrrev_i32_e32 v15, 31, v14
	v_add_u32_e32 v44, s17, v42
	v_lshlrev_b64 v[12:13], 3, v[14:15]
	v_add_u32_e32 v46, s17, v44
	v_mov_b32_e32 v15, s5
	v_add_co_u32_e32 v12, vcc, s4, v12
	v_ashrrev_i32_e32 v17, 31, v16
	v_add_u32_e32 v48, s17, v46
	v_addc_co_u32_e32 v13, vcc, v15, v13, vcc
	v_lshlrev_b64 v[14:15], 3, v[16:17]
	v_add_u32_e32 v50, s17, v48
	v_mov_b32_e32 v17, s5
	v_add_co_u32_e32 v14, vcc, s4, v14
	v_ashrrev_i32_e32 v19, 31, v18
	v_add_u32_e32 v52, s17, v50
	v_addc_co_u32_e32 v15, vcc, v17, v15, vcc
	v_lshlrev_b64 v[16:17], 3, v[18:19]
	v_add_u32_e32 v54, s17, v52
	v_mov_b32_e32 v19, s5
	v_add_co_u32_e32 v16, vcc, s4, v16
	v_add_u32_e32 v18, s17, v54
	v_addc_co_u32_e32 v17, vcc, v19, v17, vcc
	v_ashrrev_i32_e32 v19, 31, v18
	v_lshlrev_b64 v[18:19], 3, v[18:19]
	v_mov_b32_e32 v29, s5
	v_add_co_u32_e32 v18, vcc, s4, v18
	v_addc_co_u32_e32 v19, vcc, v29, v19, vcc
	global_load_dwordx2 v[56:57], v[18:19], off
	v_ashrrev_i32_e32 v29, 31, v28
	s_waitcnt vmcnt(5)
	buffer_store_dword v21, off, s[0:3], 0 offset:4
	buffer_store_dword v20, off, s[0:3], 0
	s_waitcnt vmcnt(6)
	buffer_store_dword v23, off, s[0:3], 0 offset:12
	buffer_store_dword v22, off, s[0:3], 0 offset:8
	s_waitcnt vmcnt(7)
	buffer_store_dword v25, off, s[0:3], 0 offset:20
	buffer_store_dword v24, off, s[0:3], 0 offset:16
	s_waitcnt vmcnt(8)
	buffer_store_dword v27, off, s[0:3], 0 offset:28
	v_lshlrev_b64 v[20:21], 3, v[28:29]
	v_mov_b32_e32 v22, s5
	v_add_co_u32_e32 v38, vcc, s4, v20
	v_ashrrev_i32_e32 v31, 31, v30
	v_addc_co_u32_e32 v39, vcc, v22, v21, vcc
	v_lshlrev_b64 v[20:21], 3, v[30:31]
	v_add_co_u32_e32 v36, vcc, s4, v20
	v_ashrrev_i32_e32 v33, 31, v32
	v_addc_co_u32_e32 v37, vcc, v22, v21, vcc
	v_lshlrev_b64 v[20:21], 3, v[32:33]
	;; [unrolled: 4-line block ×5, first 2 shown]
	v_mov_b32_e32 v24, s5
	v_add_co_u32_e32 v30, vcc, s4, v22
	v_ashrrev_i32_e32 v49, 31, v48
	v_addc_co_u32_e32 v31, vcc, v24, v23, vcc
	v_lshlrev_b64 v[22:23], 3, v[48:49]
	global_load_dwordx2 v[58:59], v[12:13], off
	global_load_dwordx2 v[60:61], v[14:15], off
	;; [unrolled: 1-line block ×4, first 2 shown]
	v_mov_b32_e32 v25, s5
	buffer_store_dword v26, off, s[0:3], 0 offset:24
	v_add_co_u32_e32 v24, vcc, s4, v22
	global_load_dwordx2 v[42:43], v[36:37], off
	global_load_dwordx2 v[44:45], v[34:35], off
	;; [unrolled: 1-line block ×4, first 2 shown]
	v_addc_co_u32_e32 v25, vcc, v25, v23, vcc
	global_load_dwordx2 v[46:47], v[30:31], off
	global_load_dwordx2 v[48:49], v[24:25], off
	v_ashrrev_i32_e32 v51, 31, v50
	v_lshlrev_b64 v[22:23], 3, v[50:51]
	v_mov_b32_e32 v26, s5
	v_add_co_u32_e32 v32, vcc, s4, v22
	v_ashrrev_i32_e32 v53, 31, v52
	v_addc_co_u32_e32 v33, vcc, v26, v23, vcc
	v_lshlrev_b64 v[22:23], 3, v[52:53]
	v_mov_b32_e32 v27, s5
	v_add_co_u32_e32 v26, vcc, s4, v22
	v_ashrrev_i32_e32 v55, 31, v54
	v_addc_co_u32_e32 v27, vcc, v27, v23, vcc
	v_lshlrev_b64 v[22:23], 3, v[54:55]
	v_mov_b32_e32 v50, s5
	v_add_co_u32_e32 v22, vcc, s4, v22
	v_addc_co_u32_e32 v23, vcc, v50, v23, vcc
	global_load_dwordx2 v[50:51], v[32:33], off
	global_load_dwordx2 v[52:53], v[26:27], off
	s_cmpk_lg_i32 s13, 0x84
	s_waitcnt vmcnt(21)
	buffer_store_dword v41, off, s[0:3], 0 offset:36
	buffer_store_dword v40, off, s[0:3], 0 offset:32
	global_load_dwordx2 v[40:41], v[22:23], off
	s_waitcnt vmcnt(15)
	buffer_store_dword v59, off, s[0:3], 0 offset:44
	buffer_store_dword v58, off, s[0:3], 0 offset:40
	s_waitcnt vmcnt(16)
	buffer_store_dword v61, off, s[0:3], 0 offset:52
	buffer_store_dword v60, off, s[0:3], 0 offset:48
	;; [unrolled: 3-line block ×13, first 2 shown]
	buffer_store_dword v56, off, s[0:3], 0 offset:144
	buffer_store_dword v57, off, s[0:3], 0 offset:148
	v_mov_b32_e32 v40, 0
	v_mov_b32_e32 v59, 0
	s_cselect_b64 s[8:9], -1, 0
	s_cmpk_eq_i32 s13, 0x84
	v_mov_b32_e32 v41, 0xbff00000
	s_cbranch_scc1 .LBB18_3
; %bb.2:
	v_lshl_add_u32 v50, v0, 3, v59
	buffer_load_dword v40, v50, s[0:3], 0 offen
	buffer_load_dword v41, v50, s[0:3], 0 offen offset:4
	s_waitcnt vmcnt(0)
	v_div_scale_f64 v[42:43], s[4:5], v[40:41], v[40:41], 1.0
	v_rcp_f64_e32 v[44:45], v[42:43]
	v_div_scale_f64 v[46:47], vcc, 1.0, v[40:41], 1.0
	v_fma_f64 v[48:49], -v[42:43], v[44:45], 1.0
	v_fmac_f64_e32 v[44:45], v[44:45], v[48:49]
	v_fma_f64 v[48:49], -v[42:43], v[44:45], 1.0
	v_fmac_f64_e32 v[44:45], v[44:45], v[48:49]
	v_mul_f64 v[48:49], v[46:47], v[44:45]
	v_fma_f64 v[42:43], -v[42:43], v[48:49], v[46:47]
	v_div_fmas_f64 v[42:43], v[42:43], v[44:45], v[48:49]
	v_div_fixup_f64 v[40:41], v[42:43], v[40:41], 1.0
	buffer_store_dword v40, v50, s[0:3], 0 offen
	buffer_store_dword v41, v50, s[0:3], 0 offen offset:4
	v_xor_b32_e32 v41, 0x80000000, v41
.LBB18_3:
	s_cmpk_eq_i32 s12, 0x79
	v_add_u32_e32 v42, 0xa0, v1
	v_add_u32_e32 v43, 0, v1
	s_mov_b64 s[4:5], -1
	ds_write_b64 v1, v[40:41]
	s_cbranch_scc1 .LBB18_177
; %bb.4:
	buffer_load_dword v40, off, s[0:3], 0 offset:136
	buffer_load_dword v41, off, s[0:3], 0 offset:140
	v_cmp_eq_u32_e64 s[4:5], 18, v0
	s_waitcnt vmcnt(0)
	ds_write_b64 v42, v[40:41]
	s_waitcnt lgkmcnt(0)
	; wave barrier
	s_waitcnt lgkmcnt(0)
	s_and_saveexec_b64 s[6:7], s[4:5]
	s_cbranch_execz .LBB18_10
; %bb.5:
	s_and_b64 vcc, exec, s[8:9]
	s_cbranch_vccz .LBB18_7
; %bb.6:
	buffer_load_dword v40, v43, s[0:3], 0 offen
	buffer_load_dword v41, v43, s[0:3], 0 offen offset:4
	ds_read_b64 v[44:45], v42
	s_waitcnt vmcnt(0) lgkmcnt(0)
	v_mul_f64 v[40:41], v[40:41], v[44:45]
	s_cbranch_execz .LBB18_8
	s_branch .LBB18_9
.LBB18_7:
                                        ; implicit-def: $vgpr40_vgpr41
.LBB18_8:
	ds_read_b64 v[40:41], v42
.LBB18_9:
	v_mov_b32_e32 v44, 0
	ds_read_b64 v[44:45], v44 offset:136
	s_waitcnt lgkmcnt(0)
	v_mul_f64 v[40:41], v[40:41], v[44:45]
	buffer_store_dword v41, off, s[0:3], 0 offset:140
	buffer_store_dword v40, off, s[0:3], 0 offset:136
.LBB18_10:
	s_or_b64 exec, exec, s[6:7]
	buffer_load_dword v40, off, s[0:3], 0 offset:128
	buffer_load_dword v41, off, s[0:3], 0 offset:132
	v_or_b32_e32 v44, 8, v59
	v_add_u32_e32 v45, 16, v59
	v_add_u32_e32 v46, 24, v59
	;; [unrolled: 1-line block ×15, first 2 shown]
	v_cmp_lt_u32_e64 s[6:7], 16, v0
	s_waitcnt vmcnt(0)
	ds_write_b64 v42, v[40:41]
	s_waitcnt lgkmcnt(0)
	; wave barrier
	s_waitcnt lgkmcnt(0)
	s_and_saveexec_b64 s[10:11], s[6:7]
	s_cbranch_execz .LBB18_16
; %bb.11:
	s_andn2_b64 vcc, exec, s[8:9]
	s_cbranch_vccnz .LBB18_13
; %bb.12:
	buffer_load_dword v40, v43, s[0:3], 0 offen
	buffer_load_dword v41, v43, s[0:3], 0 offen offset:4
	ds_read_b64 v[60:61], v42
	s_waitcnt vmcnt(0) lgkmcnt(0)
	v_mul_f64 v[40:41], v[40:41], v[60:61]
	s_cbranch_execz .LBB18_14
	s_branch .LBB18_15
.LBB18_13:
                                        ; implicit-def: $vgpr40_vgpr41
.LBB18_14:
	ds_read_b64 v[40:41], v42
.LBB18_15:
	buffer_load_dword v64, off, s[0:3], 0 offset:136
	buffer_load_dword v65, off, s[0:3], 0 offset:140
	v_mov_b32_e32 v60, 0
	ds_read2_b64 v[60:63], v60 offset0:16 offset1:37
	s_waitcnt vmcnt(0) lgkmcnt(0)
	v_fma_f64 v[62:63], v[64:65], v[62:63], v[40:41]
	v_cndmask_b32_e64 v41, v41, v63, s[4:5]
	v_cndmask_b32_e64 v40, v40, v62, s[4:5]
	v_mul_f64 v[40:41], v[40:41], v[60:61]
	buffer_store_dword v41, off, s[0:3], 0 offset:132
	buffer_store_dword v40, off, s[0:3], 0 offset:128
.LBB18_16:
	s_or_b64 exec, exec, s[10:11]
	buffer_load_dword v40, off, s[0:3], 0 offset:120
	buffer_load_dword v41, off, s[0:3], 0 offset:124
	v_cmp_lt_u32_e64 s[4:5], 15, v0
	s_waitcnt vmcnt(0)
	ds_write_b64 v42, v[40:41]
	s_waitcnt lgkmcnt(0)
	; wave barrier
	s_waitcnt lgkmcnt(0)
	s_and_saveexec_b64 s[10:11], s[4:5]
	s_cbranch_execz .LBB18_26
; %bb.17:
	s_andn2_b64 vcc, exec, s[8:9]
	s_cbranch_vccnz .LBB18_19
; %bb.18:
	buffer_load_dword v40, v43, s[0:3], 0 offen
	buffer_load_dword v41, v43, s[0:3], 0 offen offset:4
	ds_read_b64 v[60:61], v42
	s_waitcnt vmcnt(0) lgkmcnt(0)
	v_mul_f64 v[40:41], v[40:41], v[60:61]
	s_cbranch_execz .LBB18_20
	s_branch .LBB18_21
.LBB18_19:
                                        ; implicit-def: $vgpr40_vgpr41
.LBB18_20:
	ds_read_b64 v[40:41], v42
.LBB18_21:
	s_and_saveexec_b64 s[12:13], s[6:7]
	s_cbranch_execz .LBB18_25
; %bb.22:
	v_add_u32_e32 v60, -16, v0
	s_movk_i32 s14, 0x120
	s_mov_b64 s[6:7], 0
.LBB18_23:                              ; =>This Inner Loop Header: Depth=1
	buffer_load_dword v62, v59, s[0:3], 0 offen
	buffer_load_dword v63, v59, s[0:3], 0 offen offset:4
	v_mov_b32_e32 v61, s14
	ds_read_b64 v[64:65], v61
	v_add_u32_e32 v60, -1, v60
	s_add_i32 s14, s14, 8
	v_cmp_eq_u32_e32 vcc, 0, v60
	v_add_u32_e32 v59, 8, v59
	s_or_b64 s[6:7], vcc, s[6:7]
	s_waitcnt vmcnt(0) lgkmcnt(0)
	v_fmac_f64_e32 v[40:41], v[62:63], v[64:65]
	s_andn2_b64 exec, exec, s[6:7]
	s_cbranch_execnz .LBB18_23
; %bb.24:
	s_or_b64 exec, exec, s[6:7]
.LBB18_25:
	s_or_b64 exec, exec, s[12:13]
	v_mov_b32_e32 v59, 0
	ds_read_b64 v[60:61], v59 offset:120
	s_waitcnt lgkmcnt(0)
	v_mul_f64 v[40:41], v[40:41], v[60:61]
	buffer_store_dword v41, off, s[0:3], 0 offset:124
	buffer_store_dword v40, off, s[0:3], 0 offset:120
.LBB18_26:
	s_or_b64 exec, exec, s[10:11]
	buffer_load_dword v40, off, s[0:3], 0 offset:112
	buffer_load_dword v41, off, s[0:3], 0 offset:116
	v_cmp_lt_u32_e64 s[6:7], 14, v0
	s_waitcnt vmcnt(0)
	ds_write_b64 v42, v[40:41]
	s_waitcnt lgkmcnt(0)
	; wave barrier
	s_waitcnt lgkmcnt(0)
	s_and_saveexec_b64 s[10:11], s[6:7]
	s_cbranch_execz .LBB18_36
; %bb.27:
	s_andn2_b64 vcc, exec, s[8:9]
	s_cbranch_vccnz .LBB18_29
; %bb.28:
	buffer_load_dword v40, v43, s[0:3], 0 offen
	buffer_load_dword v41, v43, s[0:3], 0 offen offset:4
	ds_read_b64 v[60:61], v42
	s_waitcnt vmcnt(0) lgkmcnt(0)
	v_mul_f64 v[40:41], v[40:41], v[60:61]
	s_cbranch_execz .LBB18_30
	s_branch .LBB18_31
.LBB18_29:
                                        ; implicit-def: $vgpr40_vgpr41
.LBB18_30:
	ds_read_b64 v[40:41], v42
.LBB18_31:
	s_and_saveexec_b64 s[12:13], s[4:5]
	s_cbranch_execz .LBB18_35
; %bb.32:
	v_add_u32_e32 v59, -15, v0
	s_movk_i32 s14, 0x118
	s_mov_b64 s[4:5], 0
.LBB18_33:                              ; =>This Inner Loop Header: Depth=1
	buffer_load_dword v60, v58, s[0:3], 0 offen
	buffer_load_dword v61, v58, s[0:3], 0 offen offset:4
	v_mov_b32_e32 v62, s14
	ds_read_b64 v[62:63], v62
	v_add_u32_e32 v59, -1, v59
	s_add_i32 s14, s14, 8
	v_cmp_eq_u32_e32 vcc, 0, v59
	v_add_u32_e32 v58, 8, v58
	s_or_b64 s[4:5], vcc, s[4:5]
	s_waitcnt vmcnt(0) lgkmcnt(0)
	v_fmac_f64_e32 v[40:41], v[60:61], v[62:63]
	s_andn2_b64 exec, exec, s[4:5]
	s_cbranch_execnz .LBB18_33
; %bb.34:
	s_or_b64 exec, exec, s[4:5]
.LBB18_35:
	s_or_b64 exec, exec, s[12:13]
	v_mov_b32_e32 v58, 0
	ds_read_b64 v[58:59], v58 offset:112
	s_waitcnt lgkmcnt(0)
	v_mul_f64 v[40:41], v[40:41], v[58:59]
	buffer_store_dword v41, off, s[0:3], 0 offset:116
	buffer_store_dword v40, off, s[0:3], 0 offset:112
.LBB18_36:
	;; [unrolled: 58-line block ×8, first 2 shown]
	s_or_b64 exec, exec, s[10:11]
	buffer_load_dword v40, off, s[0:3], 0 offset:56
	buffer_load_dword v41, off, s[0:3], 0 offset:60
	v_cmp_lt_u32_e64 s[4:5], 7, v0
	s_waitcnt vmcnt(0)
	ds_write_b64 v42, v[40:41]
	s_waitcnt lgkmcnt(0)
	; wave barrier
	s_waitcnt lgkmcnt(0)
	s_and_saveexec_b64 s[10:11], s[4:5]
	s_cbranch_execz .LBB18_106
; %bb.97:
	s_andn2_b64 vcc, exec, s[8:9]
	s_cbranch_vccnz .LBB18_99
; %bb.98:
	buffer_load_dword v40, v43, s[0:3], 0 offen
	buffer_load_dword v41, v43, s[0:3], 0 offen offset:4
	ds_read_b64 v[52:53], v42
	s_waitcnt vmcnt(0) lgkmcnt(0)
	v_mul_f64 v[40:41], v[40:41], v[52:53]
	s_cbranch_execz .LBB18_100
	s_branch .LBB18_101
.LBB18_99:
                                        ; implicit-def: $vgpr40_vgpr41
.LBB18_100:
	ds_read_b64 v[40:41], v42
.LBB18_101:
	s_and_saveexec_b64 s[12:13], s[6:7]
	s_cbranch_execz .LBB18_105
; %bb.102:
	v_add_u32_e32 v52, -8, v0
	s_movk_i32 s14, 0xe0
	s_mov_b64 s[6:7], 0
.LBB18_103:                             ; =>This Inner Loop Header: Depth=1
	buffer_load_dword v54, v51, s[0:3], 0 offen
	buffer_load_dword v55, v51, s[0:3], 0 offen offset:4
	v_mov_b32_e32 v53, s14
	ds_read_b64 v[56:57], v53
	v_add_u32_e32 v52, -1, v52
	s_add_i32 s14, s14, 8
	v_cmp_eq_u32_e32 vcc, 0, v52
	v_add_u32_e32 v51, 8, v51
	s_or_b64 s[6:7], vcc, s[6:7]
	s_waitcnt vmcnt(0) lgkmcnt(0)
	v_fmac_f64_e32 v[40:41], v[54:55], v[56:57]
	s_andn2_b64 exec, exec, s[6:7]
	s_cbranch_execnz .LBB18_103
; %bb.104:
	s_or_b64 exec, exec, s[6:7]
.LBB18_105:
	s_or_b64 exec, exec, s[12:13]
	v_mov_b32_e32 v51, 0
	ds_read_b64 v[52:53], v51 offset:56
	s_waitcnt lgkmcnt(0)
	v_mul_f64 v[40:41], v[40:41], v[52:53]
	buffer_store_dword v41, off, s[0:3], 0 offset:60
	buffer_store_dword v40, off, s[0:3], 0 offset:56
.LBB18_106:
	s_or_b64 exec, exec, s[10:11]
	buffer_load_dword v40, off, s[0:3], 0 offset:48
	buffer_load_dword v41, off, s[0:3], 0 offset:52
	v_cmp_lt_u32_e64 s[6:7], 6, v0
	s_waitcnt vmcnt(0)
	ds_write_b64 v42, v[40:41]
	s_waitcnt lgkmcnt(0)
	; wave barrier
	s_waitcnt lgkmcnt(0)
	s_and_saveexec_b64 s[10:11], s[6:7]
	s_cbranch_execz .LBB18_116
; %bb.107:
	s_andn2_b64 vcc, exec, s[8:9]
	s_cbranch_vccnz .LBB18_109
; %bb.108:
	buffer_load_dword v40, v43, s[0:3], 0 offen
	buffer_load_dword v41, v43, s[0:3], 0 offen offset:4
	ds_read_b64 v[52:53], v42
	s_waitcnt vmcnt(0) lgkmcnt(0)
	v_mul_f64 v[40:41], v[40:41], v[52:53]
	s_cbranch_execz .LBB18_110
	s_branch .LBB18_111
.LBB18_109:
                                        ; implicit-def: $vgpr40_vgpr41
.LBB18_110:
	ds_read_b64 v[40:41], v42
.LBB18_111:
	s_and_saveexec_b64 s[12:13], s[4:5]
	s_cbranch_execz .LBB18_115
; %bb.112:
	v_add_u32_e32 v51, -7, v0
	s_movk_i32 s14, 0xd8
	s_mov_b64 s[4:5], 0
.LBB18_113:                             ; =>This Inner Loop Header: Depth=1
	buffer_load_dword v52, v50, s[0:3], 0 offen
	buffer_load_dword v53, v50, s[0:3], 0 offen offset:4
	v_mov_b32_e32 v54, s14
	ds_read_b64 v[54:55], v54
	v_add_u32_e32 v51, -1, v51
	s_add_i32 s14, s14, 8
	v_cmp_eq_u32_e32 vcc, 0, v51
	v_add_u32_e32 v50, 8, v50
	s_or_b64 s[4:5], vcc, s[4:5]
	s_waitcnt vmcnt(0) lgkmcnt(0)
	v_fmac_f64_e32 v[40:41], v[52:53], v[54:55]
	s_andn2_b64 exec, exec, s[4:5]
	s_cbranch_execnz .LBB18_113
; %bb.114:
	s_or_b64 exec, exec, s[4:5]
.LBB18_115:
	s_or_b64 exec, exec, s[12:13]
	v_mov_b32_e32 v50, 0
	ds_read_b64 v[50:51], v50 offset:48
	s_waitcnt lgkmcnt(0)
	v_mul_f64 v[40:41], v[40:41], v[50:51]
	buffer_store_dword v41, off, s[0:3], 0 offset:52
	buffer_store_dword v40, off, s[0:3], 0 offset:48
.LBB18_116:
	;; [unrolled: 58-line block ×7, first 2 shown]
	s_or_b64 exec, exec, s[10:11]
	buffer_load_dword v40, off, s[0:3], 0
	buffer_load_dword v41, off, s[0:3], 0 offset:4
	v_cmp_ne_u32_e32 vcc, 0, v0
	s_waitcnt vmcnt(0)
	ds_write_b64 v42, v[40:41]
	s_waitcnt lgkmcnt(0)
	; wave barrier
	s_waitcnt lgkmcnt(0)
	s_and_saveexec_b64 s[6:7], vcc
	s_cbranch_execz .LBB18_176
; %bb.167:
	s_andn2_b64 vcc, exec, s[8:9]
	s_cbranch_vccnz .LBB18_169
; %bb.168:
	buffer_load_dword v40, v43, s[0:3], 0 offen
	buffer_load_dword v41, v43, s[0:3], 0 offen offset:4
	ds_read_b64 v[46:47], v42
	s_waitcnt vmcnt(0) lgkmcnt(0)
	v_mul_f64 v[40:41], v[40:41], v[46:47]
	s_cbranch_execz .LBB18_170
	s_branch .LBB18_171
.LBB18_169:
                                        ; implicit-def: $vgpr40_vgpr41
.LBB18_170:
	ds_read_b64 v[40:41], v42
.LBB18_171:
	s_and_saveexec_b64 s[10:11], s[4:5]
	s_cbranch_execz .LBB18_175
; %bb.172:
	v_add_u32_e32 v45, -1, v0
	s_movk_i32 s12, 0xa8
	s_mov_b64 s[4:5], 0
.LBB18_173:                             ; =>This Inner Loop Header: Depth=1
	buffer_load_dword v46, v44, s[0:3], 0 offen
	buffer_load_dword v47, v44, s[0:3], 0 offen offset:4
	v_mov_b32_e32 v48, s12
	ds_read_b64 v[48:49], v48
	v_add_u32_e32 v45, -1, v45
	s_add_i32 s12, s12, 8
	v_cmp_eq_u32_e32 vcc, 0, v45
	v_add_u32_e32 v44, 8, v44
	s_or_b64 s[4:5], vcc, s[4:5]
	s_waitcnt vmcnt(0) lgkmcnt(0)
	v_fmac_f64_e32 v[40:41], v[46:47], v[48:49]
	s_andn2_b64 exec, exec, s[4:5]
	s_cbranch_execnz .LBB18_173
; %bb.174:
	s_or_b64 exec, exec, s[4:5]
.LBB18_175:
	s_or_b64 exec, exec, s[10:11]
	v_mov_b32_e32 v44, 0
	ds_read_b64 v[44:45], v44
	s_waitcnt lgkmcnt(0)
	v_mul_f64 v[40:41], v[40:41], v[44:45]
	buffer_store_dword v41, off, s[0:3], 0 offset:4
	buffer_store_dword v40, off, s[0:3], 0
.LBB18_176:
	s_or_b64 exec, exec, s[6:7]
	s_mov_b64 s[4:5], 0
.LBB18_177:
	s_and_b64 vcc, exec, s[4:5]
	s_cbranch_vccz .LBB18_351
; %bb.178:
	buffer_load_dword v40, off, s[0:3], 0 offset:8
	buffer_load_dword v41, off, s[0:3], 0 offset:12
	v_cmp_eq_u32_e64 s[6:7], 0, v0
	s_waitcnt vmcnt(0)
	ds_write_b64 v42, v[40:41]
	s_waitcnt lgkmcnt(0)
	; wave barrier
	s_waitcnt lgkmcnt(0)
	s_and_saveexec_b64 s[4:5], s[6:7]
	s_cbranch_execz .LBB18_184
; %bb.179:
	s_and_b64 vcc, exec, s[8:9]
	s_cbranch_vccz .LBB18_181
; %bb.180:
	buffer_load_dword v40, v43, s[0:3], 0 offen
	buffer_load_dword v41, v43, s[0:3], 0 offen offset:4
	ds_read_b64 v[44:45], v42
	s_waitcnt vmcnt(0) lgkmcnt(0)
	v_mul_f64 v[40:41], v[40:41], v[44:45]
	s_cbranch_execz .LBB18_182
	s_branch .LBB18_183
.LBB18_181:
                                        ; implicit-def: $vgpr40_vgpr41
.LBB18_182:
	ds_read_b64 v[40:41], v42
.LBB18_183:
	v_mov_b32_e32 v44, 0
	ds_read_b64 v[44:45], v44 offset:8
	s_waitcnt lgkmcnt(0)
	v_mul_f64 v[40:41], v[40:41], v[44:45]
	buffer_store_dword v41, off, s[0:3], 0 offset:12
	buffer_store_dword v40, off, s[0:3], 0 offset:8
.LBB18_184:
	s_or_b64 exec, exec, s[4:5]
	buffer_load_dword v40, off, s[0:3], 0 offset:16
	buffer_load_dword v41, off, s[0:3], 0 offset:20
	v_cndmask_b32_e64 v44, 0, 1, s[8:9]
	v_cmp_gt_u32_e32 vcc, 2, v0
	v_cmp_ne_u32_e64 s[4:5], 1, v44
	s_waitcnt vmcnt(0)
	ds_write_b64 v42, v[40:41]
	s_waitcnt lgkmcnt(0)
	; wave barrier
	s_waitcnt lgkmcnt(0)
	s_and_saveexec_b64 s[8:9], vcc
	s_cbranch_execz .LBB18_192
; %bb.185:
	s_and_b64 vcc, exec, s[4:5]
	s_cbranch_vccnz .LBB18_187
; %bb.186:
	buffer_load_dword v40, v43, s[0:3], 0 offen
	buffer_load_dword v41, v43, s[0:3], 0 offen offset:4
	ds_read_b64 v[44:45], v42
	s_waitcnt vmcnt(0) lgkmcnt(0)
	v_mul_f64 v[40:41], v[40:41], v[44:45]
	s_cbranch_execz .LBB18_188
	s_branch .LBB18_189
.LBB18_187:
                                        ; implicit-def: $vgpr40_vgpr41
.LBB18_188:
	ds_read_b64 v[40:41], v42
.LBB18_189:
	s_and_saveexec_b64 s[10:11], s[6:7]
	s_cbranch_execz .LBB18_191
; %bb.190:
	buffer_load_dword v44, v43, s[0:3], 0 offen offset:8
	buffer_load_dword v45, v43, s[0:3], 0 offen offset:12
	ds_read_b64 v[46:47], v42 offset:8
	s_waitcnt vmcnt(0) lgkmcnt(0)
	v_fmac_f64_e32 v[40:41], v[44:45], v[46:47]
.LBB18_191:
	s_or_b64 exec, exec, s[10:11]
	v_mov_b32_e32 v44, 0
	ds_read_b64 v[44:45], v44 offset:16
	s_waitcnt lgkmcnt(0)
	v_mul_f64 v[40:41], v[40:41], v[44:45]
	buffer_store_dword v41, off, s[0:3], 0 offset:20
	buffer_store_dword v40, off, s[0:3], 0 offset:16
.LBB18_192:
	s_or_b64 exec, exec, s[8:9]
	buffer_load_dword v40, off, s[0:3], 0 offset:24
	buffer_load_dword v41, off, s[0:3], 0 offset:28
	v_cmp_gt_u32_e32 vcc, 3, v0
	s_waitcnt vmcnt(0)
	ds_write_b64 v42, v[40:41]
	s_waitcnt lgkmcnt(0)
	; wave barrier
	s_waitcnt lgkmcnt(0)
	s_and_saveexec_b64 s[8:9], vcc
	s_cbranch_execz .LBB18_200
; %bb.193:
	s_and_b64 vcc, exec, s[4:5]
	s_cbranch_vccnz .LBB18_195
; %bb.194:
	buffer_load_dword v40, v43, s[0:3], 0 offen
	buffer_load_dword v41, v43, s[0:3], 0 offen offset:4
	ds_read_b64 v[44:45], v42
	s_waitcnt vmcnt(0) lgkmcnt(0)
	v_mul_f64 v[40:41], v[40:41], v[44:45]
	s_cbranch_execz .LBB18_196
	s_branch .LBB18_197
.LBB18_195:
                                        ; implicit-def: $vgpr40_vgpr41
.LBB18_196:
	ds_read_b64 v[40:41], v42
.LBB18_197:
	v_cmp_ne_u32_e32 vcc, 2, v0
	s_and_saveexec_b64 s[10:11], vcc
	s_cbranch_execz .LBB18_199
; %bb.198:
	buffer_load_dword v45, v43, s[0:3], 0 offen offset:12
	buffer_load_dword v46, off, s[0:3], 0 offset:16
	buffer_load_dword v44, v43, s[0:3], 0 offen offset:8
	buffer_load_dword v47, off, s[0:3], 0 offset:20
	v_mov_b32_e32 v50, 0
	ds_read_b64 v[48:49], v42 offset:8
	ds_read_b64 v[50:51], v50 offset:176
	s_waitcnt vmcnt(1) lgkmcnt(1)
	v_fmac_f64_e32 v[40:41], v[44:45], v[48:49]
	s_waitcnt vmcnt(0) lgkmcnt(0)
	v_fma_f64 v[44:45], v[46:47], v[50:51], v[40:41]
	v_cndmask_b32_e64 v41, v41, v45, s[6:7]
	v_cndmask_b32_e64 v40, v40, v44, s[6:7]
.LBB18_199:
	s_or_b64 exec, exec, s[10:11]
	v_mov_b32_e32 v44, 0
	ds_read_b64 v[44:45], v44 offset:24
	s_waitcnt lgkmcnt(0)
	v_mul_f64 v[40:41], v[40:41], v[44:45]
	buffer_store_dword v41, off, s[0:3], 0 offset:28
	buffer_store_dword v40, off, s[0:3], 0 offset:24
.LBB18_200:
	s_or_b64 exec, exec, s[8:9]
	buffer_load_dword v40, off, s[0:3], 0 offset:32
	buffer_load_dword v41, off, s[0:3], 0 offset:36
	v_cmp_gt_u32_e32 vcc, 4, v0
	s_waitcnt vmcnt(0)
	ds_write_b64 v42, v[40:41]
	s_waitcnt lgkmcnt(0)
	; wave barrier
	s_waitcnt lgkmcnt(0)
	s_and_saveexec_b64 s[6:7], vcc
	s_cbranch_execz .LBB18_210
; %bb.201:
	s_and_b64 vcc, exec, s[4:5]
	s_cbranch_vccnz .LBB18_203
; %bb.202:
	buffer_load_dword v40, v43, s[0:3], 0 offen
	buffer_load_dword v41, v43, s[0:3], 0 offen offset:4
	ds_read_b64 v[44:45], v42
	s_waitcnt vmcnt(0) lgkmcnt(0)
	v_mul_f64 v[40:41], v[40:41], v[44:45]
	s_cbranch_execz .LBB18_204
	s_branch .LBB18_205
.LBB18_203:
                                        ; implicit-def: $vgpr40_vgpr41
.LBB18_204:
	ds_read_b64 v[40:41], v42
.LBB18_205:
	v_cmp_ne_u32_e32 vcc, 3, v0
	s_and_saveexec_b64 s[8:9], vcc
	s_cbranch_execz .LBB18_209
; %bb.206:
	v_mov_b32_e32 v45, 0
	v_add_u32_e32 v44, 0xa8, v1
	v_add3_u32 v45, v1, v45, 8
	s_mov_b64 s[10:11], 0
	v_mov_b32_e32 v46, v0
.LBB18_207:                             ; =>This Inner Loop Header: Depth=1
	buffer_load_dword v48, v45, s[0:3], 0 offen
	buffer_load_dword v49, v45, s[0:3], 0 offen offset:4
	ds_read_b64 v[50:51], v44
	v_add_u32_e32 v46, 1, v46
	v_cmp_lt_u32_e32 vcc, 2, v46
	v_add_u32_e32 v44, 8, v44
	v_add_u32_e32 v45, 8, v45
	s_or_b64 s[10:11], vcc, s[10:11]
	s_waitcnt vmcnt(0) lgkmcnt(0)
	v_fmac_f64_e32 v[40:41], v[48:49], v[50:51]
	s_andn2_b64 exec, exec, s[10:11]
	s_cbranch_execnz .LBB18_207
; %bb.208:
	s_or_b64 exec, exec, s[10:11]
.LBB18_209:
	s_or_b64 exec, exec, s[8:9]
	v_mov_b32_e32 v44, 0
	ds_read_b64 v[44:45], v44 offset:32
	s_waitcnt lgkmcnt(0)
	v_mul_f64 v[40:41], v[40:41], v[44:45]
	buffer_store_dword v41, off, s[0:3], 0 offset:36
	buffer_store_dword v40, off, s[0:3], 0 offset:32
.LBB18_210:
	s_or_b64 exec, exec, s[6:7]
	buffer_load_dword v40, off, s[0:3], 0 offset:40
	buffer_load_dword v41, off, s[0:3], 0 offset:44
	v_cmp_gt_u32_e32 vcc, 5, v0
	s_waitcnt vmcnt(0)
	ds_write_b64 v42, v[40:41]
	s_waitcnt lgkmcnt(0)
	; wave barrier
	s_waitcnt lgkmcnt(0)
	s_and_saveexec_b64 s[6:7], vcc
	s_cbranch_execz .LBB18_220
; %bb.211:
	s_and_b64 vcc, exec, s[4:5]
	s_cbranch_vccnz .LBB18_213
; %bb.212:
	buffer_load_dword v40, v43, s[0:3], 0 offen
	buffer_load_dword v41, v43, s[0:3], 0 offen offset:4
	ds_read_b64 v[44:45], v42
	s_waitcnt vmcnt(0) lgkmcnt(0)
	v_mul_f64 v[40:41], v[40:41], v[44:45]
	s_cbranch_execz .LBB18_214
	s_branch .LBB18_215
.LBB18_213:
                                        ; implicit-def: $vgpr40_vgpr41
.LBB18_214:
	ds_read_b64 v[40:41], v42
.LBB18_215:
	v_cmp_ne_u32_e32 vcc, 4, v0
	s_and_saveexec_b64 s[8:9], vcc
	s_cbranch_execz .LBB18_219
; %bb.216:
	v_mov_b32_e32 v45, 0
	v_add_u32_e32 v44, 0xa8, v1
	v_add3_u32 v45, v1, v45, 8
	s_mov_b64 s[10:11], 0
	v_mov_b32_e32 v46, v0
.LBB18_217:                             ; =>This Inner Loop Header: Depth=1
	buffer_load_dword v48, v45, s[0:3], 0 offen
	buffer_load_dword v49, v45, s[0:3], 0 offen offset:4
	ds_read_b64 v[50:51], v44
	v_add_u32_e32 v46, 1, v46
	v_cmp_lt_u32_e32 vcc, 3, v46
	v_add_u32_e32 v44, 8, v44
	v_add_u32_e32 v45, 8, v45
	s_or_b64 s[10:11], vcc, s[10:11]
	s_waitcnt vmcnt(0) lgkmcnt(0)
	v_fmac_f64_e32 v[40:41], v[48:49], v[50:51]
	s_andn2_b64 exec, exec, s[10:11]
	s_cbranch_execnz .LBB18_217
; %bb.218:
	s_or_b64 exec, exec, s[10:11]
.LBB18_219:
	s_or_b64 exec, exec, s[8:9]
	v_mov_b32_e32 v44, 0
	ds_read_b64 v[44:45], v44 offset:40
	s_waitcnt lgkmcnt(0)
	v_mul_f64 v[40:41], v[40:41], v[44:45]
	buffer_store_dword v41, off, s[0:3], 0 offset:44
	buffer_store_dword v40, off, s[0:3], 0 offset:40
.LBB18_220:
	;; [unrolled: 60-line block ×13, first 2 shown]
	s_or_b64 exec, exec, s[6:7]
	buffer_load_dword v40, off, s[0:3], 0 offset:136
	buffer_load_dword v41, off, s[0:3], 0 offset:140
	v_cmp_gt_u32_e64 s[6:7], 17, v0
	s_waitcnt vmcnt(0)
	ds_write_b64 v42, v[40:41]
	s_waitcnt lgkmcnt(0)
	; wave barrier
	s_waitcnt lgkmcnt(0)
	s_and_saveexec_b64 s[8:9], s[6:7]
	s_cbranch_execz .LBB18_340
; %bb.331:
	s_and_b64 vcc, exec, s[4:5]
	s_cbranch_vccnz .LBB18_333
; %bb.332:
	buffer_load_dword v40, v43, s[0:3], 0 offen
	buffer_load_dword v41, v43, s[0:3], 0 offen offset:4
	ds_read_b64 v[44:45], v42
	s_waitcnt vmcnt(0) lgkmcnt(0)
	v_mul_f64 v[40:41], v[40:41], v[44:45]
	s_cbranch_execz .LBB18_334
	s_branch .LBB18_335
.LBB18_333:
                                        ; implicit-def: $vgpr40_vgpr41
.LBB18_334:
	ds_read_b64 v[40:41], v42
.LBB18_335:
	v_cmp_ne_u32_e32 vcc, 16, v0
	s_and_saveexec_b64 s[10:11], vcc
	s_cbranch_execz .LBB18_339
; %bb.336:
	v_mov_b32_e32 v45, 0
	v_add_u32_e32 v44, 0xa8, v1
	v_add3_u32 v45, v1, v45, 8
	s_mov_b64 s[12:13], 0
	v_mov_b32_e32 v46, v0
.LBB18_337:                             ; =>This Inner Loop Header: Depth=1
	buffer_load_dword v48, v45, s[0:3], 0 offen
	buffer_load_dword v49, v45, s[0:3], 0 offen offset:4
	ds_read_b64 v[50:51], v44
	v_add_u32_e32 v46, 1, v46
	v_cmp_lt_u32_e32 vcc, 15, v46
	v_add_u32_e32 v44, 8, v44
	v_add_u32_e32 v45, 8, v45
	s_or_b64 s[12:13], vcc, s[12:13]
	s_waitcnt vmcnt(0) lgkmcnt(0)
	v_fmac_f64_e32 v[40:41], v[48:49], v[50:51]
	s_andn2_b64 exec, exec, s[12:13]
	s_cbranch_execnz .LBB18_337
; %bb.338:
	s_or_b64 exec, exec, s[12:13]
.LBB18_339:
	s_or_b64 exec, exec, s[10:11]
	v_mov_b32_e32 v44, 0
	ds_read_b64 v[44:45], v44 offset:136
	s_waitcnt lgkmcnt(0)
	v_mul_f64 v[40:41], v[40:41], v[44:45]
	buffer_store_dword v41, off, s[0:3], 0 offset:140
	buffer_store_dword v40, off, s[0:3], 0 offset:136
.LBB18_340:
	s_or_b64 exec, exec, s[8:9]
	buffer_load_dword v40, off, s[0:3], 0 offset:144
	buffer_load_dword v41, off, s[0:3], 0 offset:148
	v_cmp_ne_u32_e32 vcc, 18, v0
	s_waitcnt vmcnt(0)
	ds_write_b64 v42, v[40:41]
	s_waitcnt lgkmcnt(0)
	; wave barrier
	s_waitcnt lgkmcnt(0)
	s_and_saveexec_b64 s[8:9], vcc
	s_cbranch_execz .LBB18_350
; %bb.341:
	s_and_b64 vcc, exec, s[4:5]
	s_cbranch_vccnz .LBB18_343
; %bb.342:
	buffer_load_dword v40, v43, s[0:3], 0 offen
	buffer_load_dword v41, v43, s[0:3], 0 offen offset:4
	ds_read_b64 v[44:45], v42
	s_waitcnt vmcnt(0) lgkmcnt(0)
	v_mul_f64 v[40:41], v[40:41], v[44:45]
	s_cbranch_execz .LBB18_344
	s_branch .LBB18_345
.LBB18_343:
                                        ; implicit-def: $vgpr40_vgpr41
.LBB18_344:
	ds_read_b64 v[40:41], v42
.LBB18_345:
	s_and_saveexec_b64 s[4:5], s[6:7]
	s_cbranch_execz .LBB18_349
; %bb.346:
	v_mov_b32_e32 v43, 0
	v_add_u32_e32 v42, 0xa8, v1
	v_add3_u32 v1, v1, v43, 8
	s_mov_b64 s[6:7], 0
.LBB18_347:                             ; =>This Inner Loop Header: Depth=1
	buffer_load_dword v44, v1, s[0:3], 0 offen
	buffer_load_dword v45, v1, s[0:3], 0 offen offset:4
	ds_read_b64 v[46:47], v42
	v_add_u32_e32 v0, 1, v0
	v_cmp_lt_u32_e32 vcc, 16, v0
	v_add_u32_e32 v42, 8, v42
	v_add_u32_e32 v1, 8, v1
	s_or_b64 s[6:7], vcc, s[6:7]
	s_waitcnt vmcnt(0) lgkmcnt(0)
	v_fmac_f64_e32 v[40:41], v[44:45], v[46:47]
	s_andn2_b64 exec, exec, s[6:7]
	s_cbranch_execnz .LBB18_347
; %bb.348:
	s_or_b64 exec, exec, s[6:7]
.LBB18_349:
	s_or_b64 exec, exec, s[4:5]
	v_mov_b32_e32 v0, 0
	ds_read_b64 v[0:1], v0 offset:144
	s_waitcnt lgkmcnt(0)
	v_mul_f64 v[0:1], v[40:41], v[0:1]
	buffer_store_dword v1, off, s[0:3], 0 offset:148
	buffer_store_dword v0, off, s[0:3], 0 offset:144
.LBB18_350:
	s_or_b64 exec, exec, s[8:9]
.LBB18_351:
	buffer_load_dword v0, off, s[0:3], 0
	buffer_load_dword v1, off, s[0:3], 0 offset:4
	buffer_load_dword v40, off, s[0:3], 0 offset:8
	;; [unrolled: 1-line block ×15, first 2 shown]
	s_waitcnt vmcnt(14)
	global_store_dwordx2 v[2:3], v[0:1], off
	s_waitcnt vmcnt(13)
	global_store_dwordx2 v[4:5], v[40:41], off
	;; [unrolled: 2-line block ×8, first 2 shown]
	buffer_load_dword v1, off, s[0:3], 0 offset:68
	buffer_load_dword v0, off, s[0:3], 0 offset:64
	s_waitcnt vmcnt(0)
	global_store_dwordx2 v[38:39], v[0:1], off
	buffer_load_dword v0, off, s[0:3], 0 offset:72
	s_nop 0
	buffer_load_dword v1, off, s[0:3], 0 offset:76
	s_waitcnt vmcnt(0)
	global_store_dwordx2 v[36:37], v[0:1], off
	buffer_load_dword v0, off, s[0:3], 0 offset:80
	s_nop 0
	;; [unrolled: 5-line block ×10, first 2 shown]
	buffer_load_dword v1, off, s[0:3], 0 offset:148
	s_waitcnt vmcnt(0)
	global_store_dwordx2 v[18:19], v[0:1], off
.LBB18_352:
	s_endpgm
	.section	.rodata,"a",@progbits
	.p2align	6, 0x0
	.amdhsa_kernel _ZN9rocsolver6v33100L18trti2_kernel_smallILi19EdPdEEv13rocblas_fill_17rocblas_diagonal_T1_iil
		.amdhsa_group_segment_fixed_size 312
		.amdhsa_private_segment_fixed_size 160
		.amdhsa_kernarg_size 32
		.amdhsa_user_sgpr_count 8
		.amdhsa_user_sgpr_private_segment_buffer 1
		.amdhsa_user_sgpr_dispatch_ptr 0
		.amdhsa_user_sgpr_queue_ptr 0
		.amdhsa_user_sgpr_kernarg_segment_ptr 1
		.amdhsa_user_sgpr_dispatch_id 0
		.amdhsa_user_sgpr_flat_scratch_init 1
		.amdhsa_user_sgpr_kernarg_preload_length 0
		.amdhsa_user_sgpr_kernarg_preload_offset 0
		.amdhsa_user_sgpr_private_segment_size 0
		.amdhsa_uses_dynamic_stack 0
		.amdhsa_system_sgpr_private_segment_wavefront_offset 1
		.amdhsa_system_sgpr_workgroup_id_x 1
		.amdhsa_system_sgpr_workgroup_id_y 0
		.amdhsa_system_sgpr_workgroup_id_z 0
		.amdhsa_system_sgpr_workgroup_info 0
		.amdhsa_system_vgpr_workitem_id 0
		.amdhsa_next_free_vgpr 70
		.amdhsa_next_free_sgpr 20
		.amdhsa_accum_offset 72
		.amdhsa_reserve_vcc 1
		.amdhsa_reserve_flat_scratch 0
		.amdhsa_float_round_mode_32 0
		.amdhsa_float_round_mode_16_64 0
		.amdhsa_float_denorm_mode_32 3
		.amdhsa_float_denorm_mode_16_64 3
		.amdhsa_dx10_clamp 1
		.amdhsa_ieee_mode 1
		.amdhsa_fp16_overflow 0
		.amdhsa_tg_split 0
		.amdhsa_exception_fp_ieee_invalid_op 0
		.amdhsa_exception_fp_denorm_src 0
		.amdhsa_exception_fp_ieee_div_zero 0
		.amdhsa_exception_fp_ieee_overflow 0
		.amdhsa_exception_fp_ieee_underflow 0
		.amdhsa_exception_fp_ieee_inexact 0
		.amdhsa_exception_int_div_zero 0
	.end_amdhsa_kernel
	.section	.text._ZN9rocsolver6v33100L18trti2_kernel_smallILi19EdPdEEv13rocblas_fill_17rocblas_diagonal_T1_iil,"axG",@progbits,_ZN9rocsolver6v33100L18trti2_kernel_smallILi19EdPdEEv13rocblas_fill_17rocblas_diagonal_T1_iil,comdat
.Lfunc_end18:
	.size	_ZN9rocsolver6v33100L18trti2_kernel_smallILi19EdPdEEv13rocblas_fill_17rocblas_diagonal_T1_iil, .Lfunc_end18-_ZN9rocsolver6v33100L18trti2_kernel_smallILi19EdPdEEv13rocblas_fill_17rocblas_diagonal_T1_iil
                                        ; -- End function
	.section	.AMDGPU.csdata,"",@progbits
; Kernel info:
; codeLenInByte = 10836
; NumSgprs: 24
; NumVgprs: 70
; NumAgprs: 0
; TotalNumVgprs: 70
; ScratchSize: 160
; MemoryBound: 0
; FloatMode: 240
; IeeeMode: 1
; LDSByteSize: 312 bytes/workgroup (compile time only)
; SGPRBlocks: 2
; VGPRBlocks: 8
; NumSGPRsForWavesPerEU: 24
; NumVGPRsForWavesPerEU: 70
; AccumOffset: 72
; Occupancy: 7
; WaveLimiterHint : 0
; COMPUTE_PGM_RSRC2:SCRATCH_EN: 1
; COMPUTE_PGM_RSRC2:USER_SGPR: 8
; COMPUTE_PGM_RSRC2:TRAP_HANDLER: 0
; COMPUTE_PGM_RSRC2:TGID_X_EN: 1
; COMPUTE_PGM_RSRC2:TGID_Y_EN: 0
; COMPUTE_PGM_RSRC2:TGID_Z_EN: 0
; COMPUTE_PGM_RSRC2:TIDIG_COMP_CNT: 0
; COMPUTE_PGM_RSRC3_GFX90A:ACCUM_OFFSET: 17
; COMPUTE_PGM_RSRC3_GFX90A:TG_SPLIT: 0
	.section	.text._ZN9rocsolver6v33100L18trti2_kernel_smallILi20EdPdEEv13rocblas_fill_17rocblas_diagonal_T1_iil,"axG",@progbits,_ZN9rocsolver6v33100L18trti2_kernel_smallILi20EdPdEEv13rocblas_fill_17rocblas_diagonal_T1_iil,comdat
	.globl	_ZN9rocsolver6v33100L18trti2_kernel_smallILi20EdPdEEv13rocblas_fill_17rocblas_diagonal_T1_iil ; -- Begin function _ZN9rocsolver6v33100L18trti2_kernel_smallILi20EdPdEEv13rocblas_fill_17rocblas_diagonal_T1_iil
	.p2align	8
	.type	_ZN9rocsolver6v33100L18trti2_kernel_smallILi20EdPdEEv13rocblas_fill_17rocblas_diagonal_T1_iil,@function
_ZN9rocsolver6v33100L18trti2_kernel_smallILi20EdPdEEv13rocblas_fill_17rocblas_diagonal_T1_iil: ; @_ZN9rocsolver6v33100L18trti2_kernel_smallILi20EdPdEEv13rocblas_fill_17rocblas_diagonal_T1_iil
; %bb.0:
	s_add_u32 s0, s0, s9
	s_addc_u32 s1, s1, 0
	v_cmp_gt_u32_e32 vcc, 20, v0
	s_and_saveexec_b64 s[6:7], vcc
	s_cbranch_execz .LBB19_372
; %bb.1:
	s_load_dwordx8 s[12:19], s[4:5], 0x0
	s_ashr_i32 s6, s8, 31
	v_lshlrev_b32_e32 v1, 3, v0
	s_waitcnt lgkmcnt(0)
	s_mul_i32 s7, s8, s19
	s_mul_hi_u32 s9, s8, s18
	s_add_i32 s7, s9, s7
	s_mul_i32 s6, s6, s18
	s_add_i32 s7, s7, s6
	s_mul_i32 s6, s8, s18
	s_ashr_i32 s5, s16, 31
	s_lshl_b64 s[6:7], s[6:7], 3
	s_mov_b32 s4, s16
	s_add_u32 s6, s14, s6
	s_addc_u32 s7, s15, s7
	s_lshl_b64 s[4:5], s[4:5], 3
	s_add_u32 s4, s6, s4
	s_addc_u32 s5, s7, s5
	v_mov_b32_e32 v3, s5
	v_add_co_u32_e32 v2, vcc, s4, v1
	s_ashr_i32 s7, s17, 31
	s_mov_b32 s6, s17
	v_addc_co_u32_e32 v3, vcc, 0, v3, vcc
	s_lshl_b64 s[6:7], s[6:7], 3
	v_add_co_u32_e32 v4, vcc, s6, v2
	s_add_i32 s6, s17, s17
	v_add_u32_e32 v8, s6, v0
	v_mov_b32_e32 v5, s7
	v_ashrrev_i32_e32 v9, 31, v8
	v_addc_co_u32_e32 v5, vcc, v3, v5, vcc
	v_lshlrev_b64 v[6:7], 3, v[8:9]
	v_add_u32_e32 v10, s17, v8
	v_mov_b32_e32 v9, s5
	v_add_co_u32_e32 v6, vcc, s4, v6
	v_ashrrev_i32_e32 v11, 31, v10
	v_addc_co_u32_e32 v7, vcc, v9, v7, vcc
	v_lshlrev_b64 v[8:9], 3, v[10:11]
	v_add_u32_e32 v12, s17, v10
	v_mov_b32_e32 v11, s5
	v_add_co_u32_e32 v8, vcc, s4, v8
	v_ashrrev_i32_e32 v13, 31, v12
	v_addc_co_u32_e32 v9, vcc, v11, v9, vcc
	v_lshlrev_b64 v[10:11], 3, v[12:13]
	global_load_dwordx2 v[26:27], v1, s[4:5]
	v_mov_b32_e32 v13, s5
	v_add_co_u32_e32 v10, vcc, s4, v10
	v_addc_co_u32_e32 v11, vcc, v13, v11, vcc
	global_load_dwordx2 v[28:29], v[4:5], off
	global_load_dwordx2 v[30:31], v[6:7], off
	;; [unrolled: 1-line block ×4, first 2 shown]
	v_add_u32_e32 v14, s17, v12
	v_ashrrev_i32_e32 v15, 31, v14
	v_lshlrev_b64 v[12:13], 3, v[14:15]
	v_mov_b32_e32 v15, s5
	v_add_co_u32_e32 v12, vcc, s4, v12
	v_addc_co_u32_e32 v13, vcc, v15, v13, vcc
	global_load_dwordx2 v[36:37], v[12:13], off
	v_add_u32_e32 v16, s17, v14
	v_ashrrev_i32_e32 v17, 31, v16
	v_lshlrev_b64 v[14:15], 3, v[16:17]
	v_mov_b32_e32 v17, s5
	v_add_co_u32_e32 v14, vcc, s4, v14
	v_add_u32_e32 v16, s17, v16
	v_addc_co_u32_e32 v15, vcc, v17, v15, vcc
	v_ashrrev_i32_e32 v17, 31, v16
	v_lshlrev_b64 v[18:19], 3, v[16:17]
	v_mov_b32_e32 v17, s5
	v_add_co_u32_e32 v18, vcc, s4, v18
	v_add_u32_e32 v16, s17, v16
	v_addc_co_u32_e32 v19, vcc, v17, v19, vcc
	v_ashrrev_i32_e32 v17, 31, v16
	v_lshlrev_b64 v[20:21], 3, v[16:17]
	v_add_co_u32_e32 v22, vcc, s4, v20
	v_add_u32_e32 v20, s17, v16
	v_add_u32_e32 v24, s17, v20
	;; [unrolled: 1-line block ×5, first 2 shown]
	v_mov_b32_e32 v17, s5
	v_add_u32_e32 v44, s17, v42
	v_addc_co_u32_e32 v23, vcc, v17, v21, vcc
	v_ashrrev_i32_e32 v21, 31, v20
	v_add_u32_e32 v46, s17, v44
	v_lshlrev_b64 v[16:17], 3, v[20:21]
	v_add_u32_e32 v48, s17, v46
	v_mov_b32_e32 v21, s5
	v_add_co_u32_e32 v16, vcc, s4, v16
	v_ashrrev_i32_e32 v25, 31, v24
	v_add_u32_e32 v50, s17, v48
	v_addc_co_u32_e32 v17, vcc, v21, v17, vcc
	v_lshlrev_b64 v[20:21], 3, v[24:25]
	v_add_u32_e32 v52, s17, v50
	v_mov_b32_e32 v25, s5
	v_add_co_u32_e32 v20, vcc, s4, v20
	v_add_u32_e32 v24, s17, v52
	v_addc_co_u32_e32 v21, vcc, v25, v21, vcc
	v_ashrrev_i32_e32 v25, 31, v24
	v_lshlrev_b64 v[24:25], 3, v[24:25]
	v_mov_b32_e32 v39, s5
	v_add_co_u32_e32 v24, vcc, s4, v24
	v_addc_co_u32_e32 v25, vcc, v39, v25, vcc
	v_ashrrev_i32_e32 v39, 31, v38
	global_load_dwordx2 v[54:55], v[14:15], off
	global_load_dwordx2 v[56:57], v[24:25], off
	s_waitcnt vmcnt(7)
	buffer_store_dword v27, off, s[0:3], 0 offset:4
	buffer_store_dword v26, off, s[0:3], 0
	v_lshlrev_b64 v[26:27], 3, v[38:39]
	global_load_dwordx2 v[58:59], v[18:19], off
	global_load_dwordx2 v[60:61], v[22:23], off
	s_waitcnt vmcnt(10)
	buffer_store_dword v29, off, s[0:3], 0 offset:12
	buffer_store_dword v28, off, s[0:3], 0 offset:8
	s_waitcnt vmcnt(11)
	buffer_store_dword v31, off, s[0:3], 0 offset:20
	buffer_store_dword v30, off, s[0:3], 0 offset:16
	s_waitcnt vmcnt(12)
	buffer_store_dword v33, off, s[0:3], 0 offset:28
	buffer_store_dword v32, off, s[0:3], 0 offset:24
	s_waitcnt vmcnt(13)
	buffer_store_dword v35, off, s[0:3], 0 offset:36
	buffer_store_dword v34, off, s[0:3], 0 offset:32
	s_waitcnt vmcnt(14)
	buffer_store_dword v37, off, s[0:3], 0 offset:44
	buffer_store_dword v36, off, s[0:3], 0 offset:40
	v_mov_b32_e32 v29, s5
	v_add_co_u32_e32 v28, vcc, s4, v26
	v_ashrrev_i32_e32 v41, 31, v40
	v_addc_co_u32_e32 v29, vcc, v29, v27, vcc
	v_lshlrev_b64 v[26:27], 3, v[40:41]
	v_mov_b32_e32 v30, s5
	v_add_co_u32_e32 v26, vcc, s4, v26
	v_ashrrev_i32_e32 v43, 31, v42
	v_addc_co_u32_e32 v27, vcc, v30, v27, vcc
	v_lshlrev_b64 v[30:31], 3, v[42:43]
	;; [unrolled: 5-line block ×3, first 2 shown]
	v_add_co_u32_e32 v34, vcc, s4, v30
	v_ashrrev_i32_e32 v47, 31, v46
	v_addc_co_u32_e32 v35, vcc, v32, v31, vcc
	v_lshlrev_b64 v[30:31], 3, v[46:47]
	v_add_co_u32_e32 v30, vcc, s4, v30
	global_load_dwordx2 v[62:63], v[16:17], off
	global_load_dwordx2 v[64:65], v[20:21], off
	;; [unrolled: 1-line block ×4, first 2 shown]
	v_addc_co_u32_e32 v31, vcc, v32, v31, vcc
	global_load_dwordx2 v[42:43], v[38:39], off
	global_load_dwordx2 v[44:45], v[34:35], off
	;; [unrolled: 1-line block ×3, first 2 shown]
	v_ashrrev_i32_e32 v49, 31, v48
	v_lshlrev_b64 v[32:33], 3, v[48:49]
	v_mov_b32_e32 v36, s5
	v_add_co_u32_e32 v40, vcc, s4, v32
	v_ashrrev_i32_e32 v51, 31, v50
	v_addc_co_u32_e32 v41, vcc, v36, v33, vcc
	v_lshlrev_b64 v[32:33], 3, v[50:51]
	v_mov_b32_e32 v37, s5
	v_add_co_u32_e32 v36, vcc, s4, v32
	v_ashrrev_i32_e32 v53, 31, v52
	v_addc_co_u32_e32 v37, vcc, v37, v33, vcc
	v_lshlrev_b64 v[32:33], 3, v[52:53]
	v_mov_b32_e32 v48, s5
	v_add_co_u32_e32 v32, vcc, s4, v32
	v_addc_co_u32_e32 v33, vcc, v48, v33, vcc
	global_load_dwordx2 v[48:49], v[40:41], off
	global_load_dwordx2 v[50:51], v[36:37], off
	;; [unrolled: 1-line block ×3, first 2 shown]
	s_cmpk_lg_i32 s13, 0x84
	s_cselect_b64 s[8:9], -1, 0
	s_cmpk_eq_i32 s13, 0x84
	s_waitcnt vmcnt(25)
	buffer_store_dword v55, off, s[0:3], 0 offset:52
	buffer_store_dword v54, off, s[0:3], 0 offset:48
	s_waitcnt vmcnt(23)
	buffer_store_dword v59, off, s[0:3], 0 offset:60
	buffer_store_dword v58, off, s[0:3], 0 offset:56
	;; [unrolled: 3-line block ×13, first 2 shown]
	buffer_store_dword v57, off, s[0:3], 0 offset:156
	buffer_store_dword v56, off, s[0:3], 0 offset:152
	v_mov_b32_e32 v42, 0
	v_mov_b32_e32 v62, 0
	;; [unrolled: 1-line block ×3, first 2 shown]
	s_cbranch_scc1 .LBB19_3
; %bb.2:
	v_lshl_add_u32 v52, v0, 3, v62
	buffer_load_dword v42, v52, s[0:3], 0 offen
	buffer_load_dword v43, v52, s[0:3], 0 offen offset:4
	s_waitcnt vmcnt(0)
	v_div_scale_f64 v[44:45], s[4:5], v[42:43], v[42:43], 1.0
	v_rcp_f64_e32 v[46:47], v[44:45]
	v_div_scale_f64 v[48:49], vcc, 1.0, v[42:43], 1.0
	v_fma_f64 v[50:51], -v[44:45], v[46:47], 1.0
	v_fmac_f64_e32 v[46:47], v[46:47], v[50:51]
	v_fma_f64 v[50:51], -v[44:45], v[46:47], 1.0
	v_fmac_f64_e32 v[46:47], v[46:47], v[50:51]
	v_mul_f64 v[50:51], v[48:49], v[46:47]
	v_fma_f64 v[44:45], -v[44:45], v[50:51], v[48:49]
	v_div_fmas_f64 v[44:45], v[44:45], v[46:47], v[50:51]
	v_div_fixup_f64 v[42:43], v[44:45], v[42:43], 1.0
	buffer_store_dword v42, v52, s[0:3], 0 offen
	buffer_store_dword v43, v52, s[0:3], 0 offen offset:4
	v_xor_b32_e32 v43, 0x80000000, v43
.LBB19_3:
	s_cmpk_eq_i32 s12, 0x79
	v_add_u32_e32 v44, 0xa0, v1
	v_add_u32_e32 v45, 0, v1
	s_mov_b64 s[4:5], -1
	ds_write_b64 v1, v[42:43]
	s_cbranch_scc1 .LBB19_187
; %bb.4:
	buffer_load_dword v42, off, s[0:3], 0 offset:144
	buffer_load_dword v43, off, s[0:3], 0 offset:148
	v_cmp_eq_u32_e64 s[4:5], 19, v0
	s_waitcnt vmcnt(0)
	ds_write_b64 v44, v[42:43]
	s_waitcnt lgkmcnt(0)
	; wave barrier
	s_waitcnt lgkmcnt(0)
	s_and_saveexec_b64 s[6:7], s[4:5]
	s_cbranch_execz .LBB19_10
; %bb.5:
	s_and_b64 vcc, exec, s[8:9]
	s_cbranch_vccz .LBB19_7
; %bb.6:
	buffer_load_dword v42, v45, s[0:3], 0 offen
	buffer_load_dword v43, v45, s[0:3], 0 offen offset:4
	ds_read_b64 v[46:47], v44
	s_waitcnt vmcnt(0) lgkmcnt(0)
	v_mul_f64 v[42:43], v[42:43], v[46:47]
	s_cbranch_execz .LBB19_8
	s_branch .LBB19_9
.LBB19_7:
                                        ; implicit-def: $vgpr42_vgpr43
.LBB19_8:
	ds_read_b64 v[42:43], v44
.LBB19_9:
	v_mov_b32_e32 v46, 0
	ds_read_b64 v[46:47], v46 offset:144
	s_waitcnt lgkmcnt(0)
	v_mul_f64 v[42:43], v[42:43], v[46:47]
	buffer_store_dword v43, off, s[0:3], 0 offset:148
	buffer_store_dword v42, off, s[0:3], 0 offset:144
.LBB19_10:
	s_or_b64 exec, exec, s[6:7]
	buffer_load_dword v42, off, s[0:3], 0 offset:136
	buffer_load_dword v43, off, s[0:3], 0 offset:140
	v_or_b32_e32 v46, 8, v62
	v_add_u32_e32 v47, 16, v62
	v_add_u32_e32 v48, 24, v62
	;; [unrolled: 1-line block ×16, first 2 shown]
	v_cmp_lt_u32_e64 s[6:7], 17, v0
	s_waitcnt vmcnt(0)
	ds_write_b64 v44, v[42:43]
	s_waitcnt lgkmcnt(0)
	; wave barrier
	s_waitcnt lgkmcnt(0)
	s_and_saveexec_b64 s[10:11], s[6:7]
	s_cbranch_execz .LBB19_16
; %bb.11:
	s_andn2_b64 vcc, exec, s[8:9]
	s_cbranch_vccnz .LBB19_13
; %bb.12:
	buffer_load_dword v42, v45, s[0:3], 0 offen
	buffer_load_dword v43, v45, s[0:3], 0 offen offset:4
	ds_read_b64 v[64:65], v44
	s_waitcnt vmcnt(0) lgkmcnt(0)
	v_mul_f64 v[42:43], v[42:43], v[64:65]
	s_cbranch_execz .LBB19_14
	s_branch .LBB19_15
.LBB19_13:
                                        ; implicit-def: $vgpr42_vgpr43
.LBB19_14:
	ds_read_b64 v[42:43], v44
.LBB19_15:
	buffer_load_dword v68, off, s[0:3], 0 offset:144
	buffer_load_dword v69, off, s[0:3], 0 offset:148
	v_mov_b32_e32 v63, 0
	ds_read2_b64 v[64:67], v63 offset0:17 offset1:38
	s_waitcnt vmcnt(0) lgkmcnt(0)
	v_fma_f64 v[66:67], v[68:69], v[66:67], v[42:43]
	v_cndmask_b32_e64 v43, v43, v67, s[4:5]
	v_cndmask_b32_e64 v42, v42, v66, s[4:5]
	v_mul_f64 v[42:43], v[42:43], v[64:65]
	buffer_store_dword v43, off, s[0:3], 0 offset:140
	buffer_store_dword v42, off, s[0:3], 0 offset:136
.LBB19_16:
	s_or_b64 exec, exec, s[10:11]
	buffer_load_dword v42, off, s[0:3], 0 offset:128
	buffer_load_dword v43, off, s[0:3], 0 offset:132
	v_cmp_lt_u32_e64 s[4:5], 16, v0
	s_waitcnt vmcnt(0)
	ds_write_b64 v44, v[42:43]
	s_waitcnt lgkmcnt(0)
	; wave barrier
	s_waitcnt lgkmcnt(0)
	s_and_saveexec_b64 s[10:11], s[4:5]
	s_cbranch_execz .LBB19_26
; %bb.17:
	s_andn2_b64 vcc, exec, s[8:9]
	s_cbranch_vccnz .LBB19_19
; %bb.18:
	buffer_load_dword v42, v45, s[0:3], 0 offen
	buffer_load_dword v43, v45, s[0:3], 0 offen offset:4
	ds_read_b64 v[64:65], v44
	s_waitcnt vmcnt(0) lgkmcnt(0)
	v_mul_f64 v[42:43], v[42:43], v[64:65]
	s_cbranch_execz .LBB19_20
	s_branch .LBB19_21
.LBB19_19:
                                        ; implicit-def: $vgpr42_vgpr43
.LBB19_20:
	ds_read_b64 v[42:43], v44
.LBB19_21:
	s_and_saveexec_b64 s[12:13], s[6:7]
	s_cbranch_execz .LBB19_25
; %bb.22:
	v_subrev_u32_e32 v63, 17, v0
	s_movk_i32 s14, 0x128
	s_mov_b64 s[6:7], 0
.LBB19_23:                              ; =>This Inner Loop Header: Depth=1
	buffer_load_dword v64, v62, s[0:3], 0 offen
	buffer_load_dword v65, v62, s[0:3], 0 offen offset:4
	v_mov_b32_e32 v66, s14
	ds_read_b64 v[66:67], v66
	v_add_u32_e32 v63, -1, v63
	s_add_i32 s14, s14, 8
	v_cmp_eq_u32_e32 vcc, 0, v63
	v_add_u32_e32 v62, 8, v62
	s_or_b64 s[6:7], vcc, s[6:7]
	s_waitcnt vmcnt(0) lgkmcnt(0)
	v_fmac_f64_e32 v[42:43], v[64:65], v[66:67]
	s_andn2_b64 exec, exec, s[6:7]
	s_cbranch_execnz .LBB19_23
; %bb.24:
	s_or_b64 exec, exec, s[6:7]
.LBB19_25:
	s_or_b64 exec, exec, s[12:13]
	v_mov_b32_e32 v62, 0
	ds_read_b64 v[62:63], v62 offset:128
	s_waitcnt lgkmcnt(0)
	v_mul_f64 v[42:43], v[42:43], v[62:63]
	buffer_store_dword v43, off, s[0:3], 0 offset:132
	buffer_store_dword v42, off, s[0:3], 0 offset:128
.LBB19_26:
	s_or_b64 exec, exec, s[10:11]
	buffer_load_dword v42, off, s[0:3], 0 offset:120
	buffer_load_dword v43, off, s[0:3], 0 offset:124
	v_cmp_lt_u32_e64 s[6:7], 15, v0
	s_waitcnt vmcnt(0)
	ds_write_b64 v44, v[42:43]
	s_waitcnt lgkmcnt(0)
	; wave barrier
	s_waitcnt lgkmcnt(0)
	s_and_saveexec_b64 s[10:11], s[6:7]
	s_cbranch_execz .LBB19_36
; %bb.27:
	s_andn2_b64 vcc, exec, s[8:9]
	s_cbranch_vccnz .LBB19_29
; %bb.28:
	buffer_load_dword v42, v45, s[0:3], 0 offen
	buffer_load_dword v43, v45, s[0:3], 0 offen offset:4
	ds_read_b64 v[62:63], v44
	s_waitcnt vmcnt(0) lgkmcnt(0)
	v_mul_f64 v[42:43], v[42:43], v[62:63]
	s_cbranch_execz .LBB19_30
	s_branch .LBB19_31
.LBB19_29:
                                        ; implicit-def: $vgpr42_vgpr43
.LBB19_30:
	ds_read_b64 v[42:43], v44
.LBB19_31:
	s_and_saveexec_b64 s[12:13], s[4:5]
	s_cbranch_execz .LBB19_35
; %bb.32:
	v_add_u32_e32 v62, -16, v0
	s_movk_i32 s14, 0x120
	s_mov_b64 s[4:5], 0
.LBB19_33:                              ; =>This Inner Loop Header: Depth=1
	buffer_load_dword v64, v61, s[0:3], 0 offen
	buffer_load_dword v65, v61, s[0:3], 0 offen offset:4
	v_mov_b32_e32 v63, s14
	ds_read_b64 v[66:67], v63
	v_add_u32_e32 v62, -1, v62
	s_add_i32 s14, s14, 8
	v_cmp_eq_u32_e32 vcc, 0, v62
	v_add_u32_e32 v61, 8, v61
	s_or_b64 s[4:5], vcc, s[4:5]
	s_waitcnt vmcnt(0) lgkmcnt(0)
	v_fmac_f64_e32 v[42:43], v[64:65], v[66:67]
	s_andn2_b64 exec, exec, s[4:5]
	s_cbranch_execnz .LBB19_33
; %bb.34:
	s_or_b64 exec, exec, s[4:5]
.LBB19_35:
	s_or_b64 exec, exec, s[12:13]
	v_mov_b32_e32 v61, 0
	ds_read_b64 v[62:63], v61 offset:120
	s_waitcnt lgkmcnt(0)
	v_mul_f64 v[42:43], v[42:43], v[62:63]
	buffer_store_dword v43, off, s[0:3], 0 offset:124
	buffer_store_dword v42, off, s[0:3], 0 offset:120
.LBB19_36:
	s_or_b64 exec, exec, s[10:11]
	buffer_load_dword v42, off, s[0:3], 0 offset:112
	buffer_load_dword v43, off, s[0:3], 0 offset:116
	v_cmp_lt_u32_e64 s[4:5], 14, v0
	s_waitcnt vmcnt(0)
	ds_write_b64 v44, v[42:43]
	s_waitcnt lgkmcnt(0)
	; wave barrier
	s_waitcnt lgkmcnt(0)
	s_and_saveexec_b64 s[10:11], s[4:5]
	s_cbranch_execz .LBB19_46
; %bb.37:
	s_andn2_b64 vcc, exec, s[8:9]
	s_cbranch_vccnz .LBB19_39
; %bb.38:
	buffer_load_dword v42, v45, s[0:3], 0 offen
	buffer_load_dword v43, v45, s[0:3], 0 offen offset:4
	ds_read_b64 v[62:63], v44
	s_waitcnt vmcnt(0) lgkmcnt(0)
	v_mul_f64 v[42:43], v[42:43], v[62:63]
	s_cbranch_execz .LBB19_40
	s_branch .LBB19_41
.LBB19_39:
                                        ; implicit-def: $vgpr42_vgpr43
.LBB19_40:
	ds_read_b64 v[42:43], v44
.LBB19_41:
	s_and_saveexec_b64 s[12:13], s[6:7]
	s_cbranch_execz .LBB19_45
; %bb.42:
	v_add_u32_e32 v61, -15, v0
	s_movk_i32 s14, 0x118
	s_mov_b64 s[6:7], 0
.LBB19_43:                              ; =>This Inner Loop Header: Depth=1
	buffer_load_dword v62, v60, s[0:3], 0 offen
	buffer_load_dword v63, v60, s[0:3], 0 offen offset:4
	v_mov_b32_e32 v64, s14
	ds_read_b64 v[64:65], v64
	v_add_u32_e32 v61, -1, v61
	s_add_i32 s14, s14, 8
	v_cmp_eq_u32_e32 vcc, 0, v61
	v_add_u32_e32 v60, 8, v60
	s_or_b64 s[6:7], vcc, s[6:7]
	s_waitcnt vmcnt(0) lgkmcnt(0)
	v_fmac_f64_e32 v[42:43], v[62:63], v[64:65]
	s_andn2_b64 exec, exec, s[6:7]
	s_cbranch_execnz .LBB19_43
; %bb.44:
	s_or_b64 exec, exec, s[6:7]
.LBB19_45:
	s_or_b64 exec, exec, s[12:13]
	v_mov_b32_e32 v60, 0
	ds_read_b64 v[60:61], v60 offset:112
	s_waitcnt lgkmcnt(0)
	v_mul_f64 v[42:43], v[42:43], v[60:61]
	buffer_store_dword v43, off, s[0:3], 0 offset:116
	buffer_store_dword v42, off, s[0:3], 0 offset:112
.LBB19_46:
	;; [unrolled: 58-line block ×7, first 2 shown]
	s_or_b64 exec, exec, s[10:11]
	buffer_load_dword v42, off, s[0:3], 0 offset:64
	buffer_load_dword v43, off, s[0:3], 0 offset:68
	v_cmp_lt_u32_e64 s[4:5], 8, v0
	s_waitcnt vmcnt(0)
	ds_write_b64 v44, v[42:43]
	s_waitcnt lgkmcnt(0)
	; wave barrier
	s_waitcnt lgkmcnt(0)
	s_and_saveexec_b64 s[10:11], s[4:5]
	s_cbranch_execz .LBB19_106
; %bb.97:
	s_andn2_b64 vcc, exec, s[8:9]
	s_cbranch_vccnz .LBB19_99
; %bb.98:
	buffer_load_dword v42, v45, s[0:3], 0 offen
	buffer_load_dword v43, v45, s[0:3], 0 offen offset:4
	ds_read_b64 v[56:57], v44
	s_waitcnt vmcnt(0) lgkmcnt(0)
	v_mul_f64 v[42:43], v[42:43], v[56:57]
	s_cbranch_execz .LBB19_100
	s_branch .LBB19_101
.LBB19_99:
                                        ; implicit-def: $vgpr42_vgpr43
.LBB19_100:
	ds_read_b64 v[42:43], v44
.LBB19_101:
	s_and_saveexec_b64 s[12:13], s[6:7]
	s_cbranch_execz .LBB19_105
; %bb.102:
	v_add_u32_e32 v55, -9, v0
	s_movk_i32 s14, 0xe8
	s_mov_b64 s[6:7], 0
.LBB19_103:                             ; =>This Inner Loop Header: Depth=1
	buffer_load_dword v56, v54, s[0:3], 0 offen
	buffer_load_dword v57, v54, s[0:3], 0 offen offset:4
	v_mov_b32_e32 v58, s14
	ds_read_b64 v[58:59], v58
	v_add_u32_e32 v55, -1, v55
	s_add_i32 s14, s14, 8
	v_cmp_eq_u32_e32 vcc, 0, v55
	v_add_u32_e32 v54, 8, v54
	s_or_b64 s[6:7], vcc, s[6:7]
	s_waitcnt vmcnt(0) lgkmcnt(0)
	v_fmac_f64_e32 v[42:43], v[56:57], v[58:59]
	s_andn2_b64 exec, exec, s[6:7]
	s_cbranch_execnz .LBB19_103
; %bb.104:
	s_or_b64 exec, exec, s[6:7]
.LBB19_105:
	s_or_b64 exec, exec, s[12:13]
	v_mov_b32_e32 v54, 0
	ds_read_b64 v[54:55], v54 offset:64
	s_waitcnt lgkmcnt(0)
	v_mul_f64 v[42:43], v[42:43], v[54:55]
	buffer_store_dword v43, off, s[0:3], 0 offset:68
	buffer_store_dword v42, off, s[0:3], 0 offset:64
.LBB19_106:
	s_or_b64 exec, exec, s[10:11]
	buffer_load_dword v42, off, s[0:3], 0 offset:56
	buffer_load_dword v43, off, s[0:3], 0 offset:60
	v_cmp_lt_u32_e64 s[6:7], 7, v0
	s_waitcnt vmcnt(0)
	ds_write_b64 v44, v[42:43]
	s_waitcnt lgkmcnt(0)
	; wave barrier
	s_waitcnt lgkmcnt(0)
	s_and_saveexec_b64 s[10:11], s[6:7]
	s_cbranch_execz .LBB19_116
; %bb.107:
	s_andn2_b64 vcc, exec, s[8:9]
	s_cbranch_vccnz .LBB19_109
; %bb.108:
	buffer_load_dword v42, v45, s[0:3], 0 offen
	buffer_load_dword v43, v45, s[0:3], 0 offen offset:4
	ds_read_b64 v[54:55], v44
	s_waitcnt vmcnt(0) lgkmcnt(0)
	v_mul_f64 v[42:43], v[42:43], v[54:55]
	s_cbranch_execz .LBB19_110
	s_branch .LBB19_111
.LBB19_109:
                                        ; implicit-def: $vgpr42_vgpr43
.LBB19_110:
	ds_read_b64 v[42:43], v44
.LBB19_111:
	s_and_saveexec_b64 s[12:13], s[4:5]
	s_cbranch_execz .LBB19_115
; %bb.112:
	v_add_u32_e32 v54, -8, v0
	s_movk_i32 s14, 0xe0
	s_mov_b64 s[4:5], 0
.LBB19_113:                             ; =>This Inner Loop Header: Depth=1
	buffer_load_dword v56, v53, s[0:3], 0 offen
	buffer_load_dword v57, v53, s[0:3], 0 offen offset:4
	v_mov_b32_e32 v55, s14
	ds_read_b64 v[58:59], v55
	v_add_u32_e32 v54, -1, v54
	s_add_i32 s14, s14, 8
	v_cmp_eq_u32_e32 vcc, 0, v54
	v_add_u32_e32 v53, 8, v53
	s_or_b64 s[4:5], vcc, s[4:5]
	s_waitcnt vmcnt(0) lgkmcnt(0)
	v_fmac_f64_e32 v[42:43], v[56:57], v[58:59]
	s_andn2_b64 exec, exec, s[4:5]
	s_cbranch_execnz .LBB19_113
; %bb.114:
	s_or_b64 exec, exec, s[4:5]
.LBB19_115:
	s_or_b64 exec, exec, s[12:13]
	v_mov_b32_e32 v53, 0
	ds_read_b64 v[54:55], v53 offset:56
	s_waitcnt lgkmcnt(0)
	v_mul_f64 v[42:43], v[42:43], v[54:55]
	buffer_store_dword v43, off, s[0:3], 0 offset:60
	buffer_store_dword v42, off, s[0:3], 0 offset:56
.LBB19_116:
	;; [unrolled: 58-line block ×8, first 2 shown]
	s_or_b64 exec, exec, s[10:11]
	buffer_load_dword v42, off, s[0:3], 0
	buffer_load_dword v43, off, s[0:3], 0 offset:4
	v_cmp_ne_u32_e32 vcc, 0, v0
	s_waitcnt vmcnt(0)
	ds_write_b64 v44, v[42:43]
	s_waitcnt lgkmcnt(0)
	; wave barrier
	s_waitcnt lgkmcnt(0)
	s_and_saveexec_b64 s[4:5], vcc
	s_cbranch_execz .LBB19_186
; %bb.177:
	s_andn2_b64 vcc, exec, s[8:9]
	s_cbranch_vccnz .LBB19_179
; %bb.178:
	buffer_load_dword v42, v45, s[0:3], 0 offen
	buffer_load_dword v43, v45, s[0:3], 0 offen offset:4
	ds_read_b64 v[48:49], v44
	s_waitcnt vmcnt(0) lgkmcnt(0)
	v_mul_f64 v[42:43], v[42:43], v[48:49]
	s_cbranch_execz .LBB19_180
	s_branch .LBB19_181
.LBB19_179:
                                        ; implicit-def: $vgpr42_vgpr43
.LBB19_180:
	ds_read_b64 v[42:43], v44
.LBB19_181:
	s_and_saveexec_b64 s[10:11], s[6:7]
	s_cbranch_execz .LBB19_185
; %bb.182:
	v_add_u32_e32 v47, -1, v0
	s_movk_i32 s12, 0xa8
	s_mov_b64 s[6:7], 0
.LBB19_183:                             ; =>This Inner Loop Header: Depth=1
	buffer_load_dword v48, v46, s[0:3], 0 offen
	buffer_load_dword v49, v46, s[0:3], 0 offen offset:4
	v_mov_b32_e32 v50, s12
	ds_read_b64 v[50:51], v50
	v_add_u32_e32 v47, -1, v47
	s_add_i32 s12, s12, 8
	v_cmp_eq_u32_e32 vcc, 0, v47
	v_add_u32_e32 v46, 8, v46
	s_or_b64 s[6:7], vcc, s[6:7]
	s_waitcnt vmcnt(0) lgkmcnt(0)
	v_fmac_f64_e32 v[42:43], v[48:49], v[50:51]
	s_andn2_b64 exec, exec, s[6:7]
	s_cbranch_execnz .LBB19_183
; %bb.184:
	s_or_b64 exec, exec, s[6:7]
.LBB19_185:
	s_or_b64 exec, exec, s[10:11]
	v_mov_b32_e32 v46, 0
	ds_read_b64 v[46:47], v46
	s_waitcnt lgkmcnt(0)
	v_mul_f64 v[42:43], v[42:43], v[46:47]
	buffer_store_dword v43, off, s[0:3], 0 offset:4
	buffer_store_dword v42, off, s[0:3], 0
.LBB19_186:
	s_or_b64 exec, exec, s[4:5]
	s_mov_b64 s[4:5], 0
.LBB19_187:
	s_and_b64 vcc, exec, s[4:5]
	s_cbranch_vccz .LBB19_371
; %bb.188:
	buffer_load_dword v42, off, s[0:3], 0 offset:8
	buffer_load_dword v43, off, s[0:3], 0 offset:12
	v_cmp_eq_u32_e64 s[6:7], 0, v0
	s_waitcnt vmcnt(0)
	ds_write_b64 v44, v[42:43]
	s_waitcnt lgkmcnt(0)
	; wave barrier
	s_waitcnt lgkmcnt(0)
	s_and_saveexec_b64 s[4:5], s[6:7]
	s_cbranch_execz .LBB19_194
; %bb.189:
	s_and_b64 vcc, exec, s[8:9]
	s_cbranch_vccz .LBB19_191
; %bb.190:
	buffer_load_dword v42, v45, s[0:3], 0 offen
	buffer_load_dword v43, v45, s[0:3], 0 offen offset:4
	ds_read_b64 v[46:47], v44
	s_waitcnt vmcnt(0) lgkmcnt(0)
	v_mul_f64 v[42:43], v[42:43], v[46:47]
	s_cbranch_execz .LBB19_192
	s_branch .LBB19_193
.LBB19_191:
                                        ; implicit-def: $vgpr42_vgpr43
.LBB19_192:
	ds_read_b64 v[42:43], v44
.LBB19_193:
	v_mov_b32_e32 v46, 0
	ds_read_b64 v[46:47], v46 offset:8
	s_waitcnt lgkmcnt(0)
	v_mul_f64 v[42:43], v[42:43], v[46:47]
	buffer_store_dword v43, off, s[0:3], 0 offset:12
	buffer_store_dword v42, off, s[0:3], 0 offset:8
.LBB19_194:
	s_or_b64 exec, exec, s[4:5]
	buffer_load_dword v42, off, s[0:3], 0 offset:16
	buffer_load_dword v43, off, s[0:3], 0 offset:20
	v_cndmask_b32_e64 v46, 0, 1, s[8:9]
	v_cmp_gt_u32_e32 vcc, 2, v0
	v_cmp_ne_u32_e64 s[4:5], 1, v46
	s_waitcnt vmcnt(0)
	ds_write_b64 v44, v[42:43]
	s_waitcnt lgkmcnt(0)
	; wave barrier
	s_waitcnt lgkmcnt(0)
	s_and_saveexec_b64 s[8:9], vcc
	s_cbranch_execz .LBB19_202
; %bb.195:
	s_and_b64 vcc, exec, s[4:5]
	s_cbranch_vccnz .LBB19_197
; %bb.196:
	buffer_load_dword v42, v45, s[0:3], 0 offen
	buffer_load_dword v43, v45, s[0:3], 0 offen offset:4
	ds_read_b64 v[46:47], v44
	s_waitcnt vmcnt(0) lgkmcnt(0)
	v_mul_f64 v[42:43], v[42:43], v[46:47]
	s_cbranch_execz .LBB19_198
	s_branch .LBB19_199
.LBB19_197:
                                        ; implicit-def: $vgpr42_vgpr43
.LBB19_198:
	ds_read_b64 v[42:43], v44
.LBB19_199:
	s_and_saveexec_b64 s[10:11], s[6:7]
	s_cbranch_execz .LBB19_201
; %bb.200:
	buffer_load_dword v46, v45, s[0:3], 0 offen offset:8
	buffer_load_dword v47, v45, s[0:3], 0 offen offset:12
	ds_read_b64 v[48:49], v44 offset:8
	s_waitcnt vmcnt(0) lgkmcnt(0)
	v_fmac_f64_e32 v[42:43], v[46:47], v[48:49]
.LBB19_201:
	s_or_b64 exec, exec, s[10:11]
	v_mov_b32_e32 v46, 0
	ds_read_b64 v[46:47], v46 offset:16
	s_waitcnt lgkmcnt(0)
	v_mul_f64 v[42:43], v[42:43], v[46:47]
	buffer_store_dword v43, off, s[0:3], 0 offset:20
	buffer_store_dword v42, off, s[0:3], 0 offset:16
.LBB19_202:
	s_or_b64 exec, exec, s[8:9]
	buffer_load_dword v42, off, s[0:3], 0 offset:24
	buffer_load_dword v43, off, s[0:3], 0 offset:28
	v_cmp_gt_u32_e32 vcc, 3, v0
	s_waitcnt vmcnt(0)
	ds_write_b64 v44, v[42:43]
	s_waitcnt lgkmcnt(0)
	; wave barrier
	s_waitcnt lgkmcnt(0)
	s_and_saveexec_b64 s[8:9], vcc
	s_cbranch_execz .LBB19_210
; %bb.203:
	s_and_b64 vcc, exec, s[4:5]
	s_cbranch_vccnz .LBB19_205
; %bb.204:
	buffer_load_dword v42, v45, s[0:3], 0 offen
	buffer_load_dword v43, v45, s[0:3], 0 offen offset:4
	ds_read_b64 v[46:47], v44
	s_waitcnt vmcnt(0) lgkmcnt(0)
	v_mul_f64 v[42:43], v[42:43], v[46:47]
	s_cbranch_execz .LBB19_206
	s_branch .LBB19_207
.LBB19_205:
                                        ; implicit-def: $vgpr42_vgpr43
.LBB19_206:
	ds_read_b64 v[42:43], v44
.LBB19_207:
	v_cmp_ne_u32_e32 vcc, 2, v0
	s_and_saveexec_b64 s[10:11], vcc
	s_cbranch_execz .LBB19_209
; %bb.208:
	buffer_load_dword v47, v45, s[0:3], 0 offen offset:12
	buffer_load_dword v48, off, s[0:3], 0 offset:16
	buffer_load_dword v46, v45, s[0:3], 0 offen offset:8
	buffer_load_dword v49, off, s[0:3], 0 offset:20
	v_mov_b32_e32 v52, 0
	ds_read_b64 v[50:51], v44 offset:8
	ds_read_b64 v[52:53], v52 offset:176
	s_waitcnt vmcnt(1) lgkmcnt(1)
	v_fmac_f64_e32 v[42:43], v[46:47], v[50:51]
	s_waitcnt vmcnt(0) lgkmcnt(0)
	v_fma_f64 v[46:47], v[48:49], v[52:53], v[42:43]
	v_cndmask_b32_e64 v43, v43, v47, s[6:7]
	v_cndmask_b32_e64 v42, v42, v46, s[6:7]
.LBB19_209:
	s_or_b64 exec, exec, s[10:11]
	v_mov_b32_e32 v46, 0
	ds_read_b64 v[46:47], v46 offset:24
	s_waitcnt lgkmcnt(0)
	v_mul_f64 v[42:43], v[42:43], v[46:47]
	buffer_store_dword v43, off, s[0:3], 0 offset:28
	buffer_store_dword v42, off, s[0:3], 0 offset:24
.LBB19_210:
	s_or_b64 exec, exec, s[8:9]
	buffer_load_dword v42, off, s[0:3], 0 offset:32
	buffer_load_dword v43, off, s[0:3], 0 offset:36
	v_cmp_gt_u32_e32 vcc, 4, v0
	s_waitcnt vmcnt(0)
	ds_write_b64 v44, v[42:43]
	s_waitcnt lgkmcnt(0)
	; wave barrier
	s_waitcnt lgkmcnt(0)
	s_and_saveexec_b64 s[6:7], vcc
	s_cbranch_execz .LBB19_220
; %bb.211:
	s_and_b64 vcc, exec, s[4:5]
	s_cbranch_vccnz .LBB19_213
; %bb.212:
	buffer_load_dword v42, v45, s[0:3], 0 offen
	buffer_load_dword v43, v45, s[0:3], 0 offen offset:4
	ds_read_b64 v[46:47], v44
	s_waitcnt vmcnt(0) lgkmcnt(0)
	v_mul_f64 v[42:43], v[42:43], v[46:47]
	s_cbranch_execz .LBB19_214
	s_branch .LBB19_215
.LBB19_213:
                                        ; implicit-def: $vgpr42_vgpr43
.LBB19_214:
	ds_read_b64 v[42:43], v44
.LBB19_215:
	v_cmp_ne_u32_e32 vcc, 3, v0
	s_and_saveexec_b64 s[8:9], vcc
	s_cbranch_execz .LBB19_219
; %bb.216:
	v_mov_b32_e32 v47, 0
	v_add_u32_e32 v46, 0xa8, v1
	v_add3_u32 v47, v1, v47, 8
	s_mov_b64 s[10:11], 0
	v_mov_b32_e32 v48, v0
.LBB19_217:                             ; =>This Inner Loop Header: Depth=1
	buffer_load_dword v50, v47, s[0:3], 0 offen
	buffer_load_dword v51, v47, s[0:3], 0 offen offset:4
	ds_read_b64 v[52:53], v46
	v_add_u32_e32 v48, 1, v48
	v_cmp_lt_u32_e32 vcc, 2, v48
	v_add_u32_e32 v46, 8, v46
	v_add_u32_e32 v47, 8, v47
	s_or_b64 s[10:11], vcc, s[10:11]
	s_waitcnt vmcnt(0) lgkmcnt(0)
	v_fmac_f64_e32 v[42:43], v[50:51], v[52:53]
	s_andn2_b64 exec, exec, s[10:11]
	s_cbranch_execnz .LBB19_217
; %bb.218:
	s_or_b64 exec, exec, s[10:11]
.LBB19_219:
	s_or_b64 exec, exec, s[8:9]
	v_mov_b32_e32 v46, 0
	ds_read_b64 v[46:47], v46 offset:32
	s_waitcnt lgkmcnt(0)
	v_mul_f64 v[42:43], v[42:43], v[46:47]
	buffer_store_dword v43, off, s[0:3], 0 offset:36
	buffer_store_dword v42, off, s[0:3], 0 offset:32
.LBB19_220:
	s_or_b64 exec, exec, s[6:7]
	buffer_load_dword v42, off, s[0:3], 0 offset:40
	buffer_load_dword v43, off, s[0:3], 0 offset:44
	v_cmp_gt_u32_e32 vcc, 5, v0
	s_waitcnt vmcnt(0)
	ds_write_b64 v44, v[42:43]
	s_waitcnt lgkmcnt(0)
	; wave barrier
	s_waitcnt lgkmcnt(0)
	s_and_saveexec_b64 s[6:7], vcc
	s_cbranch_execz .LBB19_230
; %bb.221:
	s_and_b64 vcc, exec, s[4:5]
	s_cbranch_vccnz .LBB19_223
; %bb.222:
	buffer_load_dword v42, v45, s[0:3], 0 offen
	buffer_load_dword v43, v45, s[0:3], 0 offen offset:4
	ds_read_b64 v[46:47], v44
	s_waitcnt vmcnt(0) lgkmcnt(0)
	v_mul_f64 v[42:43], v[42:43], v[46:47]
	s_cbranch_execz .LBB19_224
	s_branch .LBB19_225
.LBB19_223:
                                        ; implicit-def: $vgpr42_vgpr43
.LBB19_224:
	ds_read_b64 v[42:43], v44
.LBB19_225:
	v_cmp_ne_u32_e32 vcc, 4, v0
	s_and_saveexec_b64 s[8:9], vcc
	s_cbranch_execz .LBB19_229
; %bb.226:
	v_mov_b32_e32 v47, 0
	v_add_u32_e32 v46, 0xa8, v1
	v_add3_u32 v47, v1, v47, 8
	s_mov_b64 s[10:11], 0
	v_mov_b32_e32 v48, v0
.LBB19_227:                             ; =>This Inner Loop Header: Depth=1
	buffer_load_dword v50, v47, s[0:3], 0 offen
	buffer_load_dword v51, v47, s[0:3], 0 offen offset:4
	ds_read_b64 v[52:53], v46
	v_add_u32_e32 v48, 1, v48
	v_cmp_lt_u32_e32 vcc, 3, v48
	v_add_u32_e32 v46, 8, v46
	v_add_u32_e32 v47, 8, v47
	s_or_b64 s[10:11], vcc, s[10:11]
	s_waitcnt vmcnt(0) lgkmcnt(0)
	v_fmac_f64_e32 v[42:43], v[50:51], v[52:53]
	s_andn2_b64 exec, exec, s[10:11]
	s_cbranch_execnz .LBB19_227
; %bb.228:
	s_or_b64 exec, exec, s[10:11]
.LBB19_229:
	s_or_b64 exec, exec, s[8:9]
	v_mov_b32_e32 v46, 0
	ds_read_b64 v[46:47], v46 offset:40
	s_waitcnt lgkmcnt(0)
	v_mul_f64 v[42:43], v[42:43], v[46:47]
	buffer_store_dword v43, off, s[0:3], 0 offset:44
	buffer_store_dword v42, off, s[0:3], 0 offset:40
.LBB19_230:
	;; [unrolled: 60-line block ×14, first 2 shown]
	s_or_b64 exec, exec, s[6:7]
	buffer_load_dword v42, off, s[0:3], 0 offset:144
	buffer_load_dword v43, off, s[0:3], 0 offset:148
	v_cmp_gt_u32_e64 s[6:7], 18, v0
	s_waitcnt vmcnt(0)
	ds_write_b64 v44, v[42:43]
	s_waitcnt lgkmcnt(0)
	; wave barrier
	s_waitcnt lgkmcnt(0)
	s_and_saveexec_b64 s[8:9], s[6:7]
	s_cbranch_execz .LBB19_360
; %bb.351:
	s_and_b64 vcc, exec, s[4:5]
	s_cbranch_vccnz .LBB19_353
; %bb.352:
	buffer_load_dword v42, v45, s[0:3], 0 offen
	buffer_load_dword v43, v45, s[0:3], 0 offen offset:4
	ds_read_b64 v[46:47], v44
	s_waitcnt vmcnt(0) lgkmcnt(0)
	v_mul_f64 v[42:43], v[42:43], v[46:47]
	s_cbranch_execz .LBB19_354
	s_branch .LBB19_355
.LBB19_353:
                                        ; implicit-def: $vgpr42_vgpr43
.LBB19_354:
	ds_read_b64 v[42:43], v44
.LBB19_355:
	v_cmp_ne_u32_e32 vcc, 17, v0
	s_and_saveexec_b64 s[10:11], vcc
	s_cbranch_execz .LBB19_359
; %bb.356:
	v_mov_b32_e32 v47, 0
	v_add_u32_e32 v46, 0xa8, v1
	v_add3_u32 v47, v1, v47, 8
	s_mov_b64 s[12:13], 0
	v_mov_b32_e32 v48, v0
.LBB19_357:                             ; =>This Inner Loop Header: Depth=1
	buffer_load_dword v50, v47, s[0:3], 0 offen
	buffer_load_dword v51, v47, s[0:3], 0 offen offset:4
	ds_read_b64 v[52:53], v46
	v_add_u32_e32 v48, 1, v48
	v_cmp_lt_u32_e32 vcc, 16, v48
	v_add_u32_e32 v46, 8, v46
	v_add_u32_e32 v47, 8, v47
	s_or_b64 s[12:13], vcc, s[12:13]
	s_waitcnt vmcnt(0) lgkmcnt(0)
	v_fmac_f64_e32 v[42:43], v[50:51], v[52:53]
	s_andn2_b64 exec, exec, s[12:13]
	s_cbranch_execnz .LBB19_357
; %bb.358:
	s_or_b64 exec, exec, s[12:13]
.LBB19_359:
	s_or_b64 exec, exec, s[10:11]
	v_mov_b32_e32 v46, 0
	ds_read_b64 v[46:47], v46 offset:144
	s_waitcnt lgkmcnt(0)
	v_mul_f64 v[42:43], v[42:43], v[46:47]
	buffer_store_dword v43, off, s[0:3], 0 offset:148
	buffer_store_dword v42, off, s[0:3], 0 offset:144
.LBB19_360:
	s_or_b64 exec, exec, s[8:9]
	buffer_load_dword v42, off, s[0:3], 0 offset:152
	buffer_load_dword v43, off, s[0:3], 0 offset:156
	v_cmp_ne_u32_e32 vcc, 19, v0
	s_waitcnt vmcnt(0)
	ds_write_b64 v44, v[42:43]
	s_waitcnt lgkmcnt(0)
	; wave barrier
	s_waitcnt lgkmcnt(0)
	s_and_saveexec_b64 s[8:9], vcc
	s_cbranch_execz .LBB19_370
; %bb.361:
	s_and_b64 vcc, exec, s[4:5]
	s_cbranch_vccnz .LBB19_363
; %bb.362:
	buffer_load_dword v42, v45, s[0:3], 0 offen
	buffer_load_dword v43, v45, s[0:3], 0 offen offset:4
	ds_read_b64 v[46:47], v44
	s_waitcnt vmcnt(0) lgkmcnt(0)
	v_mul_f64 v[42:43], v[42:43], v[46:47]
	s_cbranch_execz .LBB19_364
	s_branch .LBB19_365
.LBB19_363:
                                        ; implicit-def: $vgpr42_vgpr43
.LBB19_364:
	ds_read_b64 v[42:43], v44
.LBB19_365:
	s_and_saveexec_b64 s[4:5], s[6:7]
	s_cbranch_execz .LBB19_369
; %bb.366:
	v_mov_b32_e32 v45, 0
	v_add_u32_e32 v44, 0xa8, v1
	v_add3_u32 v1, v1, v45, 8
	s_mov_b64 s[6:7], 0
.LBB19_367:                             ; =>This Inner Loop Header: Depth=1
	buffer_load_dword v46, v1, s[0:3], 0 offen
	buffer_load_dword v47, v1, s[0:3], 0 offen offset:4
	ds_read_b64 v[48:49], v44
	v_add_u32_e32 v0, 1, v0
	v_cmp_lt_u32_e32 vcc, 17, v0
	v_add_u32_e32 v44, 8, v44
	v_add_u32_e32 v1, 8, v1
	s_or_b64 s[6:7], vcc, s[6:7]
	s_waitcnt vmcnt(0) lgkmcnt(0)
	v_fmac_f64_e32 v[42:43], v[46:47], v[48:49]
	s_andn2_b64 exec, exec, s[6:7]
	s_cbranch_execnz .LBB19_367
; %bb.368:
	s_or_b64 exec, exec, s[6:7]
.LBB19_369:
	s_or_b64 exec, exec, s[4:5]
	v_mov_b32_e32 v0, 0
	ds_read_b64 v[0:1], v0 offset:152
	s_waitcnt lgkmcnt(0)
	v_mul_f64 v[0:1], v[42:43], v[0:1]
	buffer_store_dword v1, off, s[0:3], 0 offset:156
	buffer_store_dword v0, off, s[0:3], 0 offset:152
.LBB19_370:
	s_or_b64 exec, exec, s[8:9]
.LBB19_371:
	buffer_load_dword v0, off, s[0:3], 0
	buffer_load_dword v1, off, s[0:3], 0 offset:4
	buffer_load_dword v42, off, s[0:3], 0 offset:8
	;; [unrolled: 1-line block ×15, first 2 shown]
	s_waitcnt vmcnt(14)
	global_store_dwordx2 v[2:3], v[0:1], off
	s_waitcnt vmcnt(13)
	global_store_dwordx2 v[4:5], v[42:43], off
	;; [unrolled: 2-line block ×8, first 2 shown]
	buffer_load_dword v1, off, s[0:3], 0 offset:68
	buffer_load_dword v0, off, s[0:3], 0 offset:64
	s_waitcnt vmcnt(0)
	global_store_dwordx2 v[22:23], v[0:1], off
	buffer_load_dword v0, off, s[0:3], 0 offset:72
	s_nop 0
	buffer_load_dword v1, off, s[0:3], 0 offset:76
	s_waitcnt vmcnt(0)
	global_store_dwordx2 v[16:17], v[0:1], off
	buffer_load_dword v0, off, s[0:3], 0 offset:80
	s_nop 0
	;; [unrolled: 5-line block ×11, first 2 shown]
	buffer_load_dword v1, off, s[0:3], 0 offset:156
	s_waitcnt vmcnt(0)
	global_store_dwordx2 v[24:25], v[0:1], off
.LBB19_372:
	s_endpgm
	.section	.rodata,"a",@progbits
	.p2align	6, 0x0
	.amdhsa_kernel _ZN9rocsolver6v33100L18trti2_kernel_smallILi20EdPdEEv13rocblas_fill_17rocblas_diagonal_T1_iil
		.amdhsa_group_segment_fixed_size 320
		.amdhsa_private_segment_fixed_size 176
		.amdhsa_kernarg_size 32
		.amdhsa_user_sgpr_count 8
		.amdhsa_user_sgpr_private_segment_buffer 1
		.amdhsa_user_sgpr_dispatch_ptr 0
		.amdhsa_user_sgpr_queue_ptr 0
		.amdhsa_user_sgpr_kernarg_segment_ptr 1
		.amdhsa_user_sgpr_dispatch_id 0
		.amdhsa_user_sgpr_flat_scratch_init 1
		.amdhsa_user_sgpr_kernarg_preload_length 0
		.amdhsa_user_sgpr_kernarg_preload_offset 0
		.amdhsa_user_sgpr_private_segment_size 0
		.amdhsa_uses_dynamic_stack 0
		.amdhsa_system_sgpr_private_segment_wavefront_offset 1
		.amdhsa_system_sgpr_workgroup_id_x 1
		.amdhsa_system_sgpr_workgroup_id_y 0
		.amdhsa_system_sgpr_workgroup_id_z 0
		.amdhsa_system_sgpr_workgroup_info 0
		.amdhsa_system_vgpr_workitem_id 0
		.amdhsa_next_free_vgpr 70
		.amdhsa_next_free_sgpr 20
		.amdhsa_accum_offset 72
		.amdhsa_reserve_vcc 1
		.amdhsa_reserve_flat_scratch 0
		.amdhsa_float_round_mode_32 0
		.amdhsa_float_round_mode_16_64 0
		.amdhsa_float_denorm_mode_32 3
		.amdhsa_float_denorm_mode_16_64 3
		.amdhsa_dx10_clamp 1
		.amdhsa_ieee_mode 1
		.amdhsa_fp16_overflow 0
		.amdhsa_tg_split 0
		.amdhsa_exception_fp_ieee_invalid_op 0
		.amdhsa_exception_fp_denorm_src 0
		.amdhsa_exception_fp_ieee_div_zero 0
		.amdhsa_exception_fp_ieee_overflow 0
		.amdhsa_exception_fp_ieee_underflow 0
		.amdhsa_exception_fp_ieee_inexact 0
		.amdhsa_exception_int_div_zero 0
	.end_amdhsa_kernel
	.section	.text._ZN9rocsolver6v33100L18trti2_kernel_smallILi20EdPdEEv13rocblas_fill_17rocblas_diagonal_T1_iil,"axG",@progbits,_ZN9rocsolver6v33100L18trti2_kernel_smallILi20EdPdEEv13rocblas_fill_17rocblas_diagonal_T1_iil,comdat
.Lfunc_end19:
	.size	_ZN9rocsolver6v33100L18trti2_kernel_smallILi20EdPdEEv13rocblas_fill_17rocblas_diagonal_T1_iil, .Lfunc_end19-_ZN9rocsolver6v33100L18trti2_kernel_smallILi20EdPdEEv13rocblas_fill_17rocblas_diagonal_T1_iil
                                        ; -- End function
	.section	.AMDGPU.csdata,"",@progbits
; Kernel info:
; codeLenInByte = 11448
; NumSgprs: 24
; NumVgprs: 70
; NumAgprs: 0
; TotalNumVgprs: 70
; ScratchSize: 176
; MemoryBound: 0
; FloatMode: 240
; IeeeMode: 1
; LDSByteSize: 320 bytes/workgroup (compile time only)
; SGPRBlocks: 2
; VGPRBlocks: 8
; NumSGPRsForWavesPerEU: 24
; NumVGPRsForWavesPerEU: 70
; AccumOffset: 72
; Occupancy: 7
; WaveLimiterHint : 0
; COMPUTE_PGM_RSRC2:SCRATCH_EN: 1
; COMPUTE_PGM_RSRC2:USER_SGPR: 8
; COMPUTE_PGM_RSRC2:TRAP_HANDLER: 0
; COMPUTE_PGM_RSRC2:TGID_X_EN: 1
; COMPUTE_PGM_RSRC2:TGID_Y_EN: 0
; COMPUTE_PGM_RSRC2:TGID_Z_EN: 0
; COMPUTE_PGM_RSRC2:TIDIG_COMP_CNT: 0
; COMPUTE_PGM_RSRC3_GFX90A:ACCUM_OFFSET: 17
; COMPUTE_PGM_RSRC3_GFX90A:TG_SPLIT: 0
	.section	.text._ZN9rocsolver6v33100L18trti2_kernel_smallILi21EdPdEEv13rocblas_fill_17rocblas_diagonal_T1_iil,"axG",@progbits,_ZN9rocsolver6v33100L18trti2_kernel_smallILi21EdPdEEv13rocblas_fill_17rocblas_diagonal_T1_iil,comdat
	.globl	_ZN9rocsolver6v33100L18trti2_kernel_smallILi21EdPdEEv13rocblas_fill_17rocblas_diagonal_T1_iil ; -- Begin function _ZN9rocsolver6v33100L18trti2_kernel_smallILi21EdPdEEv13rocblas_fill_17rocblas_diagonal_T1_iil
	.p2align	8
	.type	_ZN9rocsolver6v33100L18trti2_kernel_smallILi21EdPdEEv13rocblas_fill_17rocblas_diagonal_T1_iil,@function
_ZN9rocsolver6v33100L18trti2_kernel_smallILi21EdPdEEv13rocblas_fill_17rocblas_diagonal_T1_iil: ; @_ZN9rocsolver6v33100L18trti2_kernel_smallILi21EdPdEEv13rocblas_fill_17rocblas_diagonal_T1_iil
; %bb.0:
	s_add_u32 s0, s0, s9
	s_addc_u32 s1, s1, 0
	v_cmp_gt_u32_e32 vcc, 21, v0
	s_and_saveexec_b64 s[6:7], vcc
	s_cbranch_execz .LBB20_392
; %bb.1:
	s_load_dwordx8 s[12:19], s[4:5], 0x0
	s_ashr_i32 s6, s8, 31
	v_lshlrev_b32_e32 v1, 3, v0
	v_mov_b32_e32 v65, 0
	s_waitcnt lgkmcnt(0)
	s_mul_i32 s7, s8, s19
	s_mul_hi_u32 s9, s8, s18
	s_add_i32 s7, s9, s7
	s_mul_i32 s6, s6, s18
	s_add_i32 s7, s7, s6
	s_mul_i32 s6, s8, s18
	s_ashr_i32 s5, s16, 31
	s_lshl_b64 s[6:7], s[6:7], 3
	s_mov_b32 s4, s16
	s_add_u32 s6, s14, s6
	s_addc_u32 s7, s15, s7
	s_lshl_b64 s[4:5], s[4:5], 3
	s_add_u32 s4, s6, s4
	s_addc_u32 s5, s7, s5
	v_mov_b32_e32 v3, s5
	v_add_co_u32_e32 v2, vcc, s4, v1
	s_ashr_i32 s7, s17, 31
	s_mov_b32 s6, s17
	v_addc_co_u32_e32 v3, vcc, 0, v3, vcc
	s_lshl_b64 s[6:7], s[6:7], 3
	v_add_co_u32_e32 v4, vcc, s6, v2
	s_add_i32 s6, s17, s17
	v_add_u32_e32 v8, s6, v0
	v_mov_b32_e32 v5, s7
	v_ashrrev_i32_e32 v9, 31, v8
	v_addc_co_u32_e32 v5, vcc, v3, v5, vcc
	v_lshlrev_b64 v[6:7], 3, v[8:9]
	v_mov_b32_e32 v9, s5
	v_add_co_u32_e32 v6, vcc, s4, v6
	global_load_dwordx2 v[26:27], v1, s[4:5]
	v_addc_co_u32_e32 v7, vcc, v9, v7, vcc
	global_load_dwordx2 v[28:29], v[4:5], off
	global_load_dwordx2 v[30:31], v[6:7], off
	v_add_u32_e32 v10, s17, v8
	v_ashrrev_i32_e32 v11, 31, v10
	v_lshlrev_b64 v[8:9], 3, v[10:11]
	v_mov_b32_e32 v11, s5
	v_add_co_u32_e32 v8, vcc, s4, v8
	v_addc_co_u32_e32 v9, vcc, v11, v9, vcc
	global_load_dwordx2 v[32:33], v[8:9], off
	v_add_u32_e32 v12, s17, v10
	v_ashrrev_i32_e32 v13, 31, v12
	v_lshlrev_b64 v[10:11], 3, v[12:13]
	v_mov_b32_e32 v13, s5
	v_add_co_u32_e32 v10, vcc, s4, v10
	v_addc_co_u32_e32 v11, vcc, v13, v11, vcc
	global_load_dwordx2 v[44:45], v[10:11], off
	v_add_u32_e32 v14, s17, v12
	v_ashrrev_i32_e32 v15, 31, v14
	v_lshlrev_b64 v[12:13], 3, v[14:15]
	v_add_u32_e32 v16, s17, v14
	v_mov_b32_e32 v15, s5
	v_add_co_u32_e32 v12, vcc, s4, v12
	v_ashrrev_i32_e32 v17, 31, v16
	v_addc_co_u32_e32 v13, vcc, v15, v13, vcc
	v_lshlrev_b64 v[14:15], 3, v[16:17]
	v_mov_b32_e32 v17, s5
	v_add_co_u32_e32 v14, vcc, s4, v14
	v_add_u32_e32 v16, s17, v16
	v_addc_co_u32_e32 v15, vcc, v17, v15, vcc
	v_ashrrev_i32_e32 v17, 31, v16
	v_lshlrev_b64 v[18:19], 3, v[16:17]
	v_mov_b32_e32 v17, s5
	v_add_co_u32_e32 v18, vcc, s4, v18
	v_add_u32_e32 v16, s17, v16
	v_addc_co_u32_e32 v19, vcc, v17, v19, vcc
	v_ashrrev_i32_e32 v17, 31, v16
	;; [unrolled: 6-line block ×3, first 2 shown]
	v_lshlrev_b64 v[16:17], 3, v[20:21]
	v_add_u32_e32 v24, s17, v20
	v_mov_b32_e32 v21, s5
	v_add_co_u32_e32 v16, vcc, s4, v16
	v_ashrrev_i32_e32 v25, 31, v24
	v_addc_co_u32_e32 v17, vcc, v21, v17, vcc
	v_lshlrev_b64 v[20:21], 3, v[24:25]
	v_add_u32_e32 v34, s17, v24
	v_mov_b32_e32 v25, s5
	v_add_co_u32_e32 v20, vcc, s4, v20
	v_ashrrev_i32_e32 v35, 31, v34
	global_load_dwordx2 v[46:47], v[12:13], off
	global_load_dwordx2 v[48:49], v[14:15], off
	global_load_dwordx2 v[50:51], v[18:19], off
	global_load_dwordx2 v[52:53], v[22:23], off
	v_addc_co_u32_e32 v21, vcc, v25, v21, vcc
	v_lshlrev_b64 v[24:25], 3, v[34:35]
	s_waitcnt vmcnt(8)
	buffer_store_dword v27, off, s[0:3], 0 offset:4
	buffer_store_dword v26, off, s[0:3], 0
	s_waitcnt vmcnt(9)
	buffer_store_dword v29, off, s[0:3], 0 offset:12
	buffer_store_dword v28, off, s[0:3], 0 offset:8
	s_waitcnt vmcnt(10)
	buffer_store_dword v31, off, s[0:3], 0 offset:20
	buffer_store_dword v30, off, s[0:3], 0 offset:16
	s_waitcnt vmcnt(11)
	buffer_store_dword v33, off, s[0:3], 0 offset:28
	buffer_store_dword v32, off, s[0:3], 0 offset:24
	v_add_u32_e32 v28, s17, v34
	v_mov_b32_e32 v35, s5
	v_add_co_u32_e32 v24, vcc, s4, v24
	v_ashrrev_i32_e32 v29, 31, v28
	v_addc_co_u32_e32 v25, vcc, v35, v25, vcc
	v_lshlrev_b64 v[26:27], 3, v[28:29]
	v_add_u32_e32 v30, s17, v28
	v_mov_b32_e32 v29, s5
	v_add_co_u32_e32 v26, vcc, s4, v26
	v_ashrrev_i32_e32 v31, 31, v30
	v_addc_co_u32_e32 v27, vcc, v29, v27, vcc
	v_lshlrev_b64 v[28:29], 3, v[30:31]
	;; [unrolled: 6-line block ×5, first 2 shown]
	v_add_u32_e32 v38, s17, v36
	v_mov_b32_e32 v37, s5
	v_add_co_u32_e32 v34, vcc, s4, v34
	v_ashrrev_i32_e32 v39, 31, v38
	global_load_dwordx2 v[54:55], v[16:17], off
	global_load_dwordx2 v[56:57], v[20:21], off
	;; [unrolled: 1-line block ×4, first 2 shown]
	v_addc_co_u32_e32 v35, vcc, v37, v35, vcc
	global_load_dwordx2 v[62:63], v[28:29], off
	global_load_dwordx2 v[66:67], v[30:31], off
	global_load_dwordx2 v[68:69], v[32:33], off
	global_load_dwordx2 v[70:71], v[34:35], off
	v_lshlrev_b64 v[36:37], 3, v[38:39]
	v_mov_b32_e32 v39, s5
	v_add_co_u32_e32 v36, vcc, s4, v36
	v_add_u32_e32 v38, s17, v38
	v_addc_co_u32_e32 v37, vcc, v39, v37, vcc
	v_ashrrev_i32_e32 v39, 31, v38
	v_lshlrev_b64 v[40:41], 3, v[38:39]
	v_mov_b32_e32 v39, s5
	v_add_co_u32_e32 v40, vcc, s4, v40
	v_add_u32_e32 v38, s17, v38
	v_addc_co_u32_e32 v41, vcc, v39, v41, vcc
	v_ashrrev_i32_e32 v39, 31, v38
	global_load_dwordx2 v[72:73], v[36:37], off
	v_lshlrev_b64 v[42:43], 3, v[38:39]
	v_mov_b32_e32 v39, s5
	v_add_co_u32_e32 v42, vcc, s4, v42
	v_add_u32_e32 v38, s17, v38
	v_addc_co_u32_e32 v43, vcc, v39, v43, vcc
	v_ashrrev_i32_e32 v39, 31, v38
	global_load_dwordx2 v[74:75], v[40:41], off
	global_load_dwordx2 v[76:77], v[42:43], off
	v_lshlrev_b64 v[38:39], 3, v[38:39]
	v_mov_b32_e32 v64, s5
	v_add_co_u32_e32 v38, vcc, s4, v38
	v_addc_co_u32_e32 v39, vcc, v64, v39, vcc
	s_waitcnt vmcnt(23)
	buffer_store_dword v45, off, s[0:3], 0 offset:36
	buffer_store_dword v44, off, s[0:3], 0 offset:32
	global_load_dwordx2 v[44:45], v[38:39], off
	s_waitcnt vmcnt(25)
	buffer_store_dword v47, off, s[0:3], 0 offset:44
	buffer_store_dword v46, off, s[0:3], 0 offset:40
	s_waitcnt vmcnt(26)
	buffer_store_dword v49, off, s[0:3], 0 offset:52
	buffer_store_dword v48, off, s[0:3], 0 offset:48
	;; [unrolled: 3-line block ×16, first 2 shown]
	s_cmpk_lg_i32 s13, 0x84
	v_mov_b32_e32 v44, 0
	s_cselect_b64 s[8:9], -1, 0
	s_cmpk_eq_i32 s13, 0x84
	v_mov_b32_e32 v45, 0xbff00000
	s_cbranch_scc1 .LBB20_3
; %bb.2:
	v_lshl_add_u32 v54, v0, 3, v65
	buffer_load_dword v44, v54, s[0:3], 0 offen
	buffer_load_dword v45, v54, s[0:3], 0 offen offset:4
	s_waitcnt vmcnt(0)
	v_div_scale_f64 v[46:47], s[4:5], v[44:45], v[44:45], 1.0
	v_rcp_f64_e32 v[48:49], v[46:47]
	v_div_scale_f64 v[50:51], vcc, 1.0, v[44:45], 1.0
	v_fma_f64 v[52:53], -v[46:47], v[48:49], 1.0
	v_fmac_f64_e32 v[48:49], v[48:49], v[52:53]
	v_fma_f64 v[52:53], -v[46:47], v[48:49], 1.0
	v_fmac_f64_e32 v[48:49], v[48:49], v[52:53]
	v_mul_f64 v[52:53], v[50:51], v[48:49]
	v_fma_f64 v[46:47], -v[46:47], v[52:53], v[50:51]
	v_div_fmas_f64 v[46:47], v[46:47], v[48:49], v[52:53]
	v_div_fixup_f64 v[44:45], v[46:47], v[44:45], 1.0
	buffer_store_dword v44, v54, s[0:3], 0 offen
	buffer_store_dword v45, v54, s[0:3], 0 offen offset:4
	v_xor_b32_e32 v45, 0x80000000, v45
.LBB20_3:
	s_cmpk_eq_i32 s12, 0x79
	v_add_u32_e32 v46, 0xb0, v1
	v_add_u32_e32 v47, 0, v1
	s_mov_b64 s[4:5], -1
	ds_write_b64 v1, v[44:45]
	s_cbranch_scc1 .LBB20_197
; %bb.4:
	buffer_load_dword v44, off, s[0:3], 0 offset:152
	buffer_load_dword v45, off, s[0:3], 0 offset:156
	v_cmp_eq_u32_e64 s[4:5], 20, v0
	s_waitcnt vmcnt(0)
	ds_write_b64 v46, v[44:45]
	s_waitcnt lgkmcnt(0)
	; wave barrier
	s_waitcnt lgkmcnt(0)
	s_and_saveexec_b64 s[6:7], s[4:5]
	s_cbranch_execz .LBB20_10
; %bb.5:
	s_and_b64 vcc, exec, s[8:9]
	s_cbranch_vccz .LBB20_7
; %bb.6:
	buffer_load_dword v44, v47, s[0:3], 0 offen
	buffer_load_dword v45, v47, s[0:3], 0 offen offset:4
	ds_read_b64 v[48:49], v46
	s_waitcnt vmcnt(0) lgkmcnt(0)
	v_mul_f64 v[44:45], v[44:45], v[48:49]
	s_cbranch_execz .LBB20_8
	s_branch .LBB20_9
.LBB20_7:
                                        ; implicit-def: $vgpr44_vgpr45
.LBB20_8:
	ds_read_b64 v[44:45], v46
.LBB20_9:
	v_mov_b32_e32 v48, 0
	ds_read_b64 v[48:49], v48 offset:152
	s_waitcnt lgkmcnt(0)
	v_mul_f64 v[44:45], v[44:45], v[48:49]
	buffer_store_dword v45, off, s[0:3], 0 offset:156
	buffer_store_dword v44, off, s[0:3], 0 offset:152
.LBB20_10:
	s_or_b64 exec, exec, s[6:7]
	buffer_load_dword v44, off, s[0:3], 0 offset:144
	buffer_load_dword v45, off, s[0:3], 0 offset:148
	v_or_b32_e32 v48, 8, v65
	v_add_u32_e32 v49, 16, v65
	v_add_u32_e32 v50, 24, v65
	;; [unrolled: 1-line block ×17, first 2 shown]
	v_cmp_lt_u32_e64 s[6:7], 18, v0
	s_waitcnt vmcnt(0)
	ds_write_b64 v46, v[44:45]
	s_waitcnt lgkmcnt(0)
	; wave barrier
	s_waitcnt lgkmcnt(0)
	s_and_saveexec_b64 s[10:11], s[6:7]
	s_cbranch_execz .LBB20_16
; %bb.11:
	s_andn2_b64 vcc, exec, s[8:9]
	s_cbranch_vccnz .LBB20_13
; %bb.12:
	buffer_load_dword v44, v47, s[0:3], 0 offen
	buffer_load_dword v45, v47, s[0:3], 0 offen offset:4
	ds_read_b64 v[66:67], v46
	s_waitcnt vmcnt(0) lgkmcnt(0)
	v_mul_f64 v[44:45], v[44:45], v[66:67]
	s_cbranch_execz .LBB20_14
	s_branch .LBB20_15
.LBB20_13:
                                        ; implicit-def: $vgpr44_vgpr45
.LBB20_14:
	ds_read_b64 v[44:45], v46
.LBB20_15:
	buffer_load_dword v70, off, s[0:3], 0 offset:152
	buffer_load_dword v71, off, s[0:3], 0 offset:156
	v_mov_b32_e32 v66, 0
	ds_read2_b64 v[66:69], v66 offset0:18 offset1:41
	s_waitcnt vmcnt(0) lgkmcnt(0)
	v_fma_f64 v[68:69], v[70:71], v[68:69], v[44:45]
	v_cndmask_b32_e64 v45, v45, v69, s[4:5]
	v_cndmask_b32_e64 v44, v44, v68, s[4:5]
	v_mul_f64 v[44:45], v[44:45], v[66:67]
	buffer_store_dword v45, off, s[0:3], 0 offset:148
	buffer_store_dword v44, off, s[0:3], 0 offset:144
.LBB20_16:
	s_or_b64 exec, exec, s[10:11]
	buffer_load_dword v44, off, s[0:3], 0 offset:136
	buffer_load_dword v45, off, s[0:3], 0 offset:140
	v_cmp_lt_u32_e64 s[4:5], 17, v0
	s_waitcnt vmcnt(0)
	ds_write_b64 v46, v[44:45]
	s_waitcnt lgkmcnt(0)
	; wave barrier
	s_waitcnt lgkmcnt(0)
	s_and_saveexec_b64 s[10:11], s[4:5]
	s_cbranch_execz .LBB20_26
; %bb.17:
	s_andn2_b64 vcc, exec, s[8:9]
	s_cbranch_vccnz .LBB20_19
; %bb.18:
	buffer_load_dword v44, v47, s[0:3], 0 offen
	buffer_load_dword v45, v47, s[0:3], 0 offen offset:4
	ds_read_b64 v[66:67], v46
	s_waitcnt vmcnt(0) lgkmcnt(0)
	v_mul_f64 v[44:45], v[44:45], v[66:67]
	s_cbranch_execz .LBB20_20
	s_branch .LBB20_21
.LBB20_19:
                                        ; implicit-def: $vgpr44_vgpr45
.LBB20_20:
	ds_read_b64 v[44:45], v46
.LBB20_21:
	s_and_saveexec_b64 s[12:13], s[6:7]
	s_cbranch_execz .LBB20_25
; %bb.22:
	v_subrev_u32_e32 v66, 18, v0
	s_movk_i32 s14, 0x140
	s_mov_b64 s[6:7], 0
.LBB20_23:                              ; =>This Inner Loop Header: Depth=1
	buffer_load_dword v68, v65, s[0:3], 0 offen
	buffer_load_dword v69, v65, s[0:3], 0 offen offset:4
	v_mov_b32_e32 v67, s14
	ds_read_b64 v[70:71], v67
	v_add_u32_e32 v66, -1, v66
	s_add_i32 s14, s14, 8
	v_cmp_eq_u32_e32 vcc, 0, v66
	v_add_u32_e32 v65, 8, v65
	s_or_b64 s[6:7], vcc, s[6:7]
	s_waitcnt vmcnt(0) lgkmcnt(0)
	v_fmac_f64_e32 v[44:45], v[68:69], v[70:71]
	s_andn2_b64 exec, exec, s[6:7]
	s_cbranch_execnz .LBB20_23
; %bb.24:
	s_or_b64 exec, exec, s[6:7]
.LBB20_25:
	s_or_b64 exec, exec, s[12:13]
	v_mov_b32_e32 v65, 0
	ds_read_b64 v[66:67], v65 offset:136
	s_waitcnt lgkmcnt(0)
	v_mul_f64 v[44:45], v[44:45], v[66:67]
	buffer_store_dword v45, off, s[0:3], 0 offset:140
	buffer_store_dword v44, off, s[0:3], 0 offset:136
.LBB20_26:
	s_or_b64 exec, exec, s[10:11]
	buffer_load_dword v44, off, s[0:3], 0 offset:128
	buffer_load_dword v45, off, s[0:3], 0 offset:132
	v_cmp_lt_u32_e64 s[6:7], 16, v0
	s_waitcnt vmcnt(0)
	ds_write_b64 v46, v[44:45]
	s_waitcnt lgkmcnt(0)
	; wave barrier
	s_waitcnt lgkmcnt(0)
	s_and_saveexec_b64 s[10:11], s[6:7]
	s_cbranch_execz .LBB20_36
; %bb.27:
	s_andn2_b64 vcc, exec, s[8:9]
	s_cbranch_vccnz .LBB20_29
; %bb.28:
	buffer_load_dword v44, v47, s[0:3], 0 offen
	buffer_load_dword v45, v47, s[0:3], 0 offen offset:4
	ds_read_b64 v[66:67], v46
	s_waitcnt vmcnt(0) lgkmcnt(0)
	v_mul_f64 v[44:45], v[44:45], v[66:67]
	s_cbranch_execz .LBB20_30
	s_branch .LBB20_31
.LBB20_29:
                                        ; implicit-def: $vgpr44_vgpr45
.LBB20_30:
	ds_read_b64 v[44:45], v46
.LBB20_31:
	s_and_saveexec_b64 s[12:13], s[4:5]
	s_cbranch_execz .LBB20_35
; %bb.32:
	v_subrev_u32_e32 v65, 17, v0
	s_movk_i32 s14, 0x138
	s_mov_b64 s[4:5], 0
.LBB20_33:                              ; =>This Inner Loop Header: Depth=1
	buffer_load_dword v66, v64, s[0:3], 0 offen
	buffer_load_dword v67, v64, s[0:3], 0 offen offset:4
	v_mov_b32_e32 v68, s14
	ds_read_b64 v[68:69], v68
	v_add_u32_e32 v65, -1, v65
	s_add_i32 s14, s14, 8
	v_cmp_eq_u32_e32 vcc, 0, v65
	v_add_u32_e32 v64, 8, v64
	s_or_b64 s[4:5], vcc, s[4:5]
	s_waitcnt vmcnt(0) lgkmcnt(0)
	v_fmac_f64_e32 v[44:45], v[66:67], v[68:69]
	s_andn2_b64 exec, exec, s[4:5]
	s_cbranch_execnz .LBB20_33
; %bb.34:
	s_or_b64 exec, exec, s[4:5]
.LBB20_35:
	s_or_b64 exec, exec, s[12:13]
	v_mov_b32_e32 v64, 0
	ds_read_b64 v[64:65], v64 offset:128
	s_waitcnt lgkmcnt(0)
	v_mul_f64 v[44:45], v[44:45], v[64:65]
	buffer_store_dword v45, off, s[0:3], 0 offset:132
	buffer_store_dword v44, off, s[0:3], 0 offset:128
.LBB20_36:
	s_or_b64 exec, exec, s[10:11]
	buffer_load_dword v44, off, s[0:3], 0 offset:120
	buffer_load_dword v45, off, s[0:3], 0 offset:124
	v_cmp_lt_u32_e64 s[4:5], 15, v0
	s_waitcnt vmcnt(0)
	ds_write_b64 v46, v[44:45]
	s_waitcnt lgkmcnt(0)
	; wave barrier
	s_waitcnt lgkmcnt(0)
	s_and_saveexec_b64 s[10:11], s[4:5]
	s_cbranch_execz .LBB20_46
; %bb.37:
	s_andn2_b64 vcc, exec, s[8:9]
	s_cbranch_vccnz .LBB20_39
; %bb.38:
	buffer_load_dword v44, v47, s[0:3], 0 offen
	buffer_load_dword v45, v47, s[0:3], 0 offen offset:4
	ds_read_b64 v[64:65], v46
	s_waitcnt vmcnt(0) lgkmcnt(0)
	v_mul_f64 v[44:45], v[44:45], v[64:65]
	s_cbranch_execz .LBB20_40
	s_branch .LBB20_41
.LBB20_39:
                                        ; implicit-def: $vgpr44_vgpr45
.LBB20_40:
	ds_read_b64 v[44:45], v46
.LBB20_41:
	s_and_saveexec_b64 s[12:13], s[6:7]
	s_cbranch_execz .LBB20_45
; %bb.42:
	v_add_u32_e32 v64, -16, v0
	s_movk_i32 s14, 0x130
	s_mov_b64 s[6:7], 0
.LBB20_43:                              ; =>This Inner Loop Header: Depth=1
	buffer_load_dword v66, v63, s[0:3], 0 offen
	buffer_load_dword v67, v63, s[0:3], 0 offen offset:4
	v_mov_b32_e32 v65, s14
	ds_read_b64 v[68:69], v65
	v_add_u32_e32 v64, -1, v64
	s_add_i32 s14, s14, 8
	v_cmp_eq_u32_e32 vcc, 0, v64
	v_add_u32_e32 v63, 8, v63
	s_or_b64 s[6:7], vcc, s[6:7]
	s_waitcnt vmcnt(0) lgkmcnt(0)
	v_fmac_f64_e32 v[44:45], v[66:67], v[68:69]
	s_andn2_b64 exec, exec, s[6:7]
	s_cbranch_execnz .LBB20_43
; %bb.44:
	s_or_b64 exec, exec, s[6:7]
.LBB20_45:
	s_or_b64 exec, exec, s[12:13]
	v_mov_b32_e32 v63, 0
	ds_read_b64 v[64:65], v63 offset:120
	s_waitcnt lgkmcnt(0)
	v_mul_f64 v[44:45], v[44:45], v[64:65]
	buffer_store_dword v45, off, s[0:3], 0 offset:124
	buffer_store_dword v44, off, s[0:3], 0 offset:120
.LBB20_46:
	s_or_b64 exec, exec, s[10:11]
	buffer_load_dword v44, off, s[0:3], 0 offset:112
	buffer_load_dword v45, off, s[0:3], 0 offset:116
	v_cmp_lt_u32_e64 s[6:7], 14, v0
	s_waitcnt vmcnt(0)
	ds_write_b64 v46, v[44:45]
	s_waitcnt lgkmcnt(0)
	; wave barrier
	s_waitcnt lgkmcnt(0)
	s_and_saveexec_b64 s[10:11], s[6:7]
	s_cbranch_execz .LBB20_56
; %bb.47:
	s_andn2_b64 vcc, exec, s[8:9]
	s_cbranch_vccnz .LBB20_49
; %bb.48:
	buffer_load_dword v44, v47, s[0:3], 0 offen
	buffer_load_dword v45, v47, s[0:3], 0 offen offset:4
	ds_read_b64 v[64:65], v46
	s_waitcnt vmcnt(0) lgkmcnt(0)
	v_mul_f64 v[44:45], v[44:45], v[64:65]
	s_cbranch_execz .LBB20_50
	s_branch .LBB20_51
.LBB20_49:
                                        ; implicit-def: $vgpr44_vgpr45
.LBB20_50:
	ds_read_b64 v[44:45], v46
.LBB20_51:
	s_and_saveexec_b64 s[12:13], s[4:5]
	s_cbranch_execz .LBB20_55
; %bb.52:
	v_add_u32_e32 v63, -15, v0
	s_movk_i32 s14, 0x128
	s_mov_b64 s[4:5], 0
.LBB20_53:                              ; =>This Inner Loop Header: Depth=1
	buffer_load_dword v64, v62, s[0:3], 0 offen
	buffer_load_dword v65, v62, s[0:3], 0 offen offset:4
	v_mov_b32_e32 v66, s14
	ds_read_b64 v[66:67], v66
	v_add_u32_e32 v63, -1, v63
	s_add_i32 s14, s14, 8
	v_cmp_eq_u32_e32 vcc, 0, v63
	v_add_u32_e32 v62, 8, v62
	s_or_b64 s[4:5], vcc, s[4:5]
	s_waitcnt vmcnt(0) lgkmcnt(0)
	v_fmac_f64_e32 v[44:45], v[64:65], v[66:67]
	s_andn2_b64 exec, exec, s[4:5]
	s_cbranch_execnz .LBB20_53
; %bb.54:
	s_or_b64 exec, exec, s[4:5]
.LBB20_55:
	s_or_b64 exec, exec, s[12:13]
	v_mov_b32_e32 v62, 0
	ds_read_b64 v[62:63], v62 offset:112
	s_waitcnt lgkmcnt(0)
	v_mul_f64 v[44:45], v[44:45], v[62:63]
	buffer_store_dword v45, off, s[0:3], 0 offset:116
	buffer_store_dword v44, off, s[0:3], 0 offset:112
.LBB20_56:
	;; [unrolled: 58-line block ×6, first 2 shown]
	s_or_b64 exec, exec, s[10:11]
	buffer_load_dword v44, off, s[0:3], 0 offset:72
	buffer_load_dword v45, off, s[0:3], 0 offset:76
	v_cmp_lt_u32_e64 s[4:5], 9, v0
	s_waitcnt vmcnt(0)
	ds_write_b64 v46, v[44:45]
	s_waitcnt lgkmcnt(0)
	; wave barrier
	s_waitcnt lgkmcnt(0)
	s_and_saveexec_b64 s[10:11], s[4:5]
	s_cbranch_execz .LBB20_106
; %bb.97:
	s_andn2_b64 vcc, exec, s[8:9]
	s_cbranch_vccnz .LBB20_99
; %bb.98:
	buffer_load_dword v44, v47, s[0:3], 0 offen
	buffer_load_dword v45, v47, s[0:3], 0 offen offset:4
	ds_read_b64 v[58:59], v46
	s_waitcnt vmcnt(0) lgkmcnt(0)
	v_mul_f64 v[44:45], v[44:45], v[58:59]
	s_cbranch_execz .LBB20_100
	s_branch .LBB20_101
.LBB20_99:
                                        ; implicit-def: $vgpr44_vgpr45
.LBB20_100:
	ds_read_b64 v[44:45], v46
.LBB20_101:
	s_and_saveexec_b64 s[12:13], s[6:7]
	s_cbranch_execz .LBB20_105
; %bb.102:
	v_add_u32_e32 v58, -10, v0
	s_movk_i32 s14, 0x100
	s_mov_b64 s[6:7], 0
.LBB20_103:                             ; =>This Inner Loop Header: Depth=1
	buffer_load_dword v60, v57, s[0:3], 0 offen
	buffer_load_dword v61, v57, s[0:3], 0 offen offset:4
	v_mov_b32_e32 v59, s14
	ds_read_b64 v[62:63], v59
	v_add_u32_e32 v58, -1, v58
	s_add_i32 s14, s14, 8
	v_cmp_eq_u32_e32 vcc, 0, v58
	v_add_u32_e32 v57, 8, v57
	s_or_b64 s[6:7], vcc, s[6:7]
	s_waitcnt vmcnt(0) lgkmcnt(0)
	v_fmac_f64_e32 v[44:45], v[60:61], v[62:63]
	s_andn2_b64 exec, exec, s[6:7]
	s_cbranch_execnz .LBB20_103
; %bb.104:
	s_or_b64 exec, exec, s[6:7]
.LBB20_105:
	s_or_b64 exec, exec, s[12:13]
	v_mov_b32_e32 v57, 0
	ds_read_b64 v[58:59], v57 offset:72
	s_waitcnt lgkmcnt(0)
	v_mul_f64 v[44:45], v[44:45], v[58:59]
	buffer_store_dword v45, off, s[0:3], 0 offset:76
	buffer_store_dword v44, off, s[0:3], 0 offset:72
.LBB20_106:
	s_or_b64 exec, exec, s[10:11]
	buffer_load_dword v44, off, s[0:3], 0 offset:64
	buffer_load_dword v45, off, s[0:3], 0 offset:68
	v_cmp_lt_u32_e64 s[6:7], 8, v0
	s_waitcnt vmcnt(0)
	ds_write_b64 v46, v[44:45]
	s_waitcnt lgkmcnt(0)
	; wave barrier
	s_waitcnt lgkmcnt(0)
	s_and_saveexec_b64 s[10:11], s[6:7]
	s_cbranch_execz .LBB20_116
; %bb.107:
	s_andn2_b64 vcc, exec, s[8:9]
	s_cbranch_vccnz .LBB20_109
; %bb.108:
	buffer_load_dword v44, v47, s[0:3], 0 offen
	buffer_load_dword v45, v47, s[0:3], 0 offen offset:4
	ds_read_b64 v[58:59], v46
	s_waitcnt vmcnt(0) lgkmcnt(0)
	v_mul_f64 v[44:45], v[44:45], v[58:59]
	s_cbranch_execz .LBB20_110
	s_branch .LBB20_111
.LBB20_109:
                                        ; implicit-def: $vgpr44_vgpr45
.LBB20_110:
	ds_read_b64 v[44:45], v46
.LBB20_111:
	s_and_saveexec_b64 s[12:13], s[4:5]
	s_cbranch_execz .LBB20_115
; %bb.112:
	v_add_u32_e32 v57, -9, v0
	s_movk_i32 s14, 0xf8
	s_mov_b64 s[4:5], 0
.LBB20_113:                             ; =>This Inner Loop Header: Depth=1
	buffer_load_dword v58, v56, s[0:3], 0 offen
	buffer_load_dword v59, v56, s[0:3], 0 offen offset:4
	v_mov_b32_e32 v60, s14
	ds_read_b64 v[60:61], v60
	v_add_u32_e32 v57, -1, v57
	s_add_i32 s14, s14, 8
	v_cmp_eq_u32_e32 vcc, 0, v57
	v_add_u32_e32 v56, 8, v56
	s_or_b64 s[4:5], vcc, s[4:5]
	s_waitcnt vmcnt(0) lgkmcnt(0)
	v_fmac_f64_e32 v[44:45], v[58:59], v[60:61]
	s_andn2_b64 exec, exec, s[4:5]
	s_cbranch_execnz .LBB20_113
; %bb.114:
	s_or_b64 exec, exec, s[4:5]
.LBB20_115:
	s_or_b64 exec, exec, s[12:13]
	v_mov_b32_e32 v56, 0
	ds_read_b64 v[56:57], v56 offset:64
	s_waitcnt lgkmcnt(0)
	v_mul_f64 v[44:45], v[44:45], v[56:57]
	buffer_store_dword v45, off, s[0:3], 0 offset:68
	buffer_store_dword v44, off, s[0:3], 0 offset:64
.LBB20_116:
	;; [unrolled: 58-line block ×9, first 2 shown]
	s_or_b64 exec, exec, s[10:11]
	buffer_load_dword v44, off, s[0:3], 0
	buffer_load_dword v45, off, s[0:3], 0 offset:4
	v_cmp_ne_u32_e32 vcc, 0, v0
	s_waitcnt vmcnt(0)
	ds_write_b64 v46, v[44:45]
	s_waitcnt lgkmcnt(0)
	; wave barrier
	s_waitcnt lgkmcnt(0)
	s_and_saveexec_b64 s[6:7], vcc
	s_cbranch_execz .LBB20_196
; %bb.187:
	s_andn2_b64 vcc, exec, s[8:9]
	s_cbranch_vccnz .LBB20_189
; %bb.188:
	buffer_load_dword v44, v47, s[0:3], 0 offen
	buffer_load_dword v45, v47, s[0:3], 0 offen offset:4
	ds_read_b64 v[50:51], v46
	s_waitcnt vmcnt(0) lgkmcnt(0)
	v_mul_f64 v[44:45], v[44:45], v[50:51]
	s_cbranch_execz .LBB20_190
	s_branch .LBB20_191
.LBB20_189:
                                        ; implicit-def: $vgpr44_vgpr45
.LBB20_190:
	ds_read_b64 v[44:45], v46
.LBB20_191:
	s_and_saveexec_b64 s[10:11], s[4:5]
	s_cbranch_execz .LBB20_195
; %bb.192:
	v_add_u32_e32 v49, -1, v0
	s_movk_i32 s12, 0xb8
	s_mov_b64 s[4:5], 0
.LBB20_193:                             ; =>This Inner Loop Header: Depth=1
	buffer_load_dword v50, v48, s[0:3], 0 offen
	buffer_load_dword v51, v48, s[0:3], 0 offen offset:4
	v_mov_b32_e32 v52, s12
	ds_read_b64 v[52:53], v52
	v_add_u32_e32 v49, -1, v49
	s_add_i32 s12, s12, 8
	v_cmp_eq_u32_e32 vcc, 0, v49
	v_add_u32_e32 v48, 8, v48
	s_or_b64 s[4:5], vcc, s[4:5]
	s_waitcnt vmcnt(0) lgkmcnt(0)
	v_fmac_f64_e32 v[44:45], v[50:51], v[52:53]
	s_andn2_b64 exec, exec, s[4:5]
	s_cbranch_execnz .LBB20_193
; %bb.194:
	s_or_b64 exec, exec, s[4:5]
.LBB20_195:
	s_or_b64 exec, exec, s[10:11]
	v_mov_b32_e32 v48, 0
	ds_read_b64 v[48:49], v48
	s_waitcnt lgkmcnt(0)
	v_mul_f64 v[44:45], v[44:45], v[48:49]
	buffer_store_dword v45, off, s[0:3], 0 offset:4
	buffer_store_dword v44, off, s[0:3], 0
.LBB20_196:
	s_or_b64 exec, exec, s[6:7]
	s_mov_b64 s[4:5], 0
.LBB20_197:
	s_and_b64 vcc, exec, s[4:5]
	s_cbranch_vccz .LBB20_391
; %bb.198:
	buffer_load_dword v44, off, s[0:3], 0 offset:8
	buffer_load_dword v45, off, s[0:3], 0 offset:12
	v_cmp_eq_u32_e64 s[6:7], 0, v0
	s_waitcnt vmcnt(0)
	ds_write_b64 v46, v[44:45]
	s_waitcnt lgkmcnt(0)
	; wave barrier
	s_waitcnt lgkmcnt(0)
	s_and_saveexec_b64 s[4:5], s[6:7]
	s_cbranch_execz .LBB20_204
; %bb.199:
	s_and_b64 vcc, exec, s[8:9]
	s_cbranch_vccz .LBB20_201
; %bb.200:
	buffer_load_dword v44, v47, s[0:3], 0 offen
	buffer_load_dword v45, v47, s[0:3], 0 offen offset:4
	ds_read_b64 v[48:49], v46
	s_waitcnt vmcnt(0) lgkmcnt(0)
	v_mul_f64 v[44:45], v[44:45], v[48:49]
	s_cbranch_execz .LBB20_202
	s_branch .LBB20_203
.LBB20_201:
                                        ; implicit-def: $vgpr44_vgpr45
.LBB20_202:
	ds_read_b64 v[44:45], v46
.LBB20_203:
	v_mov_b32_e32 v48, 0
	ds_read_b64 v[48:49], v48 offset:8
	s_waitcnt lgkmcnt(0)
	v_mul_f64 v[44:45], v[44:45], v[48:49]
	buffer_store_dword v45, off, s[0:3], 0 offset:12
	buffer_store_dword v44, off, s[0:3], 0 offset:8
.LBB20_204:
	s_or_b64 exec, exec, s[4:5]
	buffer_load_dword v44, off, s[0:3], 0 offset:16
	buffer_load_dword v45, off, s[0:3], 0 offset:20
	v_cndmask_b32_e64 v48, 0, 1, s[8:9]
	v_cmp_gt_u32_e32 vcc, 2, v0
	v_cmp_ne_u32_e64 s[4:5], 1, v48
	s_waitcnt vmcnt(0)
	ds_write_b64 v46, v[44:45]
	s_waitcnt lgkmcnt(0)
	; wave barrier
	s_waitcnt lgkmcnt(0)
	s_and_saveexec_b64 s[8:9], vcc
	s_cbranch_execz .LBB20_212
; %bb.205:
	s_and_b64 vcc, exec, s[4:5]
	s_cbranch_vccnz .LBB20_207
; %bb.206:
	buffer_load_dword v44, v47, s[0:3], 0 offen
	buffer_load_dword v45, v47, s[0:3], 0 offen offset:4
	ds_read_b64 v[48:49], v46
	s_waitcnt vmcnt(0) lgkmcnt(0)
	v_mul_f64 v[44:45], v[44:45], v[48:49]
	s_cbranch_execz .LBB20_208
	s_branch .LBB20_209
.LBB20_207:
                                        ; implicit-def: $vgpr44_vgpr45
.LBB20_208:
	ds_read_b64 v[44:45], v46
.LBB20_209:
	s_and_saveexec_b64 s[10:11], s[6:7]
	s_cbranch_execz .LBB20_211
; %bb.210:
	buffer_load_dword v48, v47, s[0:3], 0 offen offset:8
	buffer_load_dword v49, v47, s[0:3], 0 offen offset:12
	ds_read_b64 v[50:51], v46 offset:8
	s_waitcnt vmcnt(0) lgkmcnt(0)
	v_fmac_f64_e32 v[44:45], v[48:49], v[50:51]
.LBB20_211:
	s_or_b64 exec, exec, s[10:11]
	v_mov_b32_e32 v48, 0
	ds_read_b64 v[48:49], v48 offset:16
	s_waitcnt lgkmcnt(0)
	v_mul_f64 v[44:45], v[44:45], v[48:49]
	buffer_store_dword v45, off, s[0:3], 0 offset:20
	buffer_store_dword v44, off, s[0:3], 0 offset:16
.LBB20_212:
	s_or_b64 exec, exec, s[8:9]
	buffer_load_dword v44, off, s[0:3], 0 offset:24
	buffer_load_dword v45, off, s[0:3], 0 offset:28
	v_cmp_gt_u32_e32 vcc, 3, v0
	s_waitcnt vmcnt(0)
	ds_write_b64 v46, v[44:45]
	s_waitcnt lgkmcnt(0)
	; wave barrier
	s_waitcnt lgkmcnt(0)
	s_and_saveexec_b64 s[8:9], vcc
	s_cbranch_execz .LBB20_220
; %bb.213:
	s_and_b64 vcc, exec, s[4:5]
	s_cbranch_vccnz .LBB20_215
; %bb.214:
	buffer_load_dword v44, v47, s[0:3], 0 offen
	buffer_load_dword v45, v47, s[0:3], 0 offen offset:4
	ds_read_b64 v[48:49], v46
	s_waitcnt vmcnt(0) lgkmcnt(0)
	v_mul_f64 v[44:45], v[44:45], v[48:49]
	s_cbranch_execz .LBB20_216
	s_branch .LBB20_217
.LBB20_215:
                                        ; implicit-def: $vgpr44_vgpr45
.LBB20_216:
	ds_read_b64 v[44:45], v46
.LBB20_217:
	v_cmp_ne_u32_e32 vcc, 2, v0
	s_and_saveexec_b64 s[10:11], vcc
	s_cbranch_execz .LBB20_219
; %bb.218:
	buffer_load_dword v49, v47, s[0:3], 0 offen offset:12
	buffer_load_dword v50, off, s[0:3], 0 offset:16
	buffer_load_dword v48, v47, s[0:3], 0 offen offset:8
	buffer_load_dword v51, off, s[0:3], 0 offset:20
	v_mov_b32_e32 v54, 0
	ds_read_b64 v[52:53], v46 offset:8
	ds_read_b64 v[54:55], v54 offset:192
	s_waitcnt vmcnt(1) lgkmcnt(1)
	v_fmac_f64_e32 v[44:45], v[48:49], v[52:53]
	s_waitcnt vmcnt(0) lgkmcnt(0)
	v_fma_f64 v[48:49], v[50:51], v[54:55], v[44:45]
	v_cndmask_b32_e64 v45, v45, v49, s[6:7]
	v_cndmask_b32_e64 v44, v44, v48, s[6:7]
.LBB20_219:
	s_or_b64 exec, exec, s[10:11]
	v_mov_b32_e32 v48, 0
	ds_read_b64 v[48:49], v48 offset:24
	s_waitcnt lgkmcnt(0)
	v_mul_f64 v[44:45], v[44:45], v[48:49]
	buffer_store_dword v45, off, s[0:3], 0 offset:28
	buffer_store_dword v44, off, s[0:3], 0 offset:24
.LBB20_220:
	s_or_b64 exec, exec, s[8:9]
	buffer_load_dword v44, off, s[0:3], 0 offset:32
	buffer_load_dword v45, off, s[0:3], 0 offset:36
	v_cmp_gt_u32_e32 vcc, 4, v0
	s_waitcnt vmcnt(0)
	ds_write_b64 v46, v[44:45]
	s_waitcnt lgkmcnt(0)
	; wave barrier
	s_waitcnt lgkmcnt(0)
	s_and_saveexec_b64 s[6:7], vcc
	s_cbranch_execz .LBB20_230
; %bb.221:
	s_and_b64 vcc, exec, s[4:5]
	s_cbranch_vccnz .LBB20_223
; %bb.222:
	buffer_load_dword v44, v47, s[0:3], 0 offen
	buffer_load_dword v45, v47, s[0:3], 0 offen offset:4
	ds_read_b64 v[48:49], v46
	s_waitcnt vmcnt(0) lgkmcnt(0)
	v_mul_f64 v[44:45], v[44:45], v[48:49]
	s_cbranch_execz .LBB20_224
	s_branch .LBB20_225
.LBB20_223:
                                        ; implicit-def: $vgpr44_vgpr45
.LBB20_224:
	ds_read_b64 v[44:45], v46
.LBB20_225:
	v_cmp_ne_u32_e32 vcc, 3, v0
	s_and_saveexec_b64 s[8:9], vcc
	s_cbranch_execz .LBB20_229
; %bb.226:
	v_mov_b32_e32 v49, 0
	v_add_u32_e32 v48, 0xb8, v1
	v_add3_u32 v49, v1, v49, 8
	s_mov_b64 s[10:11], 0
	v_mov_b32_e32 v50, v0
.LBB20_227:                             ; =>This Inner Loop Header: Depth=1
	buffer_load_dword v52, v49, s[0:3], 0 offen
	buffer_load_dword v53, v49, s[0:3], 0 offen offset:4
	ds_read_b64 v[54:55], v48
	v_add_u32_e32 v50, 1, v50
	v_cmp_lt_u32_e32 vcc, 2, v50
	v_add_u32_e32 v48, 8, v48
	v_add_u32_e32 v49, 8, v49
	s_or_b64 s[10:11], vcc, s[10:11]
	s_waitcnt vmcnt(0) lgkmcnt(0)
	v_fmac_f64_e32 v[44:45], v[52:53], v[54:55]
	s_andn2_b64 exec, exec, s[10:11]
	s_cbranch_execnz .LBB20_227
; %bb.228:
	s_or_b64 exec, exec, s[10:11]
.LBB20_229:
	s_or_b64 exec, exec, s[8:9]
	v_mov_b32_e32 v48, 0
	ds_read_b64 v[48:49], v48 offset:32
	s_waitcnt lgkmcnt(0)
	v_mul_f64 v[44:45], v[44:45], v[48:49]
	buffer_store_dword v45, off, s[0:3], 0 offset:36
	buffer_store_dword v44, off, s[0:3], 0 offset:32
.LBB20_230:
	s_or_b64 exec, exec, s[6:7]
	buffer_load_dword v44, off, s[0:3], 0 offset:40
	buffer_load_dword v45, off, s[0:3], 0 offset:44
	v_cmp_gt_u32_e32 vcc, 5, v0
	s_waitcnt vmcnt(0)
	ds_write_b64 v46, v[44:45]
	s_waitcnt lgkmcnt(0)
	; wave barrier
	s_waitcnt lgkmcnt(0)
	s_and_saveexec_b64 s[6:7], vcc
	s_cbranch_execz .LBB20_240
; %bb.231:
	s_and_b64 vcc, exec, s[4:5]
	s_cbranch_vccnz .LBB20_233
; %bb.232:
	buffer_load_dword v44, v47, s[0:3], 0 offen
	buffer_load_dword v45, v47, s[0:3], 0 offen offset:4
	ds_read_b64 v[48:49], v46
	s_waitcnt vmcnt(0) lgkmcnt(0)
	v_mul_f64 v[44:45], v[44:45], v[48:49]
	s_cbranch_execz .LBB20_234
	s_branch .LBB20_235
.LBB20_233:
                                        ; implicit-def: $vgpr44_vgpr45
.LBB20_234:
	ds_read_b64 v[44:45], v46
.LBB20_235:
	v_cmp_ne_u32_e32 vcc, 4, v0
	s_and_saveexec_b64 s[8:9], vcc
	s_cbranch_execz .LBB20_239
; %bb.236:
	v_mov_b32_e32 v49, 0
	v_add_u32_e32 v48, 0xb8, v1
	v_add3_u32 v49, v1, v49, 8
	s_mov_b64 s[10:11], 0
	v_mov_b32_e32 v50, v0
.LBB20_237:                             ; =>This Inner Loop Header: Depth=1
	buffer_load_dword v52, v49, s[0:3], 0 offen
	buffer_load_dword v53, v49, s[0:3], 0 offen offset:4
	ds_read_b64 v[54:55], v48
	v_add_u32_e32 v50, 1, v50
	v_cmp_lt_u32_e32 vcc, 3, v50
	v_add_u32_e32 v48, 8, v48
	v_add_u32_e32 v49, 8, v49
	s_or_b64 s[10:11], vcc, s[10:11]
	s_waitcnt vmcnt(0) lgkmcnt(0)
	v_fmac_f64_e32 v[44:45], v[52:53], v[54:55]
	s_andn2_b64 exec, exec, s[10:11]
	s_cbranch_execnz .LBB20_237
; %bb.238:
	s_or_b64 exec, exec, s[10:11]
.LBB20_239:
	s_or_b64 exec, exec, s[8:9]
	v_mov_b32_e32 v48, 0
	ds_read_b64 v[48:49], v48 offset:40
	s_waitcnt lgkmcnt(0)
	v_mul_f64 v[44:45], v[44:45], v[48:49]
	buffer_store_dword v45, off, s[0:3], 0 offset:44
	buffer_store_dword v44, off, s[0:3], 0 offset:40
.LBB20_240:
	;; [unrolled: 60-line block ×15, first 2 shown]
	s_or_b64 exec, exec, s[6:7]
	buffer_load_dword v44, off, s[0:3], 0 offset:152
	buffer_load_dword v45, off, s[0:3], 0 offset:156
	v_cmp_gt_u32_e64 s[6:7], 19, v0
	s_waitcnt vmcnt(0)
	ds_write_b64 v46, v[44:45]
	s_waitcnt lgkmcnt(0)
	; wave barrier
	s_waitcnt lgkmcnt(0)
	s_and_saveexec_b64 s[8:9], s[6:7]
	s_cbranch_execz .LBB20_380
; %bb.371:
	s_and_b64 vcc, exec, s[4:5]
	s_cbranch_vccnz .LBB20_373
; %bb.372:
	buffer_load_dword v44, v47, s[0:3], 0 offen
	buffer_load_dword v45, v47, s[0:3], 0 offen offset:4
	ds_read_b64 v[48:49], v46
	s_waitcnt vmcnt(0) lgkmcnt(0)
	v_mul_f64 v[44:45], v[44:45], v[48:49]
	s_cbranch_execz .LBB20_374
	s_branch .LBB20_375
.LBB20_373:
                                        ; implicit-def: $vgpr44_vgpr45
.LBB20_374:
	ds_read_b64 v[44:45], v46
.LBB20_375:
	v_cmp_ne_u32_e32 vcc, 18, v0
	s_and_saveexec_b64 s[10:11], vcc
	s_cbranch_execz .LBB20_379
; %bb.376:
	v_mov_b32_e32 v49, 0
	v_add_u32_e32 v48, 0xb8, v1
	v_add3_u32 v49, v1, v49, 8
	s_mov_b64 s[12:13], 0
	v_mov_b32_e32 v50, v0
.LBB20_377:                             ; =>This Inner Loop Header: Depth=1
	buffer_load_dword v52, v49, s[0:3], 0 offen
	buffer_load_dword v53, v49, s[0:3], 0 offen offset:4
	ds_read_b64 v[54:55], v48
	v_add_u32_e32 v50, 1, v50
	v_cmp_lt_u32_e32 vcc, 17, v50
	v_add_u32_e32 v48, 8, v48
	v_add_u32_e32 v49, 8, v49
	s_or_b64 s[12:13], vcc, s[12:13]
	s_waitcnt vmcnt(0) lgkmcnt(0)
	v_fmac_f64_e32 v[44:45], v[52:53], v[54:55]
	s_andn2_b64 exec, exec, s[12:13]
	s_cbranch_execnz .LBB20_377
; %bb.378:
	s_or_b64 exec, exec, s[12:13]
.LBB20_379:
	s_or_b64 exec, exec, s[10:11]
	v_mov_b32_e32 v48, 0
	ds_read_b64 v[48:49], v48 offset:152
	s_waitcnt lgkmcnt(0)
	v_mul_f64 v[44:45], v[44:45], v[48:49]
	buffer_store_dword v45, off, s[0:3], 0 offset:156
	buffer_store_dword v44, off, s[0:3], 0 offset:152
.LBB20_380:
	s_or_b64 exec, exec, s[8:9]
	buffer_load_dword v44, off, s[0:3], 0 offset:160
	buffer_load_dword v45, off, s[0:3], 0 offset:164
	v_cmp_ne_u32_e32 vcc, 20, v0
	s_waitcnt vmcnt(0)
	ds_write_b64 v46, v[44:45]
	s_waitcnt lgkmcnt(0)
	; wave barrier
	s_waitcnt lgkmcnt(0)
	s_and_saveexec_b64 s[8:9], vcc
	s_cbranch_execz .LBB20_390
; %bb.381:
	s_and_b64 vcc, exec, s[4:5]
	s_cbranch_vccnz .LBB20_383
; %bb.382:
	buffer_load_dword v44, v47, s[0:3], 0 offen
	buffer_load_dword v45, v47, s[0:3], 0 offen offset:4
	ds_read_b64 v[48:49], v46
	s_waitcnt vmcnt(0) lgkmcnt(0)
	v_mul_f64 v[44:45], v[44:45], v[48:49]
	s_cbranch_execz .LBB20_384
	s_branch .LBB20_385
.LBB20_383:
                                        ; implicit-def: $vgpr44_vgpr45
.LBB20_384:
	ds_read_b64 v[44:45], v46
.LBB20_385:
	s_and_saveexec_b64 s[4:5], s[6:7]
	s_cbranch_execz .LBB20_389
; %bb.386:
	v_mov_b32_e32 v47, 0
	v_add_u32_e32 v46, 0xb8, v1
	v_add3_u32 v1, v1, v47, 8
	s_mov_b64 s[6:7], 0
.LBB20_387:                             ; =>This Inner Loop Header: Depth=1
	buffer_load_dword v48, v1, s[0:3], 0 offen
	buffer_load_dword v49, v1, s[0:3], 0 offen offset:4
	ds_read_b64 v[50:51], v46
	v_add_u32_e32 v0, 1, v0
	v_cmp_lt_u32_e32 vcc, 18, v0
	v_add_u32_e32 v46, 8, v46
	v_add_u32_e32 v1, 8, v1
	s_or_b64 s[6:7], vcc, s[6:7]
	s_waitcnt vmcnt(0) lgkmcnt(0)
	v_fmac_f64_e32 v[44:45], v[48:49], v[50:51]
	s_andn2_b64 exec, exec, s[6:7]
	s_cbranch_execnz .LBB20_387
; %bb.388:
	s_or_b64 exec, exec, s[6:7]
.LBB20_389:
	s_or_b64 exec, exec, s[4:5]
	v_mov_b32_e32 v0, 0
	ds_read_b64 v[0:1], v0 offset:160
	s_waitcnt lgkmcnt(0)
	v_mul_f64 v[0:1], v[44:45], v[0:1]
	buffer_store_dword v1, off, s[0:3], 0 offset:164
	buffer_store_dword v0, off, s[0:3], 0 offset:160
.LBB20_390:
	s_or_b64 exec, exec, s[8:9]
.LBB20_391:
	buffer_load_dword v0, off, s[0:3], 0
	buffer_load_dword v1, off, s[0:3], 0 offset:4
	buffer_load_dword v44, off, s[0:3], 0 offset:8
	;; [unrolled: 1-line block ×15, first 2 shown]
	s_waitcnt vmcnt(14)
	global_store_dwordx2 v[2:3], v[0:1], off
	s_waitcnt vmcnt(13)
	global_store_dwordx2 v[4:5], v[44:45], off
	;; [unrolled: 2-line block ×8, first 2 shown]
	buffer_load_dword v1, off, s[0:3], 0 offset:68
	buffer_load_dword v0, off, s[0:3], 0 offset:64
	s_waitcnt vmcnt(0)
	global_store_dwordx2 v[22:23], v[0:1], off
	buffer_load_dword v0, off, s[0:3], 0 offset:72
	s_nop 0
	buffer_load_dword v1, off, s[0:3], 0 offset:76
	s_waitcnt vmcnt(0)
	global_store_dwordx2 v[16:17], v[0:1], off
	buffer_load_dword v0, off, s[0:3], 0 offset:80
	s_nop 0
	;; [unrolled: 5-line block ×12, first 2 shown]
	buffer_load_dword v1, off, s[0:3], 0 offset:164
	s_waitcnt vmcnt(0)
	global_store_dwordx2 v[38:39], v[0:1], off
.LBB20_392:
	s_endpgm
	.section	.rodata,"a",@progbits
	.p2align	6, 0x0
	.amdhsa_kernel _ZN9rocsolver6v33100L18trti2_kernel_smallILi21EdPdEEv13rocblas_fill_17rocblas_diagonal_T1_iil
		.amdhsa_group_segment_fixed_size 344
		.amdhsa_private_segment_fixed_size 176
		.amdhsa_kernarg_size 32
		.amdhsa_user_sgpr_count 8
		.amdhsa_user_sgpr_private_segment_buffer 1
		.amdhsa_user_sgpr_dispatch_ptr 0
		.amdhsa_user_sgpr_queue_ptr 0
		.amdhsa_user_sgpr_kernarg_segment_ptr 1
		.amdhsa_user_sgpr_dispatch_id 0
		.amdhsa_user_sgpr_flat_scratch_init 1
		.amdhsa_user_sgpr_kernarg_preload_length 0
		.amdhsa_user_sgpr_kernarg_preload_offset 0
		.amdhsa_user_sgpr_private_segment_size 0
		.amdhsa_uses_dynamic_stack 0
		.amdhsa_system_sgpr_private_segment_wavefront_offset 1
		.amdhsa_system_sgpr_workgroup_id_x 1
		.amdhsa_system_sgpr_workgroup_id_y 0
		.amdhsa_system_sgpr_workgroup_id_z 0
		.amdhsa_system_sgpr_workgroup_info 0
		.amdhsa_system_vgpr_workitem_id 0
		.amdhsa_next_free_vgpr 78
		.amdhsa_next_free_sgpr 20
		.amdhsa_accum_offset 80
		.amdhsa_reserve_vcc 1
		.amdhsa_reserve_flat_scratch 0
		.amdhsa_float_round_mode_32 0
		.amdhsa_float_round_mode_16_64 0
		.amdhsa_float_denorm_mode_32 3
		.amdhsa_float_denorm_mode_16_64 3
		.amdhsa_dx10_clamp 1
		.amdhsa_ieee_mode 1
		.amdhsa_fp16_overflow 0
		.amdhsa_tg_split 0
		.amdhsa_exception_fp_ieee_invalid_op 0
		.amdhsa_exception_fp_denorm_src 0
		.amdhsa_exception_fp_ieee_div_zero 0
		.amdhsa_exception_fp_ieee_overflow 0
		.amdhsa_exception_fp_ieee_underflow 0
		.amdhsa_exception_fp_ieee_inexact 0
		.amdhsa_exception_int_div_zero 0
	.end_amdhsa_kernel
	.section	.text._ZN9rocsolver6v33100L18trti2_kernel_smallILi21EdPdEEv13rocblas_fill_17rocblas_diagonal_T1_iil,"axG",@progbits,_ZN9rocsolver6v33100L18trti2_kernel_smallILi21EdPdEEv13rocblas_fill_17rocblas_diagonal_T1_iil,comdat
.Lfunc_end20:
	.size	_ZN9rocsolver6v33100L18trti2_kernel_smallILi21EdPdEEv13rocblas_fill_17rocblas_diagonal_T1_iil, .Lfunc_end20-_ZN9rocsolver6v33100L18trti2_kernel_smallILi21EdPdEEv13rocblas_fill_17rocblas_diagonal_T1_iil
                                        ; -- End function
	.section	.AMDGPU.csdata,"",@progbits
; Kernel info:
; codeLenInByte = 12064
; NumSgprs: 24
; NumVgprs: 78
; NumAgprs: 0
; TotalNumVgprs: 78
; ScratchSize: 176
; MemoryBound: 0
; FloatMode: 240
; IeeeMode: 1
; LDSByteSize: 344 bytes/workgroup (compile time only)
; SGPRBlocks: 2
; VGPRBlocks: 9
; NumSGPRsForWavesPerEU: 24
; NumVGPRsForWavesPerEU: 78
; AccumOffset: 80
; Occupancy: 6
; WaveLimiterHint : 0
; COMPUTE_PGM_RSRC2:SCRATCH_EN: 1
; COMPUTE_PGM_RSRC2:USER_SGPR: 8
; COMPUTE_PGM_RSRC2:TRAP_HANDLER: 0
; COMPUTE_PGM_RSRC2:TGID_X_EN: 1
; COMPUTE_PGM_RSRC2:TGID_Y_EN: 0
; COMPUTE_PGM_RSRC2:TGID_Z_EN: 0
; COMPUTE_PGM_RSRC2:TIDIG_COMP_CNT: 0
; COMPUTE_PGM_RSRC3_GFX90A:ACCUM_OFFSET: 19
; COMPUTE_PGM_RSRC3_GFX90A:TG_SPLIT: 0
	.section	.text._ZN9rocsolver6v33100L18trti2_kernel_smallILi22EdPdEEv13rocblas_fill_17rocblas_diagonal_T1_iil,"axG",@progbits,_ZN9rocsolver6v33100L18trti2_kernel_smallILi22EdPdEEv13rocblas_fill_17rocblas_diagonal_T1_iil,comdat
	.globl	_ZN9rocsolver6v33100L18trti2_kernel_smallILi22EdPdEEv13rocblas_fill_17rocblas_diagonal_T1_iil ; -- Begin function _ZN9rocsolver6v33100L18trti2_kernel_smallILi22EdPdEEv13rocblas_fill_17rocblas_diagonal_T1_iil
	.p2align	8
	.type	_ZN9rocsolver6v33100L18trti2_kernel_smallILi22EdPdEEv13rocblas_fill_17rocblas_diagonal_T1_iil,@function
_ZN9rocsolver6v33100L18trti2_kernel_smallILi22EdPdEEv13rocblas_fill_17rocblas_diagonal_T1_iil: ; @_ZN9rocsolver6v33100L18trti2_kernel_smallILi22EdPdEEv13rocblas_fill_17rocblas_diagonal_T1_iil
; %bb.0:
	s_add_u32 s0, s0, s9
	s_addc_u32 s1, s1, 0
	v_cmp_gt_u32_e32 vcc, 22, v0
	s_and_saveexec_b64 s[6:7], vcc
	s_cbranch_execz .LBB21_412
; %bb.1:
	s_load_dwordx8 s[12:19], s[4:5], 0x0
	s_ashr_i32 s6, s8, 31
	v_lshlrev_b32_e32 v1, 3, v0
	s_waitcnt lgkmcnt(0)
	s_mul_i32 s7, s8, s19
	s_mul_hi_u32 s9, s8, s18
	s_add_i32 s7, s9, s7
	s_mul_i32 s6, s6, s18
	s_add_i32 s7, s7, s6
	s_mul_i32 s6, s8, s18
	s_ashr_i32 s5, s16, 31
	s_lshl_b64 s[6:7], s[6:7], 3
	s_mov_b32 s4, s16
	s_add_u32 s6, s14, s6
	s_addc_u32 s7, s15, s7
	s_lshl_b64 s[4:5], s[4:5], 3
	s_add_u32 s4, s6, s4
	s_addc_u32 s5, s7, s5
	v_mov_b32_e32 v3, s5
	v_add_co_u32_e32 v2, vcc, s4, v1
	s_ashr_i32 s7, s17, 31
	s_mov_b32 s6, s17
	v_addc_co_u32_e32 v3, vcc, 0, v3, vcc
	s_lshl_b64 s[6:7], s[6:7], 3
	v_add_co_u32_e32 v4, vcc, s6, v2
	s_add_i32 s6, s17, s17
	v_add_u32_e32 v8, s6, v0
	v_mov_b32_e32 v5, s7
	v_ashrrev_i32_e32 v9, 31, v8
	v_addc_co_u32_e32 v5, vcc, v3, v5, vcc
	v_lshlrev_b64 v[6:7], 3, v[8:9]
	v_add_u32_e32 v10, s17, v8
	v_mov_b32_e32 v9, s5
	v_add_co_u32_e32 v6, vcc, s4, v6
	v_ashrrev_i32_e32 v11, 31, v10
	v_addc_co_u32_e32 v7, vcc, v9, v7, vcc
	v_lshlrev_b64 v[8:9], 3, v[10:11]
	v_add_u32_e32 v12, s17, v10
	v_mov_b32_e32 v11, s5
	v_add_co_u32_e32 v8, vcc, s4, v8
	v_ashrrev_i32_e32 v13, 31, v12
	global_load_dwordx2 v[20:21], v1, s[4:5]
	v_addc_co_u32_e32 v9, vcc, v11, v9, vcc
	v_lshlrev_b64 v[10:11], 3, v[12:13]
	global_load_dwordx2 v[26:27], v[4:5], off
	global_load_dwordx2 v[24:25], v[6:7], off
	;; [unrolled: 1-line block ×3, first 2 shown]
	v_add_u32_e32 v14, s17, v12
	v_mov_b32_e32 v13, s5
	v_add_co_u32_e32 v10, vcc, s4, v10
	v_ashrrev_i32_e32 v15, 31, v14
	v_addc_co_u32_e32 v11, vcc, v13, v11, vcc
	v_lshlrev_b64 v[12:13], 3, v[14:15]
	v_mov_b32_e32 v15, s5
	v_add_co_u32_e32 v12, vcc, s4, v12
	v_addc_co_u32_e32 v13, vcc, v15, v13, vcc
	global_load_dwordx2 v[28:29], v[10:11], off
	global_load_dwordx2 v[30:31], v[12:13], off
	v_add_u32_e32 v14, s17, v14
	v_ashrrev_i32_e32 v15, 31, v14
	v_lshlrev_b64 v[16:17], 3, v[14:15]
	v_add_u32_e32 v14, s17, v14
	v_add_u32_e32 v32, s17, v14
	;; [unrolled: 1-line block ×11, first 2 shown]
	v_mov_b32_e32 v15, s5
	v_add_co_u32_e32 v16, vcc, s4, v16
	v_add_u32_e32 v54, s17, v52
	v_addc_co_u32_e32 v17, vcc, v15, v17, vcc
	v_ashrrev_i32_e32 v15, 31, v14
	v_add_u32_e32 v56, s17, v54
	v_lshlrev_b64 v[18:19], 3, v[14:15]
	v_add_u32_e32 v58, s17, v56
	v_mov_b32_e32 v15, s5
	v_add_co_u32_e32 v18, vcc, s4, v18
	v_add_u32_e32 v14, s17, v58
	v_addc_co_u32_e32 v19, vcc, v15, v19, vcc
	v_ashrrev_i32_e32 v15, 31, v14
	v_lshlrev_b64 v[14:15], 3, v[14:15]
	v_mov_b32_e32 v33, s5
	v_add_co_u32_e32 v14, vcc, s4, v14
	v_addc_co_u32_e32 v15, vcc, v33, v15, vcc
	global_load_dwordx2 v[60:61], v[14:15], off
	v_ashrrev_i32_e32 v33, 31, v32
	s_waitcnt vmcnt(6)
	buffer_store_dword v21, off, s[0:3], 0 offset:4
	buffer_store_dword v20, off, s[0:3], 0
	s_waitcnt vmcnt(7)
	buffer_store_dword v27, off, s[0:3], 0 offset:12
	buffer_store_dword v26, off, s[0:3], 0 offset:8
	s_waitcnt vmcnt(8)
	buffer_store_dword v25, off, s[0:3], 0 offset:20
	buffer_store_dword v24, off, s[0:3], 0 offset:16
	;; [unrolled: 3-line block ×4, first 2 shown]
	v_lshlrev_b64 v[20:21], 3, v[32:33]
	v_mov_b32_e32 v22, s5
	v_add_co_u32_e32 v44, vcc, s4, v20
	v_ashrrev_i32_e32 v35, 31, v34
	v_addc_co_u32_e32 v45, vcc, v22, v21, vcc
	v_lshlrev_b64 v[20:21], 3, v[34:35]
	v_add_co_u32_e32 v28, vcc, s4, v20
	v_ashrrev_i32_e32 v37, 31, v36
	v_addc_co_u32_e32 v29, vcc, v22, v21, vcc
	v_lshlrev_b64 v[20:21], 3, v[36:37]
	global_load_dwordx2 v[62:63], v[16:17], off
	global_load_dwordx2 v[64:65], v[18:19], off
	;; [unrolled: 1-line block ×3, first 2 shown]
	s_waitcnt vmcnt(14)
	buffer_store_dword v31, off, s[0:3], 0 offset:44
	buffer_store_dword v30, off, s[0:3], 0 offset:40
	v_add_co_u32_e32 v30, vcc, s4, v20
	v_ashrrev_i32_e32 v39, 31, v38
	v_addc_co_u32_e32 v31, vcc, v22, v21, vcc
	v_lshlrev_b64 v[20:21], 3, v[38:39]
	v_add_co_u32_e32 v26, vcc, s4, v20
	v_ashrrev_i32_e32 v41, 31, v40
	v_addc_co_u32_e32 v27, vcc, v22, v21, vcc
	v_lshlrev_b64 v[20:21], 3, v[40:41]
	;; [unrolled: 4-line block ×3, first 2 shown]
	v_mov_b32_e32 v23, s5
	v_add_co_u32_e32 v22, vcc, s4, v20
	v_ashrrev_i32_e32 v47, 31, v46
	v_addc_co_u32_e32 v23, vcc, v23, v21, vcc
	v_lshlrev_b64 v[20:21], 3, v[46:47]
	v_mov_b32_e32 v32, s5
	v_add_co_u32_e32 v20, vcc, s4, v20
	v_ashrrev_i32_e32 v49, 31, v48
	v_addc_co_u32_e32 v21, vcc, v32, v21, vcc
	v_lshlrev_b64 v[32:33], 3, v[48:49]
	;; [unrolled: 5-line block ×4, first 2 shown]
	v_mov_b32_e32 v38, s5
	v_add_co_u32_e32 v40, vcc, s4, v36
	v_ashrrev_i32_e32 v55, 31, v54
	global_load_dwordx2 v[46:47], v[28:29], off
	global_load_dwordx2 v[68:69], v[30:31], off
	;; [unrolled: 1-line block ×4, first 2 shown]
	v_addc_co_u32_e32 v41, vcc, v38, v37, vcc
	v_lshlrev_b64 v[36:37], 3, v[54:55]
	global_load_dwordx2 v[48:49], v[22:23], off
	global_load_dwordx2 v[50:51], v[20:21], off
	;; [unrolled: 1-line block ×4, first 2 shown]
	v_add_co_u32_e32 v42, vcc, s4, v36
	v_ashrrev_i32_e32 v57, 31, v56
	v_addc_co_u32_e32 v43, vcc, v38, v37, vcc
	v_lshlrev_b64 v[36:37], 3, v[56:57]
	v_mov_b32_e32 v39, s5
	v_add_co_u32_e32 v38, vcc, s4, v36
	v_ashrrev_i32_e32 v59, 31, v58
	global_load_dwordx2 v[52:53], v[40:41], off
	v_addc_co_u32_e32 v39, vcc, v39, v37, vcc
	v_lshlrev_b64 v[36:37], 3, v[58:59]
	v_mov_b32_e32 v54, s5
	v_add_co_u32_e32 v36, vcc, s4, v36
	v_addc_co_u32_e32 v37, vcc, v54, v37, vcc
	global_load_dwordx2 v[54:55], v[42:43], off
	global_load_dwordx2 v[56:57], v[38:39], off
	;; [unrolled: 1-line block ×3, first 2 shown]
	s_cmpk_lg_i32 s13, 0x84
	s_waitcnt vmcnt(16)
	buffer_store_dword v63, off, s[0:3], 0 offset:52
	buffer_store_dword v62, off, s[0:3], 0 offset:48
	s_waitcnt vmcnt(17)
	buffer_store_dword v65, off, s[0:3], 0 offset:60
	buffer_store_dword v64, off, s[0:3], 0 offset:56
	;; [unrolled: 3-line block ×10, first 2 shown]
	v_mov_b32_e32 v46, 0
	v_mov_b32_e32 v68, 0
	s_cselect_b64 s[8:9], -1, 0
	s_cmpk_eq_i32 s13, 0x84
	v_mov_b32_e32 v47, 0xbff00000
	s_waitcnt vmcnt(24)
	buffer_store_dword v76, off, s[0:3], 0 offset:128
	buffer_store_dword v77, off, s[0:3], 0 offset:132
	s_waitcnt vmcnt(25)
	buffer_store_dword v52, off, s[0:3], 0 offset:136
	buffer_store_dword v53, off, s[0:3], 0 offset:140
	;; [unrolled: 3-line block ×5, first 2 shown]
	buffer_store_dword v60, off, s[0:3], 0 offset:168
	buffer_store_dword v61, off, s[0:3], 0 offset:172
	s_cbranch_scc1 .LBB21_3
; %bb.2:
	v_lshl_add_u32 v56, v0, 3, v68
	buffer_load_dword v46, v56, s[0:3], 0 offen
	buffer_load_dword v47, v56, s[0:3], 0 offen offset:4
	s_waitcnt vmcnt(0)
	v_div_scale_f64 v[48:49], s[4:5], v[46:47], v[46:47], 1.0
	v_rcp_f64_e32 v[50:51], v[48:49]
	v_div_scale_f64 v[52:53], vcc, 1.0, v[46:47], 1.0
	v_fma_f64 v[54:55], -v[48:49], v[50:51], 1.0
	v_fmac_f64_e32 v[50:51], v[50:51], v[54:55]
	v_fma_f64 v[54:55], -v[48:49], v[50:51], 1.0
	v_fmac_f64_e32 v[50:51], v[50:51], v[54:55]
	v_mul_f64 v[54:55], v[52:53], v[50:51]
	v_fma_f64 v[48:49], -v[48:49], v[54:55], v[52:53]
	v_div_fmas_f64 v[48:49], v[48:49], v[50:51], v[54:55]
	v_div_fixup_f64 v[46:47], v[48:49], v[46:47], 1.0
	buffer_store_dword v46, v56, s[0:3], 0 offen
	buffer_store_dword v47, v56, s[0:3], 0 offen offset:4
	v_xor_b32_e32 v47, 0x80000000, v47
.LBB21_3:
	s_cmpk_eq_i32 s12, 0x79
	v_add_u32_e32 v48, 0xb0, v1
	v_add_u32_e32 v49, 0, v1
	s_mov_b64 s[4:5], -1
	ds_write_b64 v1, v[46:47]
	s_cbranch_scc1 .LBB21_207
; %bb.4:
	buffer_load_dword v46, off, s[0:3], 0 offset:160
	buffer_load_dword v47, off, s[0:3], 0 offset:164
	v_cmp_eq_u32_e64 s[4:5], 21, v0
	s_waitcnt vmcnt(0)
	ds_write_b64 v48, v[46:47]
	s_waitcnt lgkmcnt(0)
	; wave barrier
	s_waitcnt lgkmcnt(0)
	s_and_saveexec_b64 s[6:7], s[4:5]
	s_cbranch_execz .LBB21_10
; %bb.5:
	s_and_b64 vcc, exec, s[8:9]
	s_cbranch_vccz .LBB21_7
; %bb.6:
	buffer_load_dword v46, v49, s[0:3], 0 offen
	buffer_load_dword v47, v49, s[0:3], 0 offen offset:4
	ds_read_b64 v[50:51], v48
	s_waitcnt vmcnt(0) lgkmcnt(0)
	v_mul_f64 v[46:47], v[46:47], v[50:51]
	s_cbranch_execz .LBB21_8
	s_branch .LBB21_9
.LBB21_7:
                                        ; implicit-def: $vgpr46_vgpr47
.LBB21_8:
	ds_read_b64 v[46:47], v48
.LBB21_9:
	v_mov_b32_e32 v50, 0
	ds_read_b64 v[50:51], v50 offset:160
	s_waitcnt lgkmcnt(0)
	v_mul_f64 v[46:47], v[46:47], v[50:51]
	buffer_store_dword v47, off, s[0:3], 0 offset:164
	buffer_store_dword v46, off, s[0:3], 0 offset:160
.LBB21_10:
	s_or_b64 exec, exec, s[6:7]
	buffer_load_dword v46, off, s[0:3], 0 offset:152
	buffer_load_dword v47, off, s[0:3], 0 offset:156
	v_or_b32_e32 v50, 8, v68
	v_add_u32_e32 v51, 16, v68
	v_add_u32_e32 v52, 24, v68
	;; [unrolled: 1-line block ×18, first 2 shown]
	v_cmp_lt_u32_e64 s[6:7], 19, v0
	s_waitcnt vmcnt(0)
	ds_write_b64 v48, v[46:47]
	s_waitcnt lgkmcnt(0)
	; wave barrier
	s_waitcnt lgkmcnt(0)
	s_and_saveexec_b64 s[10:11], s[6:7]
	s_cbranch_execz .LBB21_16
; %bb.11:
	s_andn2_b64 vcc, exec, s[8:9]
	s_cbranch_vccnz .LBB21_13
; %bb.12:
	buffer_load_dword v46, v49, s[0:3], 0 offen
	buffer_load_dword v47, v49, s[0:3], 0 offen offset:4
	ds_read_b64 v[70:71], v48
	s_waitcnt vmcnt(0) lgkmcnt(0)
	v_mul_f64 v[46:47], v[46:47], v[70:71]
	s_cbranch_execz .LBB21_14
	s_branch .LBB21_15
.LBB21_13:
                                        ; implicit-def: $vgpr46_vgpr47
.LBB21_14:
	ds_read_b64 v[46:47], v48
.LBB21_15:
	buffer_load_dword v74, off, s[0:3], 0 offset:160
	buffer_load_dword v75, off, s[0:3], 0 offset:164
	v_mov_b32_e32 v69, 0
	ds_read2_b64 v[70:73], v69 offset0:19 offset1:42
	s_waitcnt vmcnt(0) lgkmcnt(0)
	v_fma_f64 v[72:73], v[74:75], v[72:73], v[46:47]
	v_cndmask_b32_e64 v47, v47, v73, s[4:5]
	v_cndmask_b32_e64 v46, v46, v72, s[4:5]
	v_mul_f64 v[46:47], v[46:47], v[70:71]
	buffer_store_dword v47, off, s[0:3], 0 offset:156
	buffer_store_dword v46, off, s[0:3], 0 offset:152
.LBB21_16:
	s_or_b64 exec, exec, s[10:11]
	buffer_load_dword v46, off, s[0:3], 0 offset:144
	buffer_load_dword v47, off, s[0:3], 0 offset:148
	v_cmp_lt_u32_e64 s[4:5], 18, v0
	s_waitcnt vmcnt(0)
	ds_write_b64 v48, v[46:47]
	s_waitcnt lgkmcnt(0)
	; wave barrier
	s_waitcnt lgkmcnt(0)
	s_and_saveexec_b64 s[10:11], s[4:5]
	s_cbranch_execz .LBB21_26
; %bb.17:
	s_andn2_b64 vcc, exec, s[8:9]
	s_cbranch_vccnz .LBB21_19
; %bb.18:
	buffer_load_dword v46, v49, s[0:3], 0 offen
	buffer_load_dword v47, v49, s[0:3], 0 offen offset:4
	ds_read_b64 v[70:71], v48
	s_waitcnt vmcnt(0) lgkmcnt(0)
	v_mul_f64 v[46:47], v[46:47], v[70:71]
	s_cbranch_execz .LBB21_20
	s_branch .LBB21_21
.LBB21_19:
                                        ; implicit-def: $vgpr46_vgpr47
.LBB21_20:
	ds_read_b64 v[46:47], v48
.LBB21_21:
	s_and_saveexec_b64 s[12:13], s[6:7]
	s_cbranch_execz .LBB21_25
; %bb.22:
	v_subrev_u32_e32 v69, 19, v0
	s_movk_i32 s14, 0x148
	s_mov_b64 s[6:7], 0
.LBB21_23:                              ; =>This Inner Loop Header: Depth=1
	buffer_load_dword v70, v68, s[0:3], 0 offen
	buffer_load_dword v71, v68, s[0:3], 0 offen offset:4
	v_mov_b32_e32 v72, s14
	ds_read_b64 v[72:73], v72
	v_add_u32_e32 v69, -1, v69
	s_add_i32 s14, s14, 8
	v_cmp_eq_u32_e32 vcc, 0, v69
	v_add_u32_e32 v68, 8, v68
	s_or_b64 s[6:7], vcc, s[6:7]
	s_waitcnt vmcnt(0) lgkmcnt(0)
	v_fmac_f64_e32 v[46:47], v[70:71], v[72:73]
	s_andn2_b64 exec, exec, s[6:7]
	s_cbranch_execnz .LBB21_23
; %bb.24:
	s_or_b64 exec, exec, s[6:7]
.LBB21_25:
	s_or_b64 exec, exec, s[12:13]
	v_mov_b32_e32 v68, 0
	ds_read_b64 v[68:69], v68 offset:144
	s_waitcnt lgkmcnt(0)
	v_mul_f64 v[46:47], v[46:47], v[68:69]
	buffer_store_dword v47, off, s[0:3], 0 offset:148
	buffer_store_dword v46, off, s[0:3], 0 offset:144
.LBB21_26:
	s_or_b64 exec, exec, s[10:11]
	buffer_load_dword v46, off, s[0:3], 0 offset:136
	buffer_load_dword v47, off, s[0:3], 0 offset:140
	v_cmp_lt_u32_e64 s[6:7], 17, v0
	s_waitcnt vmcnt(0)
	ds_write_b64 v48, v[46:47]
	s_waitcnt lgkmcnt(0)
	; wave barrier
	s_waitcnt lgkmcnt(0)
	s_and_saveexec_b64 s[10:11], s[6:7]
	s_cbranch_execz .LBB21_36
; %bb.27:
	s_andn2_b64 vcc, exec, s[8:9]
	s_cbranch_vccnz .LBB21_29
; %bb.28:
	buffer_load_dword v46, v49, s[0:3], 0 offen
	buffer_load_dword v47, v49, s[0:3], 0 offen offset:4
	ds_read_b64 v[68:69], v48
	s_waitcnt vmcnt(0) lgkmcnt(0)
	v_mul_f64 v[46:47], v[46:47], v[68:69]
	s_cbranch_execz .LBB21_30
	s_branch .LBB21_31
.LBB21_29:
                                        ; implicit-def: $vgpr46_vgpr47
.LBB21_30:
	ds_read_b64 v[46:47], v48
.LBB21_31:
	s_and_saveexec_b64 s[12:13], s[4:5]
	s_cbranch_execz .LBB21_35
; %bb.32:
	v_subrev_u32_e32 v68, 18, v0
	s_movk_i32 s14, 0x140
	s_mov_b64 s[4:5], 0
.LBB21_33:                              ; =>This Inner Loop Header: Depth=1
	buffer_load_dword v70, v67, s[0:3], 0 offen
	buffer_load_dword v71, v67, s[0:3], 0 offen offset:4
	v_mov_b32_e32 v69, s14
	ds_read_b64 v[72:73], v69
	v_add_u32_e32 v68, -1, v68
	s_add_i32 s14, s14, 8
	v_cmp_eq_u32_e32 vcc, 0, v68
	v_add_u32_e32 v67, 8, v67
	s_or_b64 s[4:5], vcc, s[4:5]
	s_waitcnt vmcnt(0) lgkmcnt(0)
	v_fmac_f64_e32 v[46:47], v[70:71], v[72:73]
	s_andn2_b64 exec, exec, s[4:5]
	s_cbranch_execnz .LBB21_33
; %bb.34:
	s_or_b64 exec, exec, s[4:5]
.LBB21_35:
	s_or_b64 exec, exec, s[12:13]
	v_mov_b32_e32 v67, 0
	ds_read_b64 v[68:69], v67 offset:136
	s_waitcnt lgkmcnt(0)
	v_mul_f64 v[46:47], v[46:47], v[68:69]
	buffer_store_dword v47, off, s[0:3], 0 offset:140
	buffer_store_dword v46, off, s[0:3], 0 offset:136
.LBB21_36:
	;; [unrolled: 58-line block ×3, first 2 shown]
	s_or_b64 exec, exec, s[10:11]
	buffer_load_dword v46, off, s[0:3], 0 offset:120
	buffer_load_dword v47, off, s[0:3], 0 offset:124
	v_cmp_lt_u32_e64 s[6:7], 15, v0
	s_waitcnt vmcnt(0)
	ds_write_b64 v48, v[46:47]
	s_waitcnt lgkmcnt(0)
	; wave barrier
	s_waitcnt lgkmcnt(0)
	s_and_saveexec_b64 s[10:11], s[6:7]
	s_cbranch_execz .LBB21_56
; %bb.47:
	s_andn2_b64 vcc, exec, s[8:9]
	s_cbranch_vccnz .LBB21_49
; %bb.48:
	buffer_load_dword v46, v49, s[0:3], 0 offen
	buffer_load_dword v47, v49, s[0:3], 0 offen offset:4
	ds_read_b64 v[66:67], v48
	s_waitcnt vmcnt(0) lgkmcnt(0)
	v_mul_f64 v[46:47], v[46:47], v[66:67]
	s_cbranch_execz .LBB21_50
	s_branch .LBB21_51
.LBB21_49:
                                        ; implicit-def: $vgpr46_vgpr47
.LBB21_50:
	ds_read_b64 v[46:47], v48
.LBB21_51:
	s_and_saveexec_b64 s[12:13], s[4:5]
	s_cbranch_execz .LBB21_55
; %bb.52:
	v_add_u32_e32 v66, -16, v0
	s_movk_i32 s14, 0x130
	s_mov_b64 s[4:5], 0
.LBB21_53:                              ; =>This Inner Loop Header: Depth=1
	buffer_load_dword v68, v65, s[0:3], 0 offen
	buffer_load_dword v69, v65, s[0:3], 0 offen offset:4
	v_mov_b32_e32 v67, s14
	ds_read_b64 v[70:71], v67
	v_add_u32_e32 v66, -1, v66
	s_add_i32 s14, s14, 8
	v_cmp_eq_u32_e32 vcc, 0, v66
	v_add_u32_e32 v65, 8, v65
	s_or_b64 s[4:5], vcc, s[4:5]
	s_waitcnt vmcnt(0) lgkmcnt(0)
	v_fmac_f64_e32 v[46:47], v[68:69], v[70:71]
	s_andn2_b64 exec, exec, s[4:5]
	s_cbranch_execnz .LBB21_53
; %bb.54:
	s_or_b64 exec, exec, s[4:5]
.LBB21_55:
	s_or_b64 exec, exec, s[12:13]
	v_mov_b32_e32 v65, 0
	ds_read_b64 v[66:67], v65 offset:120
	s_waitcnt lgkmcnt(0)
	v_mul_f64 v[46:47], v[46:47], v[66:67]
	buffer_store_dword v47, off, s[0:3], 0 offset:124
	buffer_store_dword v46, off, s[0:3], 0 offset:120
.LBB21_56:
	s_or_b64 exec, exec, s[10:11]
	buffer_load_dword v46, off, s[0:3], 0 offset:112
	buffer_load_dword v47, off, s[0:3], 0 offset:116
	v_cmp_lt_u32_e64 s[4:5], 14, v0
	s_waitcnt vmcnt(0)
	ds_write_b64 v48, v[46:47]
	s_waitcnt lgkmcnt(0)
	; wave barrier
	s_waitcnt lgkmcnt(0)
	s_and_saveexec_b64 s[10:11], s[4:5]
	s_cbranch_execz .LBB21_66
; %bb.57:
	s_andn2_b64 vcc, exec, s[8:9]
	s_cbranch_vccnz .LBB21_59
; %bb.58:
	buffer_load_dword v46, v49, s[0:3], 0 offen
	buffer_load_dword v47, v49, s[0:3], 0 offen offset:4
	ds_read_b64 v[66:67], v48
	s_waitcnt vmcnt(0) lgkmcnt(0)
	v_mul_f64 v[46:47], v[46:47], v[66:67]
	s_cbranch_execz .LBB21_60
	s_branch .LBB21_61
.LBB21_59:
                                        ; implicit-def: $vgpr46_vgpr47
.LBB21_60:
	ds_read_b64 v[46:47], v48
.LBB21_61:
	s_and_saveexec_b64 s[12:13], s[6:7]
	s_cbranch_execz .LBB21_65
; %bb.62:
	v_add_u32_e32 v65, -15, v0
	s_movk_i32 s14, 0x128
	s_mov_b64 s[6:7], 0
.LBB21_63:                              ; =>This Inner Loop Header: Depth=1
	buffer_load_dword v66, v64, s[0:3], 0 offen
	buffer_load_dword v67, v64, s[0:3], 0 offen offset:4
	v_mov_b32_e32 v68, s14
	ds_read_b64 v[68:69], v68
	v_add_u32_e32 v65, -1, v65
	s_add_i32 s14, s14, 8
	v_cmp_eq_u32_e32 vcc, 0, v65
	v_add_u32_e32 v64, 8, v64
	s_or_b64 s[6:7], vcc, s[6:7]
	s_waitcnt vmcnt(0) lgkmcnt(0)
	v_fmac_f64_e32 v[46:47], v[66:67], v[68:69]
	s_andn2_b64 exec, exec, s[6:7]
	s_cbranch_execnz .LBB21_63
; %bb.64:
	s_or_b64 exec, exec, s[6:7]
.LBB21_65:
	s_or_b64 exec, exec, s[12:13]
	v_mov_b32_e32 v64, 0
	ds_read_b64 v[64:65], v64 offset:112
	s_waitcnt lgkmcnt(0)
	v_mul_f64 v[46:47], v[46:47], v[64:65]
	buffer_store_dword v47, off, s[0:3], 0 offset:116
	buffer_store_dword v46, off, s[0:3], 0 offset:112
.LBB21_66:
	;; [unrolled: 58-line block ×5, first 2 shown]
	s_or_b64 exec, exec, s[10:11]
	buffer_load_dword v46, off, s[0:3], 0 offset:80
	buffer_load_dword v47, off, s[0:3], 0 offset:84
	v_cmp_lt_u32_e64 s[4:5], 10, v0
	s_waitcnt vmcnt(0)
	ds_write_b64 v48, v[46:47]
	s_waitcnt lgkmcnt(0)
	; wave barrier
	s_waitcnt lgkmcnt(0)
	s_and_saveexec_b64 s[10:11], s[4:5]
	s_cbranch_execz .LBB21_106
; %bb.97:
	s_andn2_b64 vcc, exec, s[8:9]
	s_cbranch_vccnz .LBB21_99
; %bb.98:
	buffer_load_dword v46, v49, s[0:3], 0 offen
	buffer_load_dword v47, v49, s[0:3], 0 offen offset:4
	ds_read_b64 v[62:63], v48
	s_waitcnt vmcnt(0) lgkmcnt(0)
	v_mul_f64 v[46:47], v[46:47], v[62:63]
	s_cbranch_execz .LBB21_100
	s_branch .LBB21_101
.LBB21_99:
                                        ; implicit-def: $vgpr46_vgpr47
.LBB21_100:
	ds_read_b64 v[46:47], v48
.LBB21_101:
	s_and_saveexec_b64 s[12:13], s[6:7]
	s_cbranch_execz .LBB21_105
; %bb.102:
	v_add_u32_e32 v61, -11, v0
	s_movk_i32 s14, 0x108
	s_mov_b64 s[6:7], 0
.LBB21_103:                             ; =>This Inner Loop Header: Depth=1
	buffer_load_dword v62, v60, s[0:3], 0 offen
	buffer_load_dword v63, v60, s[0:3], 0 offen offset:4
	v_mov_b32_e32 v64, s14
	ds_read_b64 v[64:65], v64
	v_add_u32_e32 v61, -1, v61
	s_add_i32 s14, s14, 8
	v_cmp_eq_u32_e32 vcc, 0, v61
	v_add_u32_e32 v60, 8, v60
	s_or_b64 s[6:7], vcc, s[6:7]
	s_waitcnt vmcnt(0) lgkmcnt(0)
	v_fmac_f64_e32 v[46:47], v[62:63], v[64:65]
	s_andn2_b64 exec, exec, s[6:7]
	s_cbranch_execnz .LBB21_103
; %bb.104:
	s_or_b64 exec, exec, s[6:7]
.LBB21_105:
	s_or_b64 exec, exec, s[12:13]
	v_mov_b32_e32 v60, 0
	ds_read_b64 v[60:61], v60 offset:80
	s_waitcnt lgkmcnt(0)
	v_mul_f64 v[46:47], v[46:47], v[60:61]
	buffer_store_dword v47, off, s[0:3], 0 offset:84
	buffer_store_dword v46, off, s[0:3], 0 offset:80
.LBB21_106:
	s_or_b64 exec, exec, s[10:11]
	buffer_load_dword v46, off, s[0:3], 0 offset:72
	buffer_load_dword v47, off, s[0:3], 0 offset:76
	v_cmp_lt_u32_e64 s[6:7], 9, v0
	s_waitcnt vmcnt(0)
	ds_write_b64 v48, v[46:47]
	s_waitcnt lgkmcnt(0)
	; wave barrier
	s_waitcnt lgkmcnt(0)
	s_and_saveexec_b64 s[10:11], s[6:7]
	s_cbranch_execz .LBB21_116
; %bb.107:
	s_andn2_b64 vcc, exec, s[8:9]
	s_cbranch_vccnz .LBB21_109
; %bb.108:
	buffer_load_dword v46, v49, s[0:3], 0 offen
	buffer_load_dword v47, v49, s[0:3], 0 offen offset:4
	ds_read_b64 v[60:61], v48
	s_waitcnt vmcnt(0) lgkmcnt(0)
	v_mul_f64 v[46:47], v[46:47], v[60:61]
	s_cbranch_execz .LBB21_110
	s_branch .LBB21_111
.LBB21_109:
                                        ; implicit-def: $vgpr46_vgpr47
.LBB21_110:
	ds_read_b64 v[46:47], v48
.LBB21_111:
	s_and_saveexec_b64 s[12:13], s[4:5]
	s_cbranch_execz .LBB21_115
; %bb.112:
	v_add_u32_e32 v60, -10, v0
	s_movk_i32 s14, 0x100
	s_mov_b64 s[4:5], 0
.LBB21_113:                             ; =>This Inner Loop Header: Depth=1
	buffer_load_dword v62, v59, s[0:3], 0 offen
	buffer_load_dword v63, v59, s[0:3], 0 offen offset:4
	v_mov_b32_e32 v61, s14
	ds_read_b64 v[64:65], v61
	v_add_u32_e32 v60, -1, v60
	s_add_i32 s14, s14, 8
	v_cmp_eq_u32_e32 vcc, 0, v60
	v_add_u32_e32 v59, 8, v59
	s_or_b64 s[4:5], vcc, s[4:5]
	s_waitcnt vmcnt(0) lgkmcnt(0)
	v_fmac_f64_e32 v[46:47], v[62:63], v[64:65]
	s_andn2_b64 exec, exec, s[4:5]
	s_cbranch_execnz .LBB21_113
; %bb.114:
	s_or_b64 exec, exec, s[4:5]
.LBB21_115:
	s_or_b64 exec, exec, s[12:13]
	v_mov_b32_e32 v59, 0
	ds_read_b64 v[60:61], v59 offset:72
	s_waitcnt lgkmcnt(0)
	v_mul_f64 v[46:47], v[46:47], v[60:61]
	buffer_store_dword v47, off, s[0:3], 0 offset:76
	buffer_store_dword v46, off, s[0:3], 0 offset:72
.LBB21_116:
	;; [unrolled: 58-line block ×10, first 2 shown]
	s_or_b64 exec, exec, s[10:11]
	buffer_load_dword v46, off, s[0:3], 0
	buffer_load_dword v47, off, s[0:3], 0 offset:4
	v_cmp_ne_u32_e32 vcc, 0, v0
	s_waitcnt vmcnt(0)
	ds_write_b64 v48, v[46:47]
	s_waitcnt lgkmcnt(0)
	; wave barrier
	s_waitcnt lgkmcnt(0)
	s_and_saveexec_b64 s[4:5], vcc
	s_cbranch_execz .LBB21_206
; %bb.197:
	s_andn2_b64 vcc, exec, s[8:9]
	s_cbranch_vccnz .LBB21_199
; %bb.198:
	buffer_load_dword v46, v49, s[0:3], 0 offen
	buffer_load_dword v47, v49, s[0:3], 0 offen offset:4
	ds_read_b64 v[52:53], v48
	s_waitcnt vmcnt(0) lgkmcnt(0)
	v_mul_f64 v[46:47], v[46:47], v[52:53]
	s_cbranch_execz .LBB21_200
	s_branch .LBB21_201
.LBB21_199:
                                        ; implicit-def: $vgpr46_vgpr47
.LBB21_200:
	ds_read_b64 v[46:47], v48
.LBB21_201:
	s_and_saveexec_b64 s[10:11], s[6:7]
	s_cbranch_execz .LBB21_205
; %bb.202:
	v_add_u32_e32 v51, -1, v0
	s_movk_i32 s12, 0xb8
	s_mov_b64 s[6:7], 0
.LBB21_203:                             ; =>This Inner Loop Header: Depth=1
	buffer_load_dword v52, v50, s[0:3], 0 offen
	buffer_load_dword v53, v50, s[0:3], 0 offen offset:4
	v_mov_b32_e32 v54, s12
	ds_read_b64 v[54:55], v54
	v_add_u32_e32 v51, -1, v51
	s_add_i32 s12, s12, 8
	v_cmp_eq_u32_e32 vcc, 0, v51
	v_add_u32_e32 v50, 8, v50
	s_or_b64 s[6:7], vcc, s[6:7]
	s_waitcnt vmcnt(0) lgkmcnt(0)
	v_fmac_f64_e32 v[46:47], v[52:53], v[54:55]
	s_andn2_b64 exec, exec, s[6:7]
	s_cbranch_execnz .LBB21_203
; %bb.204:
	s_or_b64 exec, exec, s[6:7]
.LBB21_205:
	s_or_b64 exec, exec, s[10:11]
	v_mov_b32_e32 v50, 0
	ds_read_b64 v[50:51], v50
	s_waitcnt lgkmcnt(0)
	v_mul_f64 v[46:47], v[46:47], v[50:51]
	buffer_store_dword v47, off, s[0:3], 0 offset:4
	buffer_store_dword v46, off, s[0:3], 0
.LBB21_206:
	s_or_b64 exec, exec, s[4:5]
	s_mov_b64 s[4:5], 0
.LBB21_207:
	s_and_b64 vcc, exec, s[4:5]
	s_cbranch_vccz .LBB21_411
; %bb.208:
	buffer_load_dword v46, off, s[0:3], 0 offset:8
	buffer_load_dword v47, off, s[0:3], 0 offset:12
	v_cmp_eq_u32_e64 s[6:7], 0, v0
	s_waitcnt vmcnt(0)
	ds_write_b64 v48, v[46:47]
	s_waitcnt lgkmcnt(0)
	; wave barrier
	s_waitcnt lgkmcnt(0)
	s_and_saveexec_b64 s[4:5], s[6:7]
	s_cbranch_execz .LBB21_214
; %bb.209:
	s_and_b64 vcc, exec, s[8:9]
	s_cbranch_vccz .LBB21_211
; %bb.210:
	buffer_load_dword v46, v49, s[0:3], 0 offen
	buffer_load_dword v47, v49, s[0:3], 0 offen offset:4
	ds_read_b64 v[50:51], v48
	s_waitcnt vmcnt(0) lgkmcnt(0)
	v_mul_f64 v[46:47], v[46:47], v[50:51]
	s_cbranch_execz .LBB21_212
	s_branch .LBB21_213
.LBB21_211:
                                        ; implicit-def: $vgpr46_vgpr47
.LBB21_212:
	ds_read_b64 v[46:47], v48
.LBB21_213:
	v_mov_b32_e32 v50, 0
	ds_read_b64 v[50:51], v50 offset:8
	s_waitcnt lgkmcnt(0)
	v_mul_f64 v[46:47], v[46:47], v[50:51]
	buffer_store_dword v47, off, s[0:3], 0 offset:12
	buffer_store_dword v46, off, s[0:3], 0 offset:8
.LBB21_214:
	s_or_b64 exec, exec, s[4:5]
	buffer_load_dword v46, off, s[0:3], 0 offset:16
	buffer_load_dword v47, off, s[0:3], 0 offset:20
	v_cndmask_b32_e64 v50, 0, 1, s[8:9]
	v_cmp_gt_u32_e32 vcc, 2, v0
	v_cmp_ne_u32_e64 s[4:5], 1, v50
	s_waitcnt vmcnt(0)
	ds_write_b64 v48, v[46:47]
	s_waitcnt lgkmcnt(0)
	; wave barrier
	s_waitcnt lgkmcnt(0)
	s_and_saveexec_b64 s[8:9], vcc
	s_cbranch_execz .LBB21_222
; %bb.215:
	s_and_b64 vcc, exec, s[4:5]
	s_cbranch_vccnz .LBB21_217
; %bb.216:
	buffer_load_dword v46, v49, s[0:3], 0 offen
	buffer_load_dword v47, v49, s[0:3], 0 offen offset:4
	ds_read_b64 v[50:51], v48
	s_waitcnt vmcnt(0) lgkmcnt(0)
	v_mul_f64 v[46:47], v[46:47], v[50:51]
	s_cbranch_execz .LBB21_218
	s_branch .LBB21_219
.LBB21_217:
                                        ; implicit-def: $vgpr46_vgpr47
.LBB21_218:
	ds_read_b64 v[46:47], v48
.LBB21_219:
	s_and_saveexec_b64 s[10:11], s[6:7]
	s_cbranch_execz .LBB21_221
; %bb.220:
	buffer_load_dword v50, v49, s[0:3], 0 offen offset:8
	buffer_load_dword v51, v49, s[0:3], 0 offen offset:12
	ds_read_b64 v[52:53], v48 offset:8
	s_waitcnt vmcnt(0) lgkmcnt(0)
	v_fmac_f64_e32 v[46:47], v[50:51], v[52:53]
.LBB21_221:
	s_or_b64 exec, exec, s[10:11]
	v_mov_b32_e32 v50, 0
	ds_read_b64 v[50:51], v50 offset:16
	s_waitcnt lgkmcnt(0)
	v_mul_f64 v[46:47], v[46:47], v[50:51]
	buffer_store_dword v47, off, s[0:3], 0 offset:20
	buffer_store_dword v46, off, s[0:3], 0 offset:16
.LBB21_222:
	s_or_b64 exec, exec, s[8:9]
	buffer_load_dword v46, off, s[0:3], 0 offset:24
	buffer_load_dword v47, off, s[0:3], 0 offset:28
	v_cmp_gt_u32_e32 vcc, 3, v0
	s_waitcnt vmcnt(0)
	ds_write_b64 v48, v[46:47]
	s_waitcnt lgkmcnt(0)
	; wave barrier
	s_waitcnt lgkmcnt(0)
	s_and_saveexec_b64 s[8:9], vcc
	s_cbranch_execz .LBB21_230
; %bb.223:
	s_and_b64 vcc, exec, s[4:5]
	s_cbranch_vccnz .LBB21_225
; %bb.224:
	buffer_load_dword v46, v49, s[0:3], 0 offen
	buffer_load_dword v47, v49, s[0:3], 0 offen offset:4
	ds_read_b64 v[50:51], v48
	s_waitcnt vmcnt(0) lgkmcnt(0)
	v_mul_f64 v[46:47], v[46:47], v[50:51]
	s_cbranch_execz .LBB21_226
	s_branch .LBB21_227
.LBB21_225:
                                        ; implicit-def: $vgpr46_vgpr47
.LBB21_226:
	ds_read_b64 v[46:47], v48
.LBB21_227:
	v_cmp_ne_u32_e32 vcc, 2, v0
	s_and_saveexec_b64 s[10:11], vcc
	s_cbranch_execz .LBB21_229
; %bb.228:
	buffer_load_dword v51, v49, s[0:3], 0 offen offset:12
	buffer_load_dword v52, off, s[0:3], 0 offset:16
	buffer_load_dword v50, v49, s[0:3], 0 offen offset:8
	buffer_load_dword v53, off, s[0:3], 0 offset:20
	v_mov_b32_e32 v56, 0
	ds_read_b64 v[54:55], v48 offset:8
	ds_read_b64 v[56:57], v56 offset:192
	s_waitcnt vmcnt(1) lgkmcnt(1)
	v_fmac_f64_e32 v[46:47], v[50:51], v[54:55]
	s_waitcnt vmcnt(0) lgkmcnt(0)
	v_fma_f64 v[50:51], v[52:53], v[56:57], v[46:47]
	v_cndmask_b32_e64 v47, v47, v51, s[6:7]
	v_cndmask_b32_e64 v46, v46, v50, s[6:7]
.LBB21_229:
	s_or_b64 exec, exec, s[10:11]
	v_mov_b32_e32 v50, 0
	ds_read_b64 v[50:51], v50 offset:24
	s_waitcnt lgkmcnt(0)
	v_mul_f64 v[46:47], v[46:47], v[50:51]
	buffer_store_dword v47, off, s[0:3], 0 offset:28
	buffer_store_dword v46, off, s[0:3], 0 offset:24
.LBB21_230:
	s_or_b64 exec, exec, s[8:9]
	buffer_load_dword v46, off, s[0:3], 0 offset:32
	buffer_load_dword v47, off, s[0:3], 0 offset:36
	v_cmp_gt_u32_e32 vcc, 4, v0
	s_waitcnt vmcnt(0)
	ds_write_b64 v48, v[46:47]
	s_waitcnt lgkmcnt(0)
	; wave barrier
	s_waitcnt lgkmcnt(0)
	s_and_saveexec_b64 s[6:7], vcc
	s_cbranch_execz .LBB21_240
; %bb.231:
	s_and_b64 vcc, exec, s[4:5]
	s_cbranch_vccnz .LBB21_233
; %bb.232:
	buffer_load_dword v46, v49, s[0:3], 0 offen
	buffer_load_dword v47, v49, s[0:3], 0 offen offset:4
	ds_read_b64 v[50:51], v48
	s_waitcnt vmcnt(0) lgkmcnt(0)
	v_mul_f64 v[46:47], v[46:47], v[50:51]
	s_cbranch_execz .LBB21_234
	s_branch .LBB21_235
.LBB21_233:
                                        ; implicit-def: $vgpr46_vgpr47
.LBB21_234:
	ds_read_b64 v[46:47], v48
.LBB21_235:
	v_cmp_ne_u32_e32 vcc, 3, v0
	s_and_saveexec_b64 s[8:9], vcc
	s_cbranch_execz .LBB21_239
; %bb.236:
	v_mov_b32_e32 v51, 0
	v_add_u32_e32 v50, 0xb8, v1
	v_add3_u32 v51, v1, v51, 8
	s_mov_b64 s[10:11], 0
	v_mov_b32_e32 v52, v0
.LBB21_237:                             ; =>This Inner Loop Header: Depth=1
	buffer_load_dword v54, v51, s[0:3], 0 offen
	buffer_load_dword v55, v51, s[0:3], 0 offen offset:4
	ds_read_b64 v[56:57], v50
	v_add_u32_e32 v52, 1, v52
	v_cmp_lt_u32_e32 vcc, 2, v52
	v_add_u32_e32 v50, 8, v50
	v_add_u32_e32 v51, 8, v51
	s_or_b64 s[10:11], vcc, s[10:11]
	s_waitcnt vmcnt(0) lgkmcnt(0)
	v_fmac_f64_e32 v[46:47], v[54:55], v[56:57]
	s_andn2_b64 exec, exec, s[10:11]
	s_cbranch_execnz .LBB21_237
; %bb.238:
	s_or_b64 exec, exec, s[10:11]
.LBB21_239:
	s_or_b64 exec, exec, s[8:9]
	v_mov_b32_e32 v50, 0
	ds_read_b64 v[50:51], v50 offset:32
	s_waitcnt lgkmcnt(0)
	v_mul_f64 v[46:47], v[46:47], v[50:51]
	buffer_store_dword v47, off, s[0:3], 0 offset:36
	buffer_store_dword v46, off, s[0:3], 0 offset:32
.LBB21_240:
	s_or_b64 exec, exec, s[6:7]
	buffer_load_dword v46, off, s[0:3], 0 offset:40
	buffer_load_dword v47, off, s[0:3], 0 offset:44
	v_cmp_gt_u32_e32 vcc, 5, v0
	s_waitcnt vmcnt(0)
	ds_write_b64 v48, v[46:47]
	s_waitcnt lgkmcnt(0)
	; wave barrier
	s_waitcnt lgkmcnt(0)
	s_and_saveexec_b64 s[6:7], vcc
	s_cbranch_execz .LBB21_250
; %bb.241:
	s_and_b64 vcc, exec, s[4:5]
	s_cbranch_vccnz .LBB21_243
; %bb.242:
	buffer_load_dword v46, v49, s[0:3], 0 offen
	buffer_load_dword v47, v49, s[0:3], 0 offen offset:4
	ds_read_b64 v[50:51], v48
	s_waitcnt vmcnt(0) lgkmcnt(0)
	v_mul_f64 v[46:47], v[46:47], v[50:51]
	s_cbranch_execz .LBB21_244
	s_branch .LBB21_245
.LBB21_243:
                                        ; implicit-def: $vgpr46_vgpr47
.LBB21_244:
	ds_read_b64 v[46:47], v48
.LBB21_245:
	v_cmp_ne_u32_e32 vcc, 4, v0
	s_and_saveexec_b64 s[8:9], vcc
	s_cbranch_execz .LBB21_249
; %bb.246:
	v_mov_b32_e32 v51, 0
	v_add_u32_e32 v50, 0xb8, v1
	v_add3_u32 v51, v1, v51, 8
	s_mov_b64 s[10:11], 0
	v_mov_b32_e32 v52, v0
.LBB21_247:                             ; =>This Inner Loop Header: Depth=1
	buffer_load_dword v54, v51, s[0:3], 0 offen
	buffer_load_dword v55, v51, s[0:3], 0 offen offset:4
	ds_read_b64 v[56:57], v50
	v_add_u32_e32 v52, 1, v52
	v_cmp_lt_u32_e32 vcc, 3, v52
	v_add_u32_e32 v50, 8, v50
	v_add_u32_e32 v51, 8, v51
	s_or_b64 s[10:11], vcc, s[10:11]
	s_waitcnt vmcnt(0) lgkmcnt(0)
	v_fmac_f64_e32 v[46:47], v[54:55], v[56:57]
	s_andn2_b64 exec, exec, s[10:11]
	s_cbranch_execnz .LBB21_247
; %bb.248:
	s_or_b64 exec, exec, s[10:11]
.LBB21_249:
	s_or_b64 exec, exec, s[8:9]
	v_mov_b32_e32 v50, 0
	ds_read_b64 v[50:51], v50 offset:40
	s_waitcnt lgkmcnt(0)
	v_mul_f64 v[46:47], v[46:47], v[50:51]
	buffer_store_dword v47, off, s[0:3], 0 offset:44
	buffer_store_dword v46, off, s[0:3], 0 offset:40
.LBB21_250:
	s_or_b64 exec, exec, s[6:7]
	buffer_load_dword v46, off, s[0:3], 0 offset:48
	buffer_load_dword v47, off, s[0:3], 0 offset:52
	v_cmp_gt_u32_e32 vcc, 6, v0
	s_waitcnt vmcnt(0)
	ds_write_b64 v48, v[46:47]
	s_waitcnt lgkmcnt(0)
	; wave barrier
	s_waitcnt lgkmcnt(0)
	s_and_saveexec_b64 s[6:7], vcc
	s_cbranch_execz .LBB21_260
; %bb.251:
	s_and_b64 vcc, exec, s[4:5]
	s_cbranch_vccnz .LBB21_253
; %bb.252:
	buffer_load_dword v46, v49, s[0:3], 0 offen
	buffer_load_dword v47, v49, s[0:3], 0 offen offset:4
	ds_read_b64 v[50:51], v48
	s_waitcnt vmcnt(0) lgkmcnt(0)
	v_mul_f64 v[46:47], v[46:47], v[50:51]
	s_cbranch_execz .LBB21_254
	s_branch .LBB21_255
.LBB21_253:
                                        ; implicit-def: $vgpr46_vgpr47
.LBB21_254:
	ds_read_b64 v[46:47], v48
.LBB21_255:
	v_cmp_ne_u32_e32 vcc, 5, v0
	s_and_saveexec_b64 s[8:9], vcc
	s_cbranch_execz .LBB21_259
; %bb.256:
	v_mov_b32_e32 v51, 0
	v_add_u32_e32 v50, 0xb8, v1
	v_add3_u32 v51, v1, v51, 8
	s_mov_b64 s[10:11], 0
	v_mov_b32_e32 v52, v0
.LBB21_257:                             ; =>This Inner Loop Header: Depth=1
	buffer_load_dword v54, v51, s[0:3], 0 offen
	buffer_load_dword v55, v51, s[0:3], 0 offen offset:4
	ds_read_b64 v[56:57], v50
	v_add_u32_e32 v52, 1, v52
	v_cmp_lt_u32_e32 vcc, 4, v52
	v_add_u32_e32 v50, 8, v50
	v_add_u32_e32 v51, 8, v51
	s_or_b64 s[10:11], vcc, s[10:11]
	s_waitcnt vmcnt(0) lgkmcnt(0)
	v_fmac_f64_e32 v[46:47], v[54:55], v[56:57]
	s_andn2_b64 exec, exec, s[10:11]
	s_cbranch_execnz .LBB21_257
; %bb.258:
	s_or_b64 exec, exec, s[10:11]
.LBB21_259:
	s_or_b64 exec, exec, s[8:9]
	v_mov_b32_e32 v50, 0
	ds_read_b64 v[50:51], v50 offset:48
	s_waitcnt lgkmcnt(0)
	v_mul_f64 v[46:47], v[46:47], v[50:51]
	buffer_store_dword v47, off, s[0:3], 0 offset:52
	buffer_store_dword v46, off, s[0:3], 0 offset:48
.LBB21_260:
	s_or_b64 exec, exec, s[6:7]
	buffer_load_dword v46, off, s[0:3], 0 offset:56
	buffer_load_dword v47, off, s[0:3], 0 offset:60
	v_cmp_gt_u32_e32 vcc, 7, v0
	s_waitcnt vmcnt(0)
	ds_write_b64 v48, v[46:47]
	s_waitcnt lgkmcnt(0)
	; wave barrier
	s_waitcnt lgkmcnt(0)
	s_and_saveexec_b64 s[6:7], vcc
	s_cbranch_execz .LBB21_270
; %bb.261:
	s_and_b64 vcc, exec, s[4:5]
	s_cbranch_vccnz .LBB21_263
; %bb.262:
	buffer_load_dword v46, v49, s[0:3], 0 offen
	buffer_load_dword v47, v49, s[0:3], 0 offen offset:4
	ds_read_b64 v[50:51], v48
	s_waitcnt vmcnt(0) lgkmcnt(0)
	v_mul_f64 v[46:47], v[46:47], v[50:51]
	s_cbranch_execz .LBB21_264
	s_branch .LBB21_265
.LBB21_263:
                                        ; implicit-def: $vgpr46_vgpr47
.LBB21_264:
	ds_read_b64 v[46:47], v48
.LBB21_265:
	v_cmp_ne_u32_e32 vcc, 6, v0
	s_and_saveexec_b64 s[8:9], vcc
	s_cbranch_execz .LBB21_269
; %bb.266:
	v_mov_b32_e32 v51, 0
	v_add_u32_e32 v50, 0xb8, v1
	v_add3_u32 v51, v1, v51, 8
	s_mov_b64 s[10:11], 0
	v_mov_b32_e32 v52, v0
.LBB21_267:                             ; =>This Inner Loop Header: Depth=1
	buffer_load_dword v54, v51, s[0:3], 0 offen
	buffer_load_dword v55, v51, s[0:3], 0 offen offset:4
	ds_read_b64 v[56:57], v50
	v_add_u32_e32 v52, 1, v52
	v_cmp_lt_u32_e32 vcc, 5, v52
	v_add_u32_e32 v50, 8, v50
	v_add_u32_e32 v51, 8, v51
	s_or_b64 s[10:11], vcc, s[10:11]
	s_waitcnt vmcnt(0) lgkmcnt(0)
	v_fmac_f64_e32 v[46:47], v[54:55], v[56:57]
	s_andn2_b64 exec, exec, s[10:11]
	s_cbranch_execnz .LBB21_267
; %bb.268:
	s_or_b64 exec, exec, s[10:11]
.LBB21_269:
	s_or_b64 exec, exec, s[8:9]
	v_mov_b32_e32 v50, 0
	ds_read_b64 v[50:51], v50 offset:56
	s_waitcnt lgkmcnt(0)
	v_mul_f64 v[46:47], v[46:47], v[50:51]
	buffer_store_dword v47, off, s[0:3], 0 offset:60
	buffer_store_dword v46, off, s[0:3], 0 offset:56
.LBB21_270:
	s_or_b64 exec, exec, s[6:7]
	buffer_load_dword v46, off, s[0:3], 0 offset:64
	buffer_load_dword v47, off, s[0:3], 0 offset:68
	v_cmp_gt_u32_e32 vcc, 8, v0
	s_waitcnt vmcnt(0)
	ds_write_b64 v48, v[46:47]
	s_waitcnt lgkmcnt(0)
	; wave barrier
	s_waitcnt lgkmcnt(0)
	s_and_saveexec_b64 s[6:7], vcc
	s_cbranch_execz .LBB21_280
; %bb.271:
	s_and_b64 vcc, exec, s[4:5]
	s_cbranch_vccnz .LBB21_273
; %bb.272:
	buffer_load_dword v46, v49, s[0:3], 0 offen
	buffer_load_dword v47, v49, s[0:3], 0 offen offset:4
	ds_read_b64 v[50:51], v48
	s_waitcnt vmcnt(0) lgkmcnt(0)
	v_mul_f64 v[46:47], v[46:47], v[50:51]
	s_cbranch_execz .LBB21_274
	s_branch .LBB21_275
.LBB21_273:
                                        ; implicit-def: $vgpr46_vgpr47
.LBB21_274:
	ds_read_b64 v[46:47], v48
.LBB21_275:
	v_cmp_ne_u32_e32 vcc, 7, v0
	s_and_saveexec_b64 s[8:9], vcc
	s_cbranch_execz .LBB21_279
; %bb.276:
	v_mov_b32_e32 v51, 0
	v_add_u32_e32 v50, 0xb8, v1
	v_add3_u32 v51, v1, v51, 8
	s_mov_b64 s[10:11], 0
	v_mov_b32_e32 v52, v0
.LBB21_277:                             ; =>This Inner Loop Header: Depth=1
	buffer_load_dword v54, v51, s[0:3], 0 offen
	buffer_load_dword v55, v51, s[0:3], 0 offen offset:4
	ds_read_b64 v[56:57], v50
	v_add_u32_e32 v52, 1, v52
	v_cmp_lt_u32_e32 vcc, 6, v52
	v_add_u32_e32 v50, 8, v50
	v_add_u32_e32 v51, 8, v51
	s_or_b64 s[10:11], vcc, s[10:11]
	s_waitcnt vmcnt(0) lgkmcnt(0)
	v_fmac_f64_e32 v[46:47], v[54:55], v[56:57]
	s_andn2_b64 exec, exec, s[10:11]
	s_cbranch_execnz .LBB21_277
; %bb.278:
	s_or_b64 exec, exec, s[10:11]
.LBB21_279:
	s_or_b64 exec, exec, s[8:9]
	v_mov_b32_e32 v50, 0
	ds_read_b64 v[50:51], v50 offset:64
	s_waitcnt lgkmcnt(0)
	v_mul_f64 v[46:47], v[46:47], v[50:51]
	buffer_store_dword v47, off, s[0:3], 0 offset:68
	buffer_store_dword v46, off, s[0:3], 0 offset:64
.LBB21_280:
	s_or_b64 exec, exec, s[6:7]
	buffer_load_dword v46, off, s[0:3], 0 offset:72
	buffer_load_dword v47, off, s[0:3], 0 offset:76
	v_cmp_gt_u32_e32 vcc, 9, v0
	s_waitcnt vmcnt(0)
	ds_write_b64 v48, v[46:47]
	s_waitcnt lgkmcnt(0)
	; wave barrier
	s_waitcnt lgkmcnt(0)
	s_and_saveexec_b64 s[6:7], vcc
	s_cbranch_execz .LBB21_290
; %bb.281:
	s_and_b64 vcc, exec, s[4:5]
	s_cbranch_vccnz .LBB21_283
; %bb.282:
	buffer_load_dword v46, v49, s[0:3], 0 offen
	buffer_load_dword v47, v49, s[0:3], 0 offen offset:4
	ds_read_b64 v[50:51], v48
	s_waitcnt vmcnt(0) lgkmcnt(0)
	v_mul_f64 v[46:47], v[46:47], v[50:51]
	s_cbranch_execz .LBB21_284
	s_branch .LBB21_285
.LBB21_283:
                                        ; implicit-def: $vgpr46_vgpr47
.LBB21_284:
	ds_read_b64 v[46:47], v48
.LBB21_285:
	v_cmp_ne_u32_e32 vcc, 8, v0
	s_and_saveexec_b64 s[8:9], vcc
	s_cbranch_execz .LBB21_289
; %bb.286:
	v_mov_b32_e32 v51, 0
	v_add_u32_e32 v50, 0xb8, v1
	v_add3_u32 v51, v1, v51, 8
	s_mov_b64 s[10:11], 0
	v_mov_b32_e32 v52, v0
.LBB21_287:                             ; =>This Inner Loop Header: Depth=1
	buffer_load_dword v54, v51, s[0:3], 0 offen
	buffer_load_dword v55, v51, s[0:3], 0 offen offset:4
	ds_read_b64 v[56:57], v50
	v_add_u32_e32 v52, 1, v52
	v_cmp_lt_u32_e32 vcc, 7, v52
	v_add_u32_e32 v50, 8, v50
	v_add_u32_e32 v51, 8, v51
	s_or_b64 s[10:11], vcc, s[10:11]
	s_waitcnt vmcnt(0) lgkmcnt(0)
	v_fmac_f64_e32 v[46:47], v[54:55], v[56:57]
	s_andn2_b64 exec, exec, s[10:11]
	s_cbranch_execnz .LBB21_287
; %bb.288:
	s_or_b64 exec, exec, s[10:11]
.LBB21_289:
	s_or_b64 exec, exec, s[8:9]
	v_mov_b32_e32 v50, 0
	ds_read_b64 v[50:51], v50 offset:72
	s_waitcnt lgkmcnt(0)
	v_mul_f64 v[46:47], v[46:47], v[50:51]
	buffer_store_dword v47, off, s[0:3], 0 offset:76
	buffer_store_dword v46, off, s[0:3], 0 offset:72
.LBB21_290:
	s_or_b64 exec, exec, s[6:7]
	buffer_load_dword v46, off, s[0:3], 0 offset:80
	buffer_load_dword v47, off, s[0:3], 0 offset:84
	v_cmp_gt_u32_e32 vcc, 10, v0
	s_waitcnt vmcnt(0)
	ds_write_b64 v48, v[46:47]
	s_waitcnt lgkmcnt(0)
	; wave barrier
	s_waitcnt lgkmcnt(0)
	s_and_saveexec_b64 s[6:7], vcc
	s_cbranch_execz .LBB21_300
; %bb.291:
	s_and_b64 vcc, exec, s[4:5]
	s_cbranch_vccnz .LBB21_293
; %bb.292:
	buffer_load_dword v46, v49, s[0:3], 0 offen
	buffer_load_dword v47, v49, s[0:3], 0 offen offset:4
	ds_read_b64 v[50:51], v48
	s_waitcnt vmcnt(0) lgkmcnt(0)
	v_mul_f64 v[46:47], v[46:47], v[50:51]
	s_cbranch_execz .LBB21_294
	s_branch .LBB21_295
.LBB21_293:
                                        ; implicit-def: $vgpr46_vgpr47
.LBB21_294:
	ds_read_b64 v[46:47], v48
.LBB21_295:
	v_cmp_ne_u32_e32 vcc, 9, v0
	s_and_saveexec_b64 s[8:9], vcc
	s_cbranch_execz .LBB21_299
; %bb.296:
	v_mov_b32_e32 v51, 0
	v_add_u32_e32 v50, 0xb8, v1
	v_add3_u32 v51, v1, v51, 8
	s_mov_b64 s[10:11], 0
	v_mov_b32_e32 v52, v0
.LBB21_297:                             ; =>This Inner Loop Header: Depth=1
	buffer_load_dword v54, v51, s[0:3], 0 offen
	buffer_load_dword v55, v51, s[0:3], 0 offen offset:4
	ds_read_b64 v[56:57], v50
	v_add_u32_e32 v52, 1, v52
	v_cmp_lt_u32_e32 vcc, 8, v52
	v_add_u32_e32 v50, 8, v50
	v_add_u32_e32 v51, 8, v51
	s_or_b64 s[10:11], vcc, s[10:11]
	s_waitcnt vmcnt(0) lgkmcnt(0)
	v_fmac_f64_e32 v[46:47], v[54:55], v[56:57]
	s_andn2_b64 exec, exec, s[10:11]
	s_cbranch_execnz .LBB21_297
; %bb.298:
	s_or_b64 exec, exec, s[10:11]
.LBB21_299:
	s_or_b64 exec, exec, s[8:9]
	v_mov_b32_e32 v50, 0
	ds_read_b64 v[50:51], v50 offset:80
	s_waitcnt lgkmcnt(0)
	v_mul_f64 v[46:47], v[46:47], v[50:51]
	buffer_store_dword v47, off, s[0:3], 0 offset:84
	buffer_store_dword v46, off, s[0:3], 0 offset:80
.LBB21_300:
	s_or_b64 exec, exec, s[6:7]
	buffer_load_dword v46, off, s[0:3], 0 offset:88
	buffer_load_dword v47, off, s[0:3], 0 offset:92
	v_cmp_gt_u32_e32 vcc, 11, v0
	s_waitcnt vmcnt(0)
	ds_write_b64 v48, v[46:47]
	s_waitcnt lgkmcnt(0)
	; wave barrier
	s_waitcnt lgkmcnt(0)
	s_and_saveexec_b64 s[6:7], vcc
	s_cbranch_execz .LBB21_310
; %bb.301:
	s_and_b64 vcc, exec, s[4:5]
	s_cbranch_vccnz .LBB21_303
; %bb.302:
	buffer_load_dword v46, v49, s[0:3], 0 offen
	buffer_load_dword v47, v49, s[0:3], 0 offen offset:4
	ds_read_b64 v[50:51], v48
	s_waitcnt vmcnt(0) lgkmcnt(0)
	v_mul_f64 v[46:47], v[46:47], v[50:51]
	s_cbranch_execz .LBB21_304
	s_branch .LBB21_305
.LBB21_303:
                                        ; implicit-def: $vgpr46_vgpr47
.LBB21_304:
	ds_read_b64 v[46:47], v48
.LBB21_305:
	v_cmp_ne_u32_e32 vcc, 10, v0
	s_and_saveexec_b64 s[8:9], vcc
	s_cbranch_execz .LBB21_309
; %bb.306:
	v_mov_b32_e32 v51, 0
	v_add_u32_e32 v50, 0xb8, v1
	v_add3_u32 v51, v1, v51, 8
	s_mov_b64 s[10:11], 0
	v_mov_b32_e32 v52, v0
.LBB21_307:                             ; =>This Inner Loop Header: Depth=1
	buffer_load_dword v54, v51, s[0:3], 0 offen
	buffer_load_dword v55, v51, s[0:3], 0 offen offset:4
	ds_read_b64 v[56:57], v50
	v_add_u32_e32 v52, 1, v52
	v_cmp_lt_u32_e32 vcc, 9, v52
	v_add_u32_e32 v50, 8, v50
	v_add_u32_e32 v51, 8, v51
	s_or_b64 s[10:11], vcc, s[10:11]
	s_waitcnt vmcnt(0) lgkmcnt(0)
	v_fmac_f64_e32 v[46:47], v[54:55], v[56:57]
	s_andn2_b64 exec, exec, s[10:11]
	s_cbranch_execnz .LBB21_307
; %bb.308:
	s_or_b64 exec, exec, s[10:11]
.LBB21_309:
	s_or_b64 exec, exec, s[8:9]
	v_mov_b32_e32 v50, 0
	ds_read_b64 v[50:51], v50 offset:88
	s_waitcnt lgkmcnt(0)
	v_mul_f64 v[46:47], v[46:47], v[50:51]
	buffer_store_dword v47, off, s[0:3], 0 offset:92
	buffer_store_dword v46, off, s[0:3], 0 offset:88
.LBB21_310:
	s_or_b64 exec, exec, s[6:7]
	buffer_load_dword v46, off, s[0:3], 0 offset:96
	buffer_load_dword v47, off, s[0:3], 0 offset:100
	v_cmp_gt_u32_e32 vcc, 12, v0
	s_waitcnt vmcnt(0)
	ds_write_b64 v48, v[46:47]
	s_waitcnt lgkmcnt(0)
	; wave barrier
	s_waitcnt lgkmcnt(0)
	s_and_saveexec_b64 s[6:7], vcc
	s_cbranch_execz .LBB21_320
; %bb.311:
	s_and_b64 vcc, exec, s[4:5]
	s_cbranch_vccnz .LBB21_313
; %bb.312:
	buffer_load_dword v46, v49, s[0:3], 0 offen
	buffer_load_dword v47, v49, s[0:3], 0 offen offset:4
	ds_read_b64 v[50:51], v48
	s_waitcnt vmcnt(0) lgkmcnt(0)
	v_mul_f64 v[46:47], v[46:47], v[50:51]
	s_cbranch_execz .LBB21_314
	s_branch .LBB21_315
.LBB21_313:
                                        ; implicit-def: $vgpr46_vgpr47
.LBB21_314:
	ds_read_b64 v[46:47], v48
.LBB21_315:
	v_cmp_ne_u32_e32 vcc, 11, v0
	s_and_saveexec_b64 s[8:9], vcc
	s_cbranch_execz .LBB21_319
; %bb.316:
	v_mov_b32_e32 v51, 0
	v_add_u32_e32 v50, 0xb8, v1
	v_add3_u32 v51, v1, v51, 8
	s_mov_b64 s[10:11], 0
	v_mov_b32_e32 v52, v0
.LBB21_317:                             ; =>This Inner Loop Header: Depth=1
	buffer_load_dword v54, v51, s[0:3], 0 offen
	buffer_load_dword v55, v51, s[0:3], 0 offen offset:4
	ds_read_b64 v[56:57], v50
	v_add_u32_e32 v52, 1, v52
	v_cmp_lt_u32_e32 vcc, 10, v52
	v_add_u32_e32 v50, 8, v50
	v_add_u32_e32 v51, 8, v51
	s_or_b64 s[10:11], vcc, s[10:11]
	s_waitcnt vmcnt(0) lgkmcnt(0)
	v_fmac_f64_e32 v[46:47], v[54:55], v[56:57]
	s_andn2_b64 exec, exec, s[10:11]
	s_cbranch_execnz .LBB21_317
; %bb.318:
	s_or_b64 exec, exec, s[10:11]
.LBB21_319:
	s_or_b64 exec, exec, s[8:9]
	v_mov_b32_e32 v50, 0
	ds_read_b64 v[50:51], v50 offset:96
	s_waitcnt lgkmcnt(0)
	v_mul_f64 v[46:47], v[46:47], v[50:51]
	buffer_store_dword v47, off, s[0:3], 0 offset:100
	buffer_store_dword v46, off, s[0:3], 0 offset:96
.LBB21_320:
	s_or_b64 exec, exec, s[6:7]
	buffer_load_dword v46, off, s[0:3], 0 offset:104
	buffer_load_dword v47, off, s[0:3], 0 offset:108
	v_cmp_gt_u32_e32 vcc, 13, v0
	s_waitcnt vmcnt(0)
	ds_write_b64 v48, v[46:47]
	s_waitcnt lgkmcnt(0)
	; wave barrier
	s_waitcnt lgkmcnt(0)
	s_and_saveexec_b64 s[6:7], vcc
	s_cbranch_execz .LBB21_330
; %bb.321:
	s_and_b64 vcc, exec, s[4:5]
	s_cbranch_vccnz .LBB21_323
; %bb.322:
	buffer_load_dword v46, v49, s[0:3], 0 offen
	buffer_load_dword v47, v49, s[0:3], 0 offen offset:4
	ds_read_b64 v[50:51], v48
	s_waitcnt vmcnt(0) lgkmcnt(0)
	v_mul_f64 v[46:47], v[46:47], v[50:51]
	s_cbranch_execz .LBB21_324
	s_branch .LBB21_325
.LBB21_323:
                                        ; implicit-def: $vgpr46_vgpr47
.LBB21_324:
	ds_read_b64 v[46:47], v48
.LBB21_325:
	v_cmp_ne_u32_e32 vcc, 12, v0
	s_and_saveexec_b64 s[8:9], vcc
	s_cbranch_execz .LBB21_329
; %bb.326:
	v_mov_b32_e32 v51, 0
	v_add_u32_e32 v50, 0xb8, v1
	v_add3_u32 v51, v1, v51, 8
	s_mov_b64 s[10:11], 0
	v_mov_b32_e32 v52, v0
.LBB21_327:                             ; =>This Inner Loop Header: Depth=1
	buffer_load_dword v54, v51, s[0:3], 0 offen
	buffer_load_dword v55, v51, s[0:3], 0 offen offset:4
	ds_read_b64 v[56:57], v50
	v_add_u32_e32 v52, 1, v52
	v_cmp_lt_u32_e32 vcc, 11, v52
	v_add_u32_e32 v50, 8, v50
	v_add_u32_e32 v51, 8, v51
	s_or_b64 s[10:11], vcc, s[10:11]
	s_waitcnt vmcnt(0) lgkmcnt(0)
	v_fmac_f64_e32 v[46:47], v[54:55], v[56:57]
	s_andn2_b64 exec, exec, s[10:11]
	s_cbranch_execnz .LBB21_327
; %bb.328:
	s_or_b64 exec, exec, s[10:11]
.LBB21_329:
	s_or_b64 exec, exec, s[8:9]
	v_mov_b32_e32 v50, 0
	ds_read_b64 v[50:51], v50 offset:104
	s_waitcnt lgkmcnt(0)
	v_mul_f64 v[46:47], v[46:47], v[50:51]
	buffer_store_dword v47, off, s[0:3], 0 offset:108
	buffer_store_dword v46, off, s[0:3], 0 offset:104
.LBB21_330:
	s_or_b64 exec, exec, s[6:7]
	buffer_load_dword v46, off, s[0:3], 0 offset:112
	buffer_load_dword v47, off, s[0:3], 0 offset:116
	v_cmp_gt_u32_e32 vcc, 14, v0
	s_waitcnt vmcnt(0)
	ds_write_b64 v48, v[46:47]
	s_waitcnt lgkmcnt(0)
	; wave barrier
	s_waitcnt lgkmcnt(0)
	s_and_saveexec_b64 s[6:7], vcc
	s_cbranch_execz .LBB21_340
; %bb.331:
	s_and_b64 vcc, exec, s[4:5]
	s_cbranch_vccnz .LBB21_333
; %bb.332:
	buffer_load_dword v46, v49, s[0:3], 0 offen
	buffer_load_dword v47, v49, s[0:3], 0 offen offset:4
	ds_read_b64 v[50:51], v48
	s_waitcnt vmcnt(0) lgkmcnt(0)
	v_mul_f64 v[46:47], v[46:47], v[50:51]
	s_cbranch_execz .LBB21_334
	s_branch .LBB21_335
.LBB21_333:
                                        ; implicit-def: $vgpr46_vgpr47
.LBB21_334:
	ds_read_b64 v[46:47], v48
.LBB21_335:
	v_cmp_ne_u32_e32 vcc, 13, v0
	s_and_saveexec_b64 s[8:9], vcc
	s_cbranch_execz .LBB21_339
; %bb.336:
	v_mov_b32_e32 v51, 0
	v_add_u32_e32 v50, 0xb8, v1
	v_add3_u32 v51, v1, v51, 8
	s_mov_b64 s[10:11], 0
	v_mov_b32_e32 v52, v0
.LBB21_337:                             ; =>This Inner Loop Header: Depth=1
	buffer_load_dword v54, v51, s[0:3], 0 offen
	buffer_load_dword v55, v51, s[0:3], 0 offen offset:4
	ds_read_b64 v[56:57], v50
	v_add_u32_e32 v52, 1, v52
	v_cmp_lt_u32_e32 vcc, 12, v52
	v_add_u32_e32 v50, 8, v50
	v_add_u32_e32 v51, 8, v51
	s_or_b64 s[10:11], vcc, s[10:11]
	s_waitcnt vmcnt(0) lgkmcnt(0)
	v_fmac_f64_e32 v[46:47], v[54:55], v[56:57]
	s_andn2_b64 exec, exec, s[10:11]
	s_cbranch_execnz .LBB21_337
; %bb.338:
	s_or_b64 exec, exec, s[10:11]
.LBB21_339:
	s_or_b64 exec, exec, s[8:9]
	v_mov_b32_e32 v50, 0
	ds_read_b64 v[50:51], v50 offset:112
	s_waitcnt lgkmcnt(0)
	v_mul_f64 v[46:47], v[46:47], v[50:51]
	buffer_store_dword v47, off, s[0:3], 0 offset:116
	buffer_store_dword v46, off, s[0:3], 0 offset:112
.LBB21_340:
	s_or_b64 exec, exec, s[6:7]
	buffer_load_dword v46, off, s[0:3], 0 offset:120
	buffer_load_dword v47, off, s[0:3], 0 offset:124
	v_cmp_gt_u32_e32 vcc, 15, v0
	s_waitcnt vmcnt(0)
	ds_write_b64 v48, v[46:47]
	s_waitcnt lgkmcnt(0)
	; wave barrier
	s_waitcnt lgkmcnt(0)
	s_and_saveexec_b64 s[6:7], vcc
	s_cbranch_execz .LBB21_350
; %bb.341:
	s_and_b64 vcc, exec, s[4:5]
	s_cbranch_vccnz .LBB21_343
; %bb.342:
	buffer_load_dword v46, v49, s[0:3], 0 offen
	buffer_load_dword v47, v49, s[0:3], 0 offen offset:4
	ds_read_b64 v[50:51], v48
	s_waitcnt vmcnt(0) lgkmcnt(0)
	v_mul_f64 v[46:47], v[46:47], v[50:51]
	s_cbranch_execz .LBB21_344
	s_branch .LBB21_345
.LBB21_343:
                                        ; implicit-def: $vgpr46_vgpr47
.LBB21_344:
	ds_read_b64 v[46:47], v48
.LBB21_345:
	v_cmp_ne_u32_e32 vcc, 14, v0
	s_and_saveexec_b64 s[8:9], vcc
	s_cbranch_execz .LBB21_349
; %bb.346:
	v_mov_b32_e32 v51, 0
	v_add_u32_e32 v50, 0xb8, v1
	v_add3_u32 v51, v1, v51, 8
	s_mov_b64 s[10:11], 0
	v_mov_b32_e32 v52, v0
.LBB21_347:                             ; =>This Inner Loop Header: Depth=1
	buffer_load_dword v54, v51, s[0:3], 0 offen
	buffer_load_dword v55, v51, s[0:3], 0 offen offset:4
	ds_read_b64 v[56:57], v50
	v_add_u32_e32 v52, 1, v52
	v_cmp_lt_u32_e32 vcc, 13, v52
	v_add_u32_e32 v50, 8, v50
	v_add_u32_e32 v51, 8, v51
	s_or_b64 s[10:11], vcc, s[10:11]
	s_waitcnt vmcnt(0) lgkmcnt(0)
	v_fmac_f64_e32 v[46:47], v[54:55], v[56:57]
	s_andn2_b64 exec, exec, s[10:11]
	s_cbranch_execnz .LBB21_347
; %bb.348:
	s_or_b64 exec, exec, s[10:11]
.LBB21_349:
	s_or_b64 exec, exec, s[8:9]
	v_mov_b32_e32 v50, 0
	ds_read_b64 v[50:51], v50 offset:120
	s_waitcnt lgkmcnt(0)
	v_mul_f64 v[46:47], v[46:47], v[50:51]
	buffer_store_dword v47, off, s[0:3], 0 offset:124
	buffer_store_dword v46, off, s[0:3], 0 offset:120
.LBB21_350:
	s_or_b64 exec, exec, s[6:7]
	buffer_load_dword v46, off, s[0:3], 0 offset:128
	buffer_load_dword v47, off, s[0:3], 0 offset:132
	v_cmp_gt_u32_e32 vcc, 16, v0
	s_waitcnt vmcnt(0)
	ds_write_b64 v48, v[46:47]
	s_waitcnt lgkmcnt(0)
	; wave barrier
	s_waitcnt lgkmcnt(0)
	s_and_saveexec_b64 s[6:7], vcc
	s_cbranch_execz .LBB21_360
; %bb.351:
	s_and_b64 vcc, exec, s[4:5]
	s_cbranch_vccnz .LBB21_353
; %bb.352:
	buffer_load_dword v46, v49, s[0:3], 0 offen
	buffer_load_dword v47, v49, s[0:3], 0 offen offset:4
	ds_read_b64 v[50:51], v48
	s_waitcnt vmcnt(0) lgkmcnt(0)
	v_mul_f64 v[46:47], v[46:47], v[50:51]
	s_cbranch_execz .LBB21_354
	s_branch .LBB21_355
.LBB21_353:
                                        ; implicit-def: $vgpr46_vgpr47
.LBB21_354:
	ds_read_b64 v[46:47], v48
.LBB21_355:
	v_cmp_ne_u32_e32 vcc, 15, v0
	s_and_saveexec_b64 s[8:9], vcc
	s_cbranch_execz .LBB21_359
; %bb.356:
	v_mov_b32_e32 v51, 0
	v_add_u32_e32 v50, 0xb8, v1
	v_add3_u32 v51, v1, v51, 8
	s_mov_b64 s[10:11], 0
	v_mov_b32_e32 v52, v0
.LBB21_357:                             ; =>This Inner Loop Header: Depth=1
	buffer_load_dword v54, v51, s[0:3], 0 offen
	buffer_load_dword v55, v51, s[0:3], 0 offen offset:4
	ds_read_b64 v[56:57], v50
	v_add_u32_e32 v52, 1, v52
	v_cmp_lt_u32_e32 vcc, 14, v52
	v_add_u32_e32 v50, 8, v50
	v_add_u32_e32 v51, 8, v51
	s_or_b64 s[10:11], vcc, s[10:11]
	s_waitcnt vmcnt(0) lgkmcnt(0)
	v_fmac_f64_e32 v[46:47], v[54:55], v[56:57]
	s_andn2_b64 exec, exec, s[10:11]
	s_cbranch_execnz .LBB21_357
; %bb.358:
	s_or_b64 exec, exec, s[10:11]
.LBB21_359:
	s_or_b64 exec, exec, s[8:9]
	v_mov_b32_e32 v50, 0
	ds_read_b64 v[50:51], v50 offset:128
	s_waitcnt lgkmcnt(0)
	v_mul_f64 v[46:47], v[46:47], v[50:51]
	buffer_store_dword v47, off, s[0:3], 0 offset:132
	buffer_store_dword v46, off, s[0:3], 0 offset:128
.LBB21_360:
	s_or_b64 exec, exec, s[6:7]
	buffer_load_dword v46, off, s[0:3], 0 offset:136
	buffer_load_dword v47, off, s[0:3], 0 offset:140
	v_cmp_gt_u32_e32 vcc, 17, v0
	s_waitcnt vmcnt(0)
	ds_write_b64 v48, v[46:47]
	s_waitcnt lgkmcnt(0)
	; wave barrier
	s_waitcnt lgkmcnt(0)
	s_and_saveexec_b64 s[6:7], vcc
	s_cbranch_execz .LBB21_370
; %bb.361:
	s_and_b64 vcc, exec, s[4:5]
	s_cbranch_vccnz .LBB21_363
; %bb.362:
	buffer_load_dword v46, v49, s[0:3], 0 offen
	buffer_load_dword v47, v49, s[0:3], 0 offen offset:4
	ds_read_b64 v[50:51], v48
	s_waitcnt vmcnt(0) lgkmcnt(0)
	v_mul_f64 v[46:47], v[46:47], v[50:51]
	s_cbranch_execz .LBB21_364
	s_branch .LBB21_365
.LBB21_363:
                                        ; implicit-def: $vgpr46_vgpr47
.LBB21_364:
	ds_read_b64 v[46:47], v48
.LBB21_365:
	v_cmp_ne_u32_e32 vcc, 16, v0
	s_and_saveexec_b64 s[8:9], vcc
	s_cbranch_execz .LBB21_369
; %bb.366:
	v_mov_b32_e32 v51, 0
	v_add_u32_e32 v50, 0xb8, v1
	v_add3_u32 v51, v1, v51, 8
	s_mov_b64 s[10:11], 0
	v_mov_b32_e32 v52, v0
.LBB21_367:                             ; =>This Inner Loop Header: Depth=1
	buffer_load_dword v54, v51, s[0:3], 0 offen
	buffer_load_dword v55, v51, s[0:3], 0 offen offset:4
	ds_read_b64 v[56:57], v50
	v_add_u32_e32 v52, 1, v52
	v_cmp_lt_u32_e32 vcc, 15, v52
	v_add_u32_e32 v50, 8, v50
	v_add_u32_e32 v51, 8, v51
	s_or_b64 s[10:11], vcc, s[10:11]
	s_waitcnt vmcnt(0) lgkmcnt(0)
	v_fmac_f64_e32 v[46:47], v[54:55], v[56:57]
	s_andn2_b64 exec, exec, s[10:11]
	s_cbranch_execnz .LBB21_367
; %bb.368:
	s_or_b64 exec, exec, s[10:11]
.LBB21_369:
	s_or_b64 exec, exec, s[8:9]
	v_mov_b32_e32 v50, 0
	ds_read_b64 v[50:51], v50 offset:136
	s_waitcnt lgkmcnt(0)
	v_mul_f64 v[46:47], v[46:47], v[50:51]
	buffer_store_dword v47, off, s[0:3], 0 offset:140
	buffer_store_dword v46, off, s[0:3], 0 offset:136
.LBB21_370:
	s_or_b64 exec, exec, s[6:7]
	buffer_load_dword v46, off, s[0:3], 0 offset:144
	buffer_load_dword v47, off, s[0:3], 0 offset:148
	v_cmp_gt_u32_e32 vcc, 18, v0
	s_waitcnt vmcnt(0)
	ds_write_b64 v48, v[46:47]
	s_waitcnt lgkmcnt(0)
	; wave barrier
	s_waitcnt lgkmcnt(0)
	s_and_saveexec_b64 s[6:7], vcc
	s_cbranch_execz .LBB21_380
; %bb.371:
	s_and_b64 vcc, exec, s[4:5]
	s_cbranch_vccnz .LBB21_373
; %bb.372:
	buffer_load_dword v46, v49, s[0:3], 0 offen
	buffer_load_dword v47, v49, s[0:3], 0 offen offset:4
	ds_read_b64 v[50:51], v48
	s_waitcnt vmcnt(0) lgkmcnt(0)
	v_mul_f64 v[46:47], v[46:47], v[50:51]
	s_cbranch_execz .LBB21_374
	s_branch .LBB21_375
.LBB21_373:
                                        ; implicit-def: $vgpr46_vgpr47
.LBB21_374:
	ds_read_b64 v[46:47], v48
.LBB21_375:
	v_cmp_ne_u32_e32 vcc, 17, v0
	s_and_saveexec_b64 s[8:9], vcc
	s_cbranch_execz .LBB21_379
; %bb.376:
	v_mov_b32_e32 v51, 0
	v_add_u32_e32 v50, 0xb8, v1
	v_add3_u32 v51, v1, v51, 8
	s_mov_b64 s[10:11], 0
	v_mov_b32_e32 v52, v0
.LBB21_377:                             ; =>This Inner Loop Header: Depth=1
	buffer_load_dword v54, v51, s[0:3], 0 offen
	buffer_load_dword v55, v51, s[0:3], 0 offen offset:4
	ds_read_b64 v[56:57], v50
	v_add_u32_e32 v52, 1, v52
	v_cmp_lt_u32_e32 vcc, 16, v52
	v_add_u32_e32 v50, 8, v50
	v_add_u32_e32 v51, 8, v51
	s_or_b64 s[10:11], vcc, s[10:11]
	s_waitcnt vmcnt(0) lgkmcnt(0)
	v_fmac_f64_e32 v[46:47], v[54:55], v[56:57]
	s_andn2_b64 exec, exec, s[10:11]
	s_cbranch_execnz .LBB21_377
; %bb.378:
	s_or_b64 exec, exec, s[10:11]
.LBB21_379:
	s_or_b64 exec, exec, s[8:9]
	v_mov_b32_e32 v50, 0
	ds_read_b64 v[50:51], v50 offset:144
	s_waitcnt lgkmcnt(0)
	v_mul_f64 v[46:47], v[46:47], v[50:51]
	buffer_store_dword v47, off, s[0:3], 0 offset:148
	buffer_store_dword v46, off, s[0:3], 0 offset:144
.LBB21_380:
	s_or_b64 exec, exec, s[6:7]
	buffer_load_dword v46, off, s[0:3], 0 offset:152
	buffer_load_dword v47, off, s[0:3], 0 offset:156
	v_cmp_gt_u32_e32 vcc, 19, v0
	s_waitcnt vmcnt(0)
	ds_write_b64 v48, v[46:47]
	s_waitcnt lgkmcnt(0)
	; wave barrier
	s_waitcnt lgkmcnt(0)
	s_and_saveexec_b64 s[6:7], vcc
	s_cbranch_execz .LBB21_390
; %bb.381:
	s_and_b64 vcc, exec, s[4:5]
	s_cbranch_vccnz .LBB21_383
; %bb.382:
	buffer_load_dword v46, v49, s[0:3], 0 offen
	buffer_load_dword v47, v49, s[0:3], 0 offen offset:4
	ds_read_b64 v[50:51], v48
	s_waitcnt vmcnt(0) lgkmcnt(0)
	v_mul_f64 v[46:47], v[46:47], v[50:51]
	s_cbranch_execz .LBB21_384
	s_branch .LBB21_385
.LBB21_383:
                                        ; implicit-def: $vgpr46_vgpr47
.LBB21_384:
	ds_read_b64 v[46:47], v48
.LBB21_385:
	v_cmp_ne_u32_e32 vcc, 18, v0
	s_and_saveexec_b64 s[8:9], vcc
	s_cbranch_execz .LBB21_389
; %bb.386:
	v_mov_b32_e32 v51, 0
	v_add_u32_e32 v50, 0xb8, v1
	v_add3_u32 v51, v1, v51, 8
	s_mov_b64 s[10:11], 0
	v_mov_b32_e32 v52, v0
.LBB21_387:                             ; =>This Inner Loop Header: Depth=1
	buffer_load_dword v54, v51, s[0:3], 0 offen
	buffer_load_dword v55, v51, s[0:3], 0 offen offset:4
	ds_read_b64 v[56:57], v50
	v_add_u32_e32 v52, 1, v52
	v_cmp_lt_u32_e32 vcc, 17, v52
	v_add_u32_e32 v50, 8, v50
	v_add_u32_e32 v51, 8, v51
	s_or_b64 s[10:11], vcc, s[10:11]
	s_waitcnt vmcnt(0) lgkmcnt(0)
	v_fmac_f64_e32 v[46:47], v[54:55], v[56:57]
	s_andn2_b64 exec, exec, s[10:11]
	s_cbranch_execnz .LBB21_387
; %bb.388:
	s_or_b64 exec, exec, s[10:11]
.LBB21_389:
	s_or_b64 exec, exec, s[8:9]
	v_mov_b32_e32 v50, 0
	ds_read_b64 v[50:51], v50 offset:152
	s_waitcnt lgkmcnt(0)
	v_mul_f64 v[46:47], v[46:47], v[50:51]
	buffer_store_dword v47, off, s[0:3], 0 offset:156
	buffer_store_dword v46, off, s[0:3], 0 offset:152
.LBB21_390:
	s_or_b64 exec, exec, s[6:7]
	buffer_load_dword v46, off, s[0:3], 0 offset:160
	buffer_load_dword v47, off, s[0:3], 0 offset:164
	v_cmp_gt_u32_e64 s[6:7], 20, v0
	s_waitcnt vmcnt(0)
	ds_write_b64 v48, v[46:47]
	s_waitcnt lgkmcnt(0)
	; wave barrier
	s_waitcnt lgkmcnt(0)
	s_and_saveexec_b64 s[8:9], s[6:7]
	s_cbranch_execz .LBB21_400
; %bb.391:
	s_and_b64 vcc, exec, s[4:5]
	s_cbranch_vccnz .LBB21_393
; %bb.392:
	buffer_load_dword v46, v49, s[0:3], 0 offen
	buffer_load_dword v47, v49, s[0:3], 0 offen offset:4
	ds_read_b64 v[50:51], v48
	s_waitcnt vmcnt(0) lgkmcnt(0)
	v_mul_f64 v[46:47], v[46:47], v[50:51]
	s_cbranch_execz .LBB21_394
	s_branch .LBB21_395
.LBB21_393:
                                        ; implicit-def: $vgpr46_vgpr47
.LBB21_394:
	ds_read_b64 v[46:47], v48
.LBB21_395:
	v_cmp_ne_u32_e32 vcc, 19, v0
	s_and_saveexec_b64 s[10:11], vcc
	s_cbranch_execz .LBB21_399
; %bb.396:
	v_mov_b32_e32 v51, 0
	v_add_u32_e32 v50, 0xb8, v1
	v_add3_u32 v51, v1, v51, 8
	s_mov_b64 s[12:13], 0
	v_mov_b32_e32 v52, v0
.LBB21_397:                             ; =>This Inner Loop Header: Depth=1
	buffer_load_dword v54, v51, s[0:3], 0 offen
	buffer_load_dword v55, v51, s[0:3], 0 offen offset:4
	ds_read_b64 v[56:57], v50
	v_add_u32_e32 v52, 1, v52
	v_cmp_lt_u32_e32 vcc, 18, v52
	v_add_u32_e32 v50, 8, v50
	v_add_u32_e32 v51, 8, v51
	s_or_b64 s[12:13], vcc, s[12:13]
	s_waitcnt vmcnt(0) lgkmcnt(0)
	v_fmac_f64_e32 v[46:47], v[54:55], v[56:57]
	s_andn2_b64 exec, exec, s[12:13]
	s_cbranch_execnz .LBB21_397
; %bb.398:
	s_or_b64 exec, exec, s[12:13]
.LBB21_399:
	s_or_b64 exec, exec, s[10:11]
	v_mov_b32_e32 v50, 0
	ds_read_b64 v[50:51], v50 offset:160
	s_waitcnt lgkmcnt(0)
	v_mul_f64 v[46:47], v[46:47], v[50:51]
	buffer_store_dword v47, off, s[0:3], 0 offset:164
	buffer_store_dword v46, off, s[0:3], 0 offset:160
.LBB21_400:
	s_or_b64 exec, exec, s[8:9]
	buffer_load_dword v46, off, s[0:3], 0 offset:168
	buffer_load_dword v47, off, s[0:3], 0 offset:172
	v_cmp_ne_u32_e32 vcc, 21, v0
	s_waitcnt vmcnt(0)
	ds_write_b64 v48, v[46:47]
	s_waitcnt lgkmcnt(0)
	; wave barrier
	s_waitcnt lgkmcnt(0)
	s_and_saveexec_b64 s[8:9], vcc
	s_cbranch_execz .LBB21_410
; %bb.401:
	s_and_b64 vcc, exec, s[4:5]
	s_cbranch_vccnz .LBB21_403
; %bb.402:
	buffer_load_dword v46, v49, s[0:3], 0 offen
	buffer_load_dword v47, v49, s[0:3], 0 offen offset:4
	ds_read_b64 v[50:51], v48
	s_waitcnt vmcnt(0) lgkmcnt(0)
	v_mul_f64 v[46:47], v[46:47], v[50:51]
	s_cbranch_execz .LBB21_404
	s_branch .LBB21_405
.LBB21_403:
                                        ; implicit-def: $vgpr46_vgpr47
.LBB21_404:
	ds_read_b64 v[46:47], v48
.LBB21_405:
	s_and_saveexec_b64 s[4:5], s[6:7]
	s_cbranch_execz .LBB21_409
; %bb.406:
	v_mov_b32_e32 v49, 0
	v_add_u32_e32 v48, 0xb8, v1
	v_add3_u32 v1, v1, v49, 8
	s_mov_b64 s[6:7], 0
.LBB21_407:                             ; =>This Inner Loop Header: Depth=1
	buffer_load_dword v50, v1, s[0:3], 0 offen
	buffer_load_dword v51, v1, s[0:3], 0 offen offset:4
	ds_read_b64 v[52:53], v48
	v_add_u32_e32 v0, 1, v0
	v_cmp_lt_u32_e32 vcc, 19, v0
	v_add_u32_e32 v48, 8, v48
	v_add_u32_e32 v1, 8, v1
	s_or_b64 s[6:7], vcc, s[6:7]
	s_waitcnt vmcnt(0) lgkmcnt(0)
	v_fmac_f64_e32 v[46:47], v[50:51], v[52:53]
	s_andn2_b64 exec, exec, s[6:7]
	s_cbranch_execnz .LBB21_407
; %bb.408:
	s_or_b64 exec, exec, s[6:7]
.LBB21_409:
	s_or_b64 exec, exec, s[4:5]
	v_mov_b32_e32 v0, 0
	ds_read_b64 v[0:1], v0 offset:168
	s_waitcnt lgkmcnt(0)
	v_mul_f64 v[0:1], v[46:47], v[0:1]
	buffer_store_dword v1, off, s[0:3], 0 offset:172
	buffer_store_dword v0, off, s[0:3], 0 offset:168
.LBB21_410:
	s_or_b64 exec, exec, s[8:9]
.LBB21_411:
	buffer_load_dword v0, off, s[0:3], 0
	buffer_load_dword v1, off, s[0:3], 0 offset:4
	buffer_load_dword v46, off, s[0:3], 0 offset:8
	;; [unrolled: 1-line block ×15, first 2 shown]
	s_waitcnt vmcnt(14)
	global_store_dwordx2 v[2:3], v[0:1], off
	s_waitcnt vmcnt(13)
	global_store_dwordx2 v[4:5], v[46:47], off
	s_waitcnt vmcnt(12)
	global_store_dwordx2 v[6:7], v[48:49], off
	s_waitcnt vmcnt(11)
	global_store_dwordx2 v[8:9], v[50:51], off
	s_waitcnt vmcnt(10)
	global_store_dwordx2 v[10:11], v[52:53], off
	s_waitcnt vmcnt(9)
	global_store_dwordx2 v[12:13], v[54:55], off
	s_waitcnt vmcnt(8)
	global_store_dwordx2 v[16:17], v[56:57], off
	s_waitcnt vmcnt(7)
	global_store_dwordx2 v[18:19], v[58:59], off
	buffer_load_dword v1, off, s[0:3], 0 offset:68
	buffer_load_dword v0, off, s[0:3], 0 offset:64
	s_waitcnt vmcnt(0)
	global_store_dwordx2 v[44:45], v[0:1], off
	buffer_load_dword v0, off, s[0:3], 0 offset:72
	s_nop 0
	buffer_load_dword v1, off, s[0:3], 0 offset:76
	s_waitcnt vmcnt(0)
	global_store_dwordx2 v[28:29], v[0:1], off
	buffer_load_dword v0, off, s[0:3], 0 offset:80
	s_nop 0
	;; [unrolled: 5-line block ×13, first 2 shown]
	buffer_load_dword v1, off, s[0:3], 0 offset:172
	s_waitcnt vmcnt(0)
	global_store_dwordx2 v[14:15], v[0:1], off
.LBB21_412:
	s_endpgm
	.section	.rodata,"a",@progbits
	.p2align	6, 0x0
	.amdhsa_kernel _ZN9rocsolver6v33100L18trti2_kernel_smallILi22EdPdEEv13rocblas_fill_17rocblas_diagonal_T1_iil
		.amdhsa_group_segment_fixed_size 352
		.amdhsa_private_segment_fixed_size 192
		.amdhsa_kernarg_size 32
		.amdhsa_user_sgpr_count 8
		.amdhsa_user_sgpr_private_segment_buffer 1
		.amdhsa_user_sgpr_dispatch_ptr 0
		.amdhsa_user_sgpr_queue_ptr 0
		.amdhsa_user_sgpr_kernarg_segment_ptr 1
		.amdhsa_user_sgpr_dispatch_id 0
		.amdhsa_user_sgpr_flat_scratch_init 1
		.amdhsa_user_sgpr_kernarg_preload_length 0
		.amdhsa_user_sgpr_kernarg_preload_offset 0
		.amdhsa_user_sgpr_private_segment_size 0
		.amdhsa_uses_dynamic_stack 0
		.amdhsa_system_sgpr_private_segment_wavefront_offset 1
		.amdhsa_system_sgpr_workgroup_id_x 1
		.amdhsa_system_sgpr_workgroup_id_y 0
		.amdhsa_system_sgpr_workgroup_id_z 0
		.amdhsa_system_sgpr_workgroup_info 0
		.amdhsa_system_vgpr_workitem_id 0
		.amdhsa_next_free_vgpr 78
		.amdhsa_next_free_sgpr 20
		.amdhsa_accum_offset 80
		.amdhsa_reserve_vcc 1
		.amdhsa_reserve_flat_scratch 0
		.amdhsa_float_round_mode_32 0
		.amdhsa_float_round_mode_16_64 0
		.amdhsa_float_denorm_mode_32 3
		.amdhsa_float_denorm_mode_16_64 3
		.amdhsa_dx10_clamp 1
		.amdhsa_ieee_mode 1
		.amdhsa_fp16_overflow 0
		.amdhsa_tg_split 0
		.amdhsa_exception_fp_ieee_invalid_op 0
		.amdhsa_exception_fp_denorm_src 0
		.amdhsa_exception_fp_ieee_div_zero 0
		.amdhsa_exception_fp_ieee_overflow 0
		.amdhsa_exception_fp_ieee_underflow 0
		.amdhsa_exception_fp_ieee_inexact 0
		.amdhsa_exception_int_div_zero 0
	.end_amdhsa_kernel
	.section	.text._ZN9rocsolver6v33100L18trti2_kernel_smallILi22EdPdEEv13rocblas_fill_17rocblas_diagonal_T1_iil,"axG",@progbits,_ZN9rocsolver6v33100L18trti2_kernel_smallILi22EdPdEEv13rocblas_fill_17rocblas_diagonal_T1_iil,comdat
.Lfunc_end21:
	.size	_ZN9rocsolver6v33100L18trti2_kernel_smallILi22EdPdEEv13rocblas_fill_17rocblas_diagonal_T1_iil, .Lfunc_end21-_ZN9rocsolver6v33100L18trti2_kernel_smallILi22EdPdEEv13rocblas_fill_17rocblas_diagonal_T1_iil
                                        ; -- End function
	.section	.AMDGPU.csdata,"",@progbits
; Kernel info:
; codeLenInByte = 12644
; NumSgprs: 24
; NumVgprs: 78
; NumAgprs: 0
; TotalNumVgprs: 78
; ScratchSize: 192
; MemoryBound: 0
; FloatMode: 240
; IeeeMode: 1
; LDSByteSize: 352 bytes/workgroup (compile time only)
; SGPRBlocks: 2
; VGPRBlocks: 9
; NumSGPRsForWavesPerEU: 24
; NumVGPRsForWavesPerEU: 78
; AccumOffset: 80
; Occupancy: 6
; WaveLimiterHint : 0
; COMPUTE_PGM_RSRC2:SCRATCH_EN: 1
; COMPUTE_PGM_RSRC2:USER_SGPR: 8
; COMPUTE_PGM_RSRC2:TRAP_HANDLER: 0
; COMPUTE_PGM_RSRC2:TGID_X_EN: 1
; COMPUTE_PGM_RSRC2:TGID_Y_EN: 0
; COMPUTE_PGM_RSRC2:TGID_Z_EN: 0
; COMPUTE_PGM_RSRC2:TIDIG_COMP_CNT: 0
; COMPUTE_PGM_RSRC3_GFX90A:ACCUM_OFFSET: 19
; COMPUTE_PGM_RSRC3_GFX90A:TG_SPLIT: 0
	.section	.text._ZN9rocsolver6v33100L18trti2_kernel_smallILi23EdPdEEv13rocblas_fill_17rocblas_diagonal_T1_iil,"axG",@progbits,_ZN9rocsolver6v33100L18trti2_kernel_smallILi23EdPdEEv13rocblas_fill_17rocblas_diagonal_T1_iil,comdat
	.globl	_ZN9rocsolver6v33100L18trti2_kernel_smallILi23EdPdEEv13rocblas_fill_17rocblas_diagonal_T1_iil ; -- Begin function _ZN9rocsolver6v33100L18trti2_kernel_smallILi23EdPdEEv13rocblas_fill_17rocblas_diagonal_T1_iil
	.p2align	8
	.type	_ZN9rocsolver6v33100L18trti2_kernel_smallILi23EdPdEEv13rocblas_fill_17rocblas_diagonal_T1_iil,@function
_ZN9rocsolver6v33100L18trti2_kernel_smallILi23EdPdEEv13rocblas_fill_17rocblas_diagonal_T1_iil: ; @_ZN9rocsolver6v33100L18trti2_kernel_smallILi23EdPdEEv13rocblas_fill_17rocblas_diagonal_T1_iil
; %bb.0:
	s_add_u32 s0, s0, s9
	s_addc_u32 s1, s1, 0
	v_cmp_gt_u32_e32 vcc, 23, v0
	s_and_saveexec_b64 s[6:7], vcc
	s_cbranch_execz .LBB22_432
; %bb.1:
	s_load_dwordx8 s[12:19], s[4:5], 0x0
	s_ashr_i32 s6, s8, 31
	v_lshlrev_b32_e32 v1, 3, v0
	s_waitcnt lgkmcnt(0)
	s_mul_i32 s7, s8, s19
	s_mul_hi_u32 s9, s8, s18
	s_add_i32 s7, s9, s7
	s_mul_i32 s6, s6, s18
	s_add_i32 s7, s7, s6
	s_mul_i32 s6, s8, s18
	s_ashr_i32 s5, s16, 31
	s_lshl_b64 s[6:7], s[6:7], 3
	s_mov_b32 s4, s16
	s_add_u32 s6, s14, s6
	s_addc_u32 s7, s15, s7
	s_lshl_b64 s[4:5], s[4:5], 3
	s_add_u32 s4, s6, s4
	s_addc_u32 s5, s7, s5
	v_mov_b32_e32 v3, s5
	v_add_co_u32_e32 v2, vcc, s4, v1
	s_ashr_i32 s7, s17, 31
	s_mov_b32 s6, s17
	v_addc_co_u32_e32 v3, vcc, 0, v3, vcc
	s_lshl_b64 s[6:7], s[6:7], 3
	v_add_co_u32_e32 v4, vcc, s6, v2
	s_add_i32 s6, s17, s17
	v_add_u32_e32 v8, s6, v0
	v_mov_b32_e32 v5, s7
	v_ashrrev_i32_e32 v9, 31, v8
	v_addc_co_u32_e32 v5, vcc, v3, v5, vcc
	v_lshlrev_b64 v[6:7], 3, v[8:9]
	v_mov_b32_e32 v9, s5
	v_add_co_u32_e32 v6, vcc, s4, v6
	global_load_dwordx2 v[20:21], v1, s[4:5]
	v_addc_co_u32_e32 v7, vcc, v9, v7, vcc
	global_load_dwordx2 v[22:23], v[4:5], off
	global_load_dwordx2 v[24:25], v[6:7], off
	v_add_u32_e32 v10, s17, v8
	v_ashrrev_i32_e32 v11, 31, v10
	v_lshlrev_b64 v[8:9], 3, v[10:11]
	v_add_u32_e32 v12, s17, v10
	v_mov_b32_e32 v11, s5
	v_add_co_u32_e32 v8, vcc, s4, v8
	v_ashrrev_i32_e32 v13, 31, v12
	v_addc_co_u32_e32 v9, vcc, v11, v9, vcc
	v_lshlrev_b64 v[10:11], 3, v[12:13]
	v_mov_b32_e32 v13, s5
	v_add_co_u32_e32 v10, vcc, s4, v10
	v_add_u32_e32 v12, s17, v12
	v_addc_co_u32_e32 v11, vcc, v13, v11, vcc
	v_ashrrev_i32_e32 v13, 31, v12
	v_add_u32_e32 v16, s17, v12
	v_lshlrev_b64 v[12:13], 3, v[12:13]
	global_load_dwordx2 v[26:27], v[8:9], off
	global_load_dwordx2 v[30:31], v[10:11], off
	v_mov_b32_e32 v15, s5
	v_add_co_u32_e32 v14, vcc, s4, v12
	v_ashrrev_i32_e32 v17, 31, v16
	v_addc_co_u32_e32 v15, vcc, v15, v13, vcc
	v_lshlrev_b64 v[12:13], 3, v[16:17]
	v_add_u32_e32 v28, s17, v16
	v_mov_b32_e32 v17, s5
	v_add_co_u32_e32 v16, vcc, s4, v12
	v_addc_co_u32_e32 v17, vcc, v17, v13, vcc
	global_load_dwordx2 v[32:33], v[14:15], off
	global_load_dwordx2 v[34:35], v[16:17], off
	v_ashrrev_i32_e32 v29, 31, v28
	v_lshlrev_b64 v[12:13], 3, v[28:29]
	v_mov_b32_e32 v19, s5
	v_add_co_u32_e32 v18, vcc, s4, v12
	v_addc_co_u32_e32 v19, vcc, v19, v13, vcc
	global_load_dwordx2 v[36:37], v[18:19], off
	v_add_u32_e32 v28, s17, v28
	v_add_u32_e32 v40, s17, v28
	;; [unrolled: 1-line block ×15, first 2 shown]
	v_ashrrev_i32_e32 v13, 31, v12
	v_lshlrev_b64 v[12:13], 3, v[12:13]
	v_mov_b32_e32 v29, s5
	v_add_co_u32_e32 v12, vcc, s4, v12
	v_addc_co_u32_e32 v13, vcc, v29, v13, vcc
	global_load_dwordx2 v[66:67], v[12:13], off
	v_ashrrev_i32_e32 v29, 31, v28
	s_waitcnt vmcnt(8)
	buffer_store_dword v21, off, s[0:3], 0 offset:4
	buffer_store_dword v20, off, s[0:3], 0
	s_waitcnt vmcnt(9)
	buffer_store_dword v23, off, s[0:3], 0 offset:12
	buffer_store_dword v22, off, s[0:3], 0 offset:8
	s_waitcnt vmcnt(10)
	buffer_store_dword v25, off, s[0:3], 0 offset:20
	buffer_store_dword v24, off, s[0:3], 0 offset:16
	v_lshlrev_b64 v[20:21], 3, v[28:29]
	v_mov_b32_e32 v22, s5
	v_add_co_u32_e32 v38, vcc, s4, v20
	v_ashrrev_i32_e32 v41, 31, v40
	v_addc_co_u32_e32 v39, vcc, v22, v21, vcc
	v_lshlrev_b64 v[20:21], 3, v[40:41]
	v_mov_b32_e32 v23, s5
	v_add_co_u32_e32 v22, vcc, s4, v20
	v_ashrrev_i32_e32 v43, 31, v42
	v_addc_co_u32_e32 v23, vcc, v23, v21, vcc
	;; [unrolled: 5-line block ×3, first 2 shown]
	v_lshlrev_b64 v[24:25], 3, v[44:45]
	s_waitcnt vmcnt(11)
	buffer_store_dword v27, off, s[0:3], 0 offset:28
	buffer_store_dword v26, off, s[0:3], 0 offset:24
	v_mov_b32_e32 v27, s5
	v_add_co_u32_e32 v26, vcc, s4, v24
	v_ashrrev_i32_e32 v47, 31, v46
	v_addc_co_u32_e32 v27, vcc, v27, v25, vcc
	v_lshlrev_b64 v[24:25], 3, v[46:47]
	v_mov_b32_e32 v28, s5
	v_add_co_u32_e32 v24, vcc, s4, v24
	v_ashrrev_i32_e32 v49, 31, v48
	v_addc_co_u32_e32 v25, vcc, v28, v25, vcc
	v_lshlrev_b64 v[28:29], 3, v[48:49]
	global_load_dwordx2 v[68:69], v[38:39], off
	s_waitcnt vmcnt(13)
	buffer_store_dword v31, off, s[0:3], 0 offset:36
	buffer_store_dword v30, off, s[0:3], 0 offset:32
	s_waitcnt vmcnt(14)
	buffer_store_dword v33, off, s[0:3], 0 offset:44
	buffer_store_dword v32, off, s[0:3], 0 offset:40
	s_waitcnt vmcnt(15)
	buffer_store_dword v35, off, s[0:3], 0 offset:52
	buffer_store_dword v34, off, s[0:3], 0 offset:48
	s_waitcnt vmcnt(16)
	buffer_store_dword v37, off, s[0:3], 0 offset:60
	buffer_store_dword v36, off, s[0:3], 0 offset:56
	v_mov_b32_e32 v30, s5
	v_add_co_u32_e32 v34, vcc, s4, v28
	v_ashrrev_i32_e32 v51, 31, v50
	v_addc_co_u32_e32 v35, vcc, v30, v29, vcc
	v_lshlrev_b64 v[28:29], 3, v[50:51]
	v_add_co_u32_e32 v32, vcc, s4, v28
	v_ashrrev_i32_e32 v53, 31, v52
	v_addc_co_u32_e32 v33, vcc, v30, v29, vcc
	v_lshlrev_b64 v[28:29], 3, v[52:53]
	v_mov_b32_e32 v31, s5
	v_add_co_u32_e32 v30, vcc, s4, v28
	v_ashrrev_i32_e32 v55, 31, v54
	v_addc_co_u32_e32 v31, vcc, v31, v29, vcc
	v_lshlrev_b64 v[28:29], 3, v[54:55]
	v_mov_b32_e32 v36, s5
	;; [unrolled: 5-line block ×5, first 2 shown]
	v_add_co_u32_e32 v46, vcc, s4, v36
	v_ashrrev_i32_e32 v63, 31, v62
	global_load_dwordx2 v[70:71], v[22:23], off
	global_load_dwordx2 v[72:73], v[20:21], off
	;; [unrolled: 1-line block ×8, first 2 shown]
	v_addc_co_u32_e32 v47, vcc, v42, v37, vcc
	v_lshlrev_b64 v[36:37], 3, v[62:63]
	global_load_dwordx2 v[56:57], v[44:45], off
	global_load_dwordx2 v[58:59], v[40:41], off
	v_mov_b32_e32 v43, s5
	v_add_co_u32_e32 v42, vcc, s4, v36
	v_ashrrev_i32_e32 v65, 31, v64
	v_addc_co_u32_e32 v43, vcc, v43, v37, vcc
	v_lshlrev_b64 v[36:37], 3, v[64:65]
	v_mov_b32_e32 v60, s5
	v_add_co_u32_e32 v36, vcc, s4, v36
	v_addc_co_u32_e32 v37, vcc, v60, v37, vcc
	global_load_dwordx2 v[60:61], v[46:47], off
	global_load_dwordx2 v[62:63], v[42:43], off
	;; [unrolled: 1-line block ×3, first 2 shown]
	s_cmpk_lg_i32 s13, 0x84
	s_cselect_b64 s[8:9], -1, 0
	s_cmpk_eq_i32 s13, 0x84
	s_waitcnt vmcnt(21)
	buffer_store_dword v69, off, s[0:3], 0 offset:68
	buffer_store_dword v68, off, s[0:3], 0 offset:64
	s_waitcnt vmcnt(14)
	buffer_store_dword v70, off, s[0:3], 0 offset:72
	buffer_store_dword v71, off, s[0:3], 0 offset:76
	s_waitcnt vmcnt(15)
	buffer_store_dword v72, off, s[0:3], 0 offset:80
	buffer_store_dword v73, off, s[0:3], 0 offset:84
	s_waitcnt vmcnt(16)
	buffer_store_dword v74, off, s[0:3], 0 offset:88
	buffer_store_dword v75, off, s[0:3], 0 offset:92
	s_waitcnt vmcnt(17)
	buffer_store_dword v76, off, s[0:3], 0 offset:96
	buffer_store_dword v77, off, s[0:3], 0 offset:100
	s_waitcnt vmcnt(18)
	buffer_store_dword v48, off, s[0:3], 0 offset:104
	buffer_store_dword v49, off, s[0:3], 0 offset:108
	s_waitcnt vmcnt(19)
	buffer_store_dword v51, off, s[0:3], 0 offset:116
	buffer_store_dword v50, off, s[0:3], 0 offset:112
	s_waitcnt vmcnt(20)
	buffer_store_dword v52, off, s[0:3], 0 offset:120
	buffer_store_dword v53, off, s[0:3], 0 offset:124
	s_waitcnt vmcnt(21)
	buffer_store_dword v54, off, s[0:3], 0 offset:128
	buffer_store_dword v55, off, s[0:3], 0 offset:132
	s_waitcnt vmcnt(22)
	buffer_store_dword v56, off, s[0:3], 0 offset:136
	buffer_store_dword v57, off, s[0:3], 0 offset:140
	v_mov_b32_e32 v48, 0
	v_mov_b32_e32 v71, 0
	;; [unrolled: 1-line block ×3, first 2 shown]
	s_waitcnt vmcnt(23)
	buffer_store_dword v58, off, s[0:3], 0 offset:144
	buffer_store_dword v59, off, s[0:3], 0 offset:148
	s_waitcnt vmcnt(24)
	buffer_store_dword v61, off, s[0:3], 0 offset:156
	buffer_store_dword v60, off, s[0:3], 0 offset:152
	;; [unrolled: 3-line block ×4, first 2 shown]
	buffer_store_dword v66, off, s[0:3], 0 offset:176
	buffer_store_dword v67, off, s[0:3], 0 offset:180
	s_cbranch_scc1 .LBB22_3
; %bb.2:
	v_lshl_add_u32 v58, v0, 3, v71
	buffer_load_dword v48, v58, s[0:3], 0 offen
	buffer_load_dword v49, v58, s[0:3], 0 offen offset:4
	s_waitcnt vmcnt(0)
	v_div_scale_f64 v[50:51], s[4:5], v[48:49], v[48:49], 1.0
	v_rcp_f64_e32 v[52:53], v[50:51]
	v_div_scale_f64 v[54:55], vcc, 1.0, v[48:49], 1.0
	v_fma_f64 v[56:57], -v[50:51], v[52:53], 1.0
	v_fmac_f64_e32 v[52:53], v[52:53], v[56:57]
	v_fma_f64 v[56:57], -v[50:51], v[52:53], 1.0
	v_fmac_f64_e32 v[52:53], v[52:53], v[56:57]
	v_mul_f64 v[56:57], v[54:55], v[52:53]
	v_fma_f64 v[50:51], -v[50:51], v[56:57], v[54:55]
	v_div_fmas_f64 v[50:51], v[50:51], v[52:53], v[56:57]
	v_div_fixup_f64 v[48:49], v[50:51], v[48:49], 1.0
	buffer_store_dword v48, v58, s[0:3], 0 offen
	buffer_store_dword v49, v58, s[0:3], 0 offen offset:4
	v_xor_b32_e32 v49, 0x80000000, v49
.LBB22_3:
	s_cmpk_eq_i32 s12, 0x79
	v_add_u32_e32 v50, 0xc0, v1
	v_add_u32_e32 v51, 0, v1
	s_mov_b64 s[4:5], -1
	ds_write_b64 v1, v[48:49]
	s_cbranch_scc1 .LBB22_217
; %bb.4:
	buffer_load_dword v48, off, s[0:3], 0 offset:168
	buffer_load_dword v49, off, s[0:3], 0 offset:172
	v_cmp_eq_u32_e64 s[4:5], 22, v0
	s_waitcnt vmcnt(0)
	ds_write_b64 v50, v[48:49]
	s_waitcnt lgkmcnt(0)
	; wave barrier
	s_waitcnt lgkmcnt(0)
	s_and_saveexec_b64 s[6:7], s[4:5]
	s_cbranch_execz .LBB22_10
; %bb.5:
	s_and_b64 vcc, exec, s[8:9]
	s_cbranch_vccz .LBB22_7
; %bb.6:
	buffer_load_dword v48, v51, s[0:3], 0 offen
	buffer_load_dword v49, v51, s[0:3], 0 offen offset:4
	ds_read_b64 v[52:53], v50
	s_waitcnt vmcnt(0) lgkmcnt(0)
	v_mul_f64 v[48:49], v[48:49], v[52:53]
	s_cbranch_execz .LBB22_8
	s_branch .LBB22_9
.LBB22_7:
                                        ; implicit-def: $vgpr48_vgpr49
.LBB22_8:
	ds_read_b64 v[48:49], v50
.LBB22_9:
	v_mov_b32_e32 v52, 0
	ds_read_b64 v[52:53], v52 offset:168
	s_waitcnt lgkmcnt(0)
	v_mul_f64 v[48:49], v[48:49], v[52:53]
	buffer_store_dword v49, off, s[0:3], 0 offset:172
	buffer_store_dword v48, off, s[0:3], 0 offset:168
.LBB22_10:
	s_or_b64 exec, exec, s[6:7]
	buffer_load_dword v48, off, s[0:3], 0 offset:160
	buffer_load_dword v49, off, s[0:3], 0 offset:164
	v_or_b32_e32 v52, 8, v71
	v_add_u32_e32 v53, 16, v71
	v_add_u32_e32 v54, 24, v71
	;; [unrolled: 1-line block ×19, first 2 shown]
	v_cmp_lt_u32_e64 s[6:7], 20, v0
	s_waitcnt vmcnt(0)
	ds_write_b64 v50, v[48:49]
	s_waitcnt lgkmcnt(0)
	; wave barrier
	s_waitcnt lgkmcnt(0)
	s_and_saveexec_b64 s[10:11], s[6:7]
	s_cbranch_execz .LBB22_16
; %bb.11:
	s_andn2_b64 vcc, exec, s[8:9]
	s_cbranch_vccnz .LBB22_13
; %bb.12:
	buffer_load_dword v48, v51, s[0:3], 0 offen
	buffer_load_dword v49, v51, s[0:3], 0 offen offset:4
	ds_read_b64 v[72:73], v50
	s_waitcnt vmcnt(0) lgkmcnt(0)
	v_mul_f64 v[48:49], v[48:49], v[72:73]
	s_cbranch_execz .LBB22_14
	s_branch .LBB22_15
.LBB22_13:
                                        ; implicit-def: $vgpr48_vgpr49
.LBB22_14:
	ds_read_b64 v[48:49], v50
.LBB22_15:
	buffer_load_dword v76, off, s[0:3], 0 offset:168
	buffer_load_dword v77, off, s[0:3], 0 offset:172
	v_mov_b32_e32 v72, 0
	ds_read2_b64 v[72:75], v72 offset0:20 offset1:45
	s_waitcnt vmcnt(0) lgkmcnt(0)
	v_fma_f64 v[74:75], v[76:77], v[74:75], v[48:49]
	v_cndmask_b32_e64 v49, v49, v75, s[4:5]
	v_cndmask_b32_e64 v48, v48, v74, s[4:5]
	v_mul_f64 v[48:49], v[48:49], v[72:73]
	buffer_store_dword v49, off, s[0:3], 0 offset:164
	buffer_store_dword v48, off, s[0:3], 0 offset:160
.LBB22_16:
	s_or_b64 exec, exec, s[10:11]
	buffer_load_dword v48, off, s[0:3], 0 offset:152
	buffer_load_dword v49, off, s[0:3], 0 offset:156
	v_cmp_lt_u32_e64 s[4:5], 19, v0
	s_waitcnt vmcnt(0)
	ds_write_b64 v50, v[48:49]
	s_waitcnt lgkmcnt(0)
	; wave barrier
	s_waitcnt lgkmcnt(0)
	s_and_saveexec_b64 s[10:11], s[4:5]
	s_cbranch_execz .LBB22_26
; %bb.17:
	s_andn2_b64 vcc, exec, s[8:9]
	s_cbranch_vccnz .LBB22_19
; %bb.18:
	buffer_load_dword v48, v51, s[0:3], 0 offen
	buffer_load_dword v49, v51, s[0:3], 0 offen offset:4
	ds_read_b64 v[72:73], v50
	s_waitcnt vmcnt(0) lgkmcnt(0)
	v_mul_f64 v[48:49], v[48:49], v[72:73]
	s_cbranch_execz .LBB22_20
	s_branch .LBB22_21
.LBB22_19:
                                        ; implicit-def: $vgpr48_vgpr49
.LBB22_20:
	ds_read_b64 v[48:49], v50
.LBB22_21:
	s_and_saveexec_b64 s[12:13], s[6:7]
	s_cbranch_execz .LBB22_25
; %bb.22:
	v_subrev_u32_e32 v72, 20, v0
	s_movk_i32 s14, 0x160
	s_mov_b64 s[6:7], 0
.LBB22_23:                              ; =>This Inner Loop Header: Depth=1
	buffer_load_dword v74, v71, s[0:3], 0 offen
	buffer_load_dword v75, v71, s[0:3], 0 offen offset:4
	v_mov_b32_e32 v73, s14
	ds_read_b64 v[76:77], v73
	v_add_u32_e32 v72, -1, v72
	s_add_i32 s14, s14, 8
	v_cmp_eq_u32_e32 vcc, 0, v72
	v_add_u32_e32 v71, 8, v71
	s_or_b64 s[6:7], vcc, s[6:7]
	s_waitcnt vmcnt(0) lgkmcnt(0)
	v_fmac_f64_e32 v[48:49], v[74:75], v[76:77]
	s_andn2_b64 exec, exec, s[6:7]
	s_cbranch_execnz .LBB22_23
; %bb.24:
	s_or_b64 exec, exec, s[6:7]
.LBB22_25:
	s_or_b64 exec, exec, s[12:13]
	v_mov_b32_e32 v71, 0
	ds_read_b64 v[72:73], v71 offset:152
	s_waitcnt lgkmcnt(0)
	v_mul_f64 v[48:49], v[48:49], v[72:73]
	buffer_store_dword v49, off, s[0:3], 0 offset:156
	buffer_store_dword v48, off, s[0:3], 0 offset:152
.LBB22_26:
	s_or_b64 exec, exec, s[10:11]
	buffer_load_dword v48, off, s[0:3], 0 offset:144
	buffer_load_dword v49, off, s[0:3], 0 offset:148
	v_cmp_lt_u32_e64 s[6:7], 18, v0
	s_waitcnt vmcnt(0)
	ds_write_b64 v50, v[48:49]
	s_waitcnt lgkmcnt(0)
	; wave barrier
	s_waitcnt lgkmcnt(0)
	s_and_saveexec_b64 s[10:11], s[6:7]
	s_cbranch_execz .LBB22_36
; %bb.27:
	s_andn2_b64 vcc, exec, s[8:9]
	s_cbranch_vccnz .LBB22_29
; %bb.28:
	buffer_load_dword v48, v51, s[0:3], 0 offen
	buffer_load_dword v49, v51, s[0:3], 0 offen offset:4
	ds_read_b64 v[72:73], v50
	s_waitcnt vmcnt(0) lgkmcnt(0)
	v_mul_f64 v[48:49], v[48:49], v[72:73]
	s_cbranch_execz .LBB22_30
	s_branch .LBB22_31
.LBB22_29:
                                        ; implicit-def: $vgpr48_vgpr49
.LBB22_30:
	ds_read_b64 v[48:49], v50
.LBB22_31:
	s_and_saveexec_b64 s[12:13], s[4:5]
	s_cbranch_execz .LBB22_35
; %bb.32:
	v_subrev_u32_e32 v71, 19, v0
	s_movk_i32 s14, 0x158
	s_mov_b64 s[4:5], 0
.LBB22_33:                              ; =>This Inner Loop Header: Depth=1
	buffer_load_dword v72, v70, s[0:3], 0 offen
	buffer_load_dword v73, v70, s[0:3], 0 offen offset:4
	v_mov_b32_e32 v74, s14
	ds_read_b64 v[74:75], v74
	v_add_u32_e32 v71, -1, v71
	s_add_i32 s14, s14, 8
	v_cmp_eq_u32_e32 vcc, 0, v71
	v_add_u32_e32 v70, 8, v70
	s_or_b64 s[4:5], vcc, s[4:5]
	s_waitcnt vmcnt(0) lgkmcnt(0)
	v_fmac_f64_e32 v[48:49], v[72:73], v[74:75]
	s_andn2_b64 exec, exec, s[4:5]
	s_cbranch_execnz .LBB22_33
; %bb.34:
	s_or_b64 exec, exec, s[4:5]
.LBB22_35:
	s_or_b64 exec, exec, s[12:13]
	v_mov_b32_e32 v70, 0
	ds_read_b64 v[70:71], v70 offset:144
	s_waitcnt lgkmcnt(0)
	v_mul_f64 v[48:49], v[48:49], v[70:71]
	buffer_store_dword v49, off, s[0:3], 0 offset:148
	buffer_store_dword v48, off, s[0:3], 0 offset:144
.LBB22_36:
	;; [unrolled: 58-line block ×4, first 2 shown]
	s_or_b64 exec, exec, s[10:11]
	buffer_load_dword v48, off, s[0:3], 0 offset:120
	buffer_load_dword v49, off, s[0:3], 0 offset:124
	v_cmp_lt_u32_e64 s[4:5], 15, v0
	s_waitcnt vmcnt(0)
	ds_write_b64 v50, v[48:49]
	s_waitcnt lgkmcnt(0)
	; wave barrier
	s_waitcnt lgkmcnt(0)
	s_and_saveexec_b64 s[10:11], s[4:5]
	s_cbranch_execz .LBB22_66
; %bb.57:
	s_andn2_b64 vcc, exec, s[8:9]
	s_cbranch_vccnz .LBB22_59
; %bb.58:
	buffer_load_dword v48, v51, s[0:3], 0 offen
	buffer_load_dword v49, v51, s[0:3], 0 offen offset:4
	ds_read_b64 v[68:69], v50
	s_waitcnt vmcnt(0) lgkmcnt(0)
	v_mul_f64 v[48:49], v[48:49], v[68:69]
	s_cbranch_execz .LBB22_60
	s_branch .LBB22_61
.LBB22_59:
                                        ; implicit-def: $vgpr48_vgpr49
.LBB22_60:
	ds_read_b64 v[48:49], v50
.LBB22_61:
	s_and_saveexec_b64 s[12:13], s[6:7]
	s_cbranch_execz .LBB22_65
; %bb.62:
	v_add_u32_e32 v68, -16, v0
	s_movk_i32 s14, 0x140
	s_mov_b64 s[6:7], 0
.LBB22_63:                              ; =>This Inner Loop Header: Depth=1
	buffer_load_dword v70, v67, s[0:3], 0 offen
	buffer_load_dword v71, v67, s[0:3], 0 offen offset:4
	v_mov_b32_e32 v69, s14
	ds_read_b64 v[72:73], v69
	v_add_u32_e32 v68, -1, v68
	s_add_i32 s14, s14, 8
	v_cmp_eq_u32_e32 vcc, 0, v68
	v_add_u32_e32 v67, 8, v67
	s_or_b64 s[6:7], vcc, s[6:7]
	s_waitcnt vmcnt(0) lgkmcnt(0)
	v_fmac_f64_e32 v[48:49], v[70:71], v[72:73]
	s_andn2_b64 exec, exec, s[6:7]
	s_cbranch_execnz .LBB22_63
; %bb.64:
	s_or_b64 exec, exec, s[6:7]
.LBB22_65:
	s_or_b64 exec, exec, s[12:13]
	v_mov_b32_e32 v67, 0
	ds_read_b64 v[68:69], v67 offset:120
	s_waitcnt lgkmcnt(0)
	v_mul_f64 v[48:49], v[48:49], v[68:69]
	buffer_store_dword v49, off, s[0:3], 0 offset:124
	buffer_store_dword v48, off, s[0:3], 0 offset:120
.LBB22_66:
	s_or_b64 exec, exec, s[10:11]
	buffer_load_dword v48, off, s[0:3], 0 offset:112
	buffer_load_dword v49, off, s[0:3], 0 offset:116
	v_cmp_lt_u32_e64 s[6:7], 14, v0
	s_waitcnt vmcnt(0)
	ds_write_b64 v50, v[48:49]
	s_waitcnt lgkmcnt(0)
	; wave barrier
	s_waitcnt lgkmcnt(0)
	s_and_saveexec_b64 s[10:11], s[6:7]
	s_cbranch_execz .LBB22_76
; %bb.67:
	s_andn2_b64 vcc, exec, s[8:9]
	s_cbranch_vccnz .LBB22_69
; %bb.68:
	buffer_load_dword v48, v51, s[0:3], 0 offen
	buffer_load_dword v49, v51, s[0:3], 0 offen offset:4
	ds_read_b64 v[68:69], v50
	s_waitcnt vmcnt(0) lgkmcnt(0)
	v_mul_f64 v[48:49], v[48:49], v[68:69]
	s_cbranch_execz .LBB22_70
	s_branch .LBB22_71
.LBB22_69:
                                        ; implicit-def: $vgpr48_vgpr49
.LBB22_70:
	ds_read_b64 v[48:49], v50
.LBB22_71:
	s_and_saveexec_b64 s[12:13], s[4:5]
	s_cbranch_execz .LBB22_75
; %bb.72:
	v_add_u32_e32 v67, -15, v0
	s_movk_i32 s14, 0x138
	s_mov_b64 s[4:5], 0
.LBB22_73:                              ; =>This Inner Loop Header: Depth=1
	buffer_load_dword v68, v66, s[0:3], 0 offen
	buffer_load_dword v69, v66, s[0:3], 0 offen offset:4
	v_mov_b32_e32 v70, s14
	ds_read_b64 v[70:71], v70
	v_add_u32_e32 v67, -1, v67
	s_add_i32 s14, s14, 8
	v_cmp_eq_u32_e32 vcc, 0, v67
	v_add_u32_e32 v66, 8, v66
	s_or_b64 s[4:5], vcc, s[4:5]
	s_waitcnt vmcnt(0) lgkmcnt(0)
	v_fmac_f64_e32 v[48:49], v[68:69], v[70:71]
	s_andn2_b64 exec, exec, s[4:5]
	s_cbranch_execnz .LBB22_73
; %bb.74:
	s_or_b64 exec, exec, s[4:5]
.LBB22_75:
	s_or_b64 exec, exec, s[12:13]
	v_mov_b32_e32 v66, 0
	ds_read_b64 v[66:67], v66 offset:112
	s_waitcnt lgkmcnt(0)
	v_mul_f64 v[48:49], v[48:49], v[66:67]
	buffer_store_dword v49, off, s[0:3], 0 offset:116
	buffer_store_dword v48, off, s[0:3], 0 offset:112
.LBB22_76:
	;; [unrolled: 58-line block ×4, first 2 shown]
	s_or_b64 exec, exec, s[10:11]
	buffer_load_dword v48, off, s[0:3], 0 offset:88
	buffer_load_dword v49, off, s[0:3], 0 offset:92
	v_cmp_lt_u32_e64 s[4:5], 11, v0
	s_waitcnt vmcnt(0)
	ds_write_b64 v50, v[48:49]
	s_waitcnt lgkmcnt(0)
	; wave barrier
	s_waitcnt lgkmcnt(0)
	s_and_saveexec_b64 s[10:11], s[4:5]
	s_cbranch_execz .LBB22_106
; %bb.97:
	s_andn2_b64 vcc, exec, s[8:9]
	s_cbranch_vccnz .LBB22_99
; %bb.98:
	buffer_load_dword v48, v51, s[0:3], 0 offen
	buffer_load_dword v49, v51, s[0:3], 0 offen offset:4
	ds_read_b64 v[64:65], v50
	s_waitcnt vmcnt(0) lgkmcnt(0)
	v_mul_f64 v[48:49], v[48:49], v[64:65]
	s_cbranch_execz .LBB22_100
	s_branch .LBB22_101
.LBB22_99:
                                        ; implicit-def: $vgpr48_vgpr49
.LBB22_100:
	ds_read_b64 v[48:49], v50
.LBB22_101:
	s_and_saveexec_b64 s[12:13], s[6:7]
	s_cbranch_execz .LBB22_105
; %bb.102:
	v_add_u32_e32 v64, -12, v0
	s_movk_i32 s14, 0x120
	s_mov_b64 s[6:7], 0
.LBB22_103:                             ; =>This Inner Loop Header: Depth=1
	buffer_load_dword v66, v63, s[0:3], 0 offen
	buffer_load_dword v67, v63, s[0:3], 0 offen offset:4
	v_mov_b32_e32 v65, s14
	ds_read_b64 v[68:69], v65
	v_add_u32_e32 v64, -1, v64
	s_add_i32 s14, s14, 8
	v_cmp_eq_u32_e32 vcc, 0, v64
	v_add_u32_e32 v63, 8, v63
	s_or_b64 s[6:7], vcc, s[6:7]
	s_waitcnt vmcnt(0) lgkmcnt(0)
	v_fmac_f64_e32 v[48:49], v[66:67], v[68:69]
	s_andn2_b64 exec, exec, s[6:7]
	s_cbranch_execnz .LBB22_103
; %bb.104:
	s_or_b64 exec, exec, s[6:7]
.LBB22_105:
	s_or_b64 exec, exec, s[12:13]
	v_mov_b32_e32 v63, 0
	ds_read_b64 v[64:65], v63 offset:88
	s_waitcnt lgkmcnt(0)
	v_mul_f64 v[48:49], v[48:49], v[64:65]
	buffer_store_dword v49, off, s[0:3], 0 offset:92
	buffer_store_dword v48, off, s[0:3], 0 offset:88
.LBB22_106:
	s_or_b64 exec, exec, s[10:11]
	buffer_load_dword v48, off, s[0:3], 0 offset:80
	buffer_load_dword v49, off, s[0:3], 0 offset:84
	v_cmp_lt_u32_e64 s[6:7], 10, v0
	s_waitcnt vmcnt(0)
	ds_write_b64 v50, v[48:49]
	s_waitcnt lgkmcnt(0)
	; wave barrier
	s_waitcnt lgkmcnt(0)
	s_and_saveexec_b64 s[10:11], s[6:7]
	s_cbranch_execz .LBB22_116
; %bb.107:
	s_andn2_b64 vcc, exec, s[8:9]
	s_cbranch_vccnz .LBB22_109
; %bb.108:
	buffer_load_dword v48, v51, s[0:3], 0 offen
	buffer_load_dword v49, v51, s[0:3], 0 offen offset:4
	ds_read_b64 v[64:65], v50
	s_waitcnt vmcnt(0) lgkmcnt(0)
	v_mul_f64 v[48:49], v[48:49], v[64:65]
	s_cbranch_execz .LBB22_110
	s_branch .LBB22_111
.LBB22_109:
                                        ; implicit-def: $vgpr48_vgpr49
.LBB22_110:
	ds_read_b64 v[48:49], v50
.LBB22_111:
	s_and_saveexec_b64 s[12:13], s[4:5]
	s_cbranch_execz .LBB22_115
; %bb.112:
	v_add_u32_e32 v63, -11, v0
	s_movk_i32 s14, 0x118
	s_mov_b64 s[4:5], 0
.LBB22_113:                             ; =>This Inner Loop Header: Depth=1
	buffer_load_dword v64, v62, s[0:3], 0 offen
	buffer_load_dword v65, v62, s[0:3], 0 offen offset:4
	v_mov_b32_e32 v66, s14
	ds_read_b64 v[66:67], v66
	v_add_u32_e32 v63, -1, v63
	s_add_i32 s14, s14, 8
	v_cmp_eq_u32_e32 vcc, 0, v63
	v_add_u32_e32 v62, 8, v62
	s_or_b64 s[4:5], vcc, s[4:5]
	s_waitcnt vmcnt(0) lgkmcnt(0)
	v_fmac_f64_e32 v[48:49], v[64:65], v[66:67]
	s_andn2_b64 exec, exec, s[4:5]
	s_cbranch_execnz .LBB22_113
; %bb.114:
	s_or_b64 exec, exec, s[4:5]
.LBB22_115:
	s_or_b64 exec, exec, s[12:13]
	v_mov_b32_e32 v62, 0
	ds_read_b64 v[62:63], v62 offset:80
	s_waitcnt lgkmcnt(0)
	v_mul_f64 v[48:49], v[48:49], v[62:63]
	buffer_store_dword v49, off, s[0:3], 0 offset:84
	buffer_store_dword v48, off, s[0:3], 0 offset:80
.LBB22_116:
	;; [unrolled: 58-line block ×11, first 2 shown]
	s_or_b64 exec, exec, s[10:11]
	buffer_load_dword v48, off, s[0:3], 0
	buffer_load_dword v49, off, s[0:3], 0 offset:4
	v_cmp_ne_u32_e32 vcc, 0, v0
	s_waitcnt vmcnt(0)
	ds_write_b64 v50, v[48:49]
	s_waitcnt lgkmcnt(0)
	; wave barrier
	s_waitcnt lgkmcnt(0)
	s_and_saveexec_b64 s[6:7], vcc
	s_cbranch_execz .LBB22_216
; %bb.207:
	s_andn2_b64 vcc, exec, s[8:9]
	s_cbranch_vccnz .LBB22_209
; %bb.208:
	buffer_load_dword v48, v51, s[0:3], 0 offen
	buffer_load_dword v49, v51, s[0:3], 0 offen offset:4
	ds_read_b64 v[54:55], v50
	s_waitcnt vmcnt(0) lgkmcnt(0)
	v_mul_f64 v[48:49], v[48:49], v[54:55]
	s_cbranch_execz .LBB22_210
	s_branch .LBB22_211
.LBB22_209:
                                        ; implicit-def: $vgpr48_vgpr49
.LBB22_210:
	ds_read_b64 v[48:49], v50
.LBB22_211:
	s_and_saveexec_b64 s[10:11], s[4:5]
	s_cbranch_execz .LBB22_215
; %bb.212:
	v_add_u32_e32 v53, -1, v0
	s_movk_i32 s12, 0xc8
	s_mov_b64 s[4:5], 0
.LBB22_213:                             ; =>This Inner Loop Header: Depth=1
	buffer_load_dword v54, v52, s[0:3], 0 offen
	buffer_load_dword v55, v52, s[0:3], 0 offen offset:4
	v_mov_b32_e32 v56, s12
	ds_read_b64 v[56:57], v56
	v_add_u32_e32 v53, -1, v53
	s_add_i32 s12, s12, 8
	v_cmp_eq_u32_e32 vcc, 0, v53
	v_add_u32_e32 v52, 8, v52
	s_or_b64 s[4:5], vcc, s[4:5]
	s_waitcnt vmcnt(0) lgkmcnt(0)
	v_fmac_f64_e32 v[48:49], v[54:55], v[56:57]
	s_andn2_b64 exec, exec, s[4:5]
	s_cbranch_execnz .LBB22_213
; %bb.214:
	s_or_b64 exec, exec, s[4:5]
.LBB22_215:
	s_or_b64 exec, exec, s[10:11]
	v_mov_b32_e32 v52, 0
	ds_read_b64 v[52:53], v52
	s_waitcnt lgkmcnt(0)
	v_mul_f64 v[48:49], v[48:49], v[52:53]
	buffer_store_dword v49, off, s[0:3], 0 offset:4
	buffer_store_dword v48, off, s[0:3], 0
.LBB22_216:
	s_or_b64 exec, exec, s[6:7]
	s_mov_b64 s[4:5], 0
.LBB22_217:
	s_and_b64 vcc, exec, s[4:5]
	s_cbranch_vccz .LBB22_431
; %bb.218:
	buffer_load_dword v48, off, s[0:3], 0 offset:8
	buffer_load_dword v49, off, s[0:3], 0 offset:12
	v_cmp_eq_u32_e64 s[6:7], 0, v0
	s_waitcnt vmcnt(0)
	ds_write_b64 v50, v[48:49]
	s_waitcnt lgkmcnt(0)
	; wave barrier
	s_waitcnt lgkmcnt(0)
	s_and_saveexec_b64 s[4:5], s[6:7]
	s_cbranch_execz .LBB22_224
; %bb.219:
	s_and_b64 vcc, exec, s[8:9]
	s_cbranch_vccz .LBB22_221
; %bb.220:
	buffer_load_dword v48, v51, s[0:3], 0 offen
	buffer_load_dword v49, v51, s[0:3], 0 offen offset:4
	ds_read_b64 v[52:53], v50
	s_waitcnt vmcnt(0) lgkmcnt(0)
	v_mul_f64 v[48:49], v[48:49], v[52:53]
	s_cbranch_execz .LBB22_222
	s_branch .LBB22_223
.LBB22_221:
                                        ; implicit-def: $vgpr48_vgpr49
.LBB22_222:
	ds_read_b64 v[48:49], v50
.LBB22_223:
	v_mov_b32_e32 v52, 0
	ds_read_b64 v[52:53], v52 offset:8
	s_waitcnt lgkmcnt(0)
	v_mul_f64 v[48:49], v[48:49], v[52:53]
	buffer_store_dword v49, off, s[0:3], 0 offset:12
	buffer_store_dword v48, off, s[0:3], 0 offset:8
.LBB22_224:
	s_or_b64 exec, exec, s[4:5]
	buffer_load_dword v48, off, s[0:3], 0 offset:16
	buffer_load_dword v49, off, s[0:3], 0 offset:20
	v_cndmask_b32_e64 v52, 0, 1, s[8:9]
	v_cmp_gt_u32_e32 vcc, 2, v0
	v_cmp_ne_u32_e64 s[4:5], 1, v52
	s_waitcnt vmcnt(0)
	ds_write_b64 v50, v[48:49]
	s_waitcnt lgkmcnt(0)
	; wave barrier
	s_waitcnt lgkmcnt(0)
	s_and_saveexec_b64 s[8:9], vcc
	s_cbranch_execz .LBB22_232
; %bb.225:
	s_and_b64 vcc, exec, s[4:5]
	s_cbranch_vccnz .LBB22_227
; %bb.226:
	buffer_load_dword v48, v51, s[0:3], 0 offen
	buffer_load_dword v49, v51, s[0:3], 0 offen offset:4
	ds_read_b64 v[52:53], v50
	s_waitcnt vmcnt(0) lgkmcnt(0)
	v_mul_f64 v[48:49], v[48:49], v[52:53]
	s_cbranch_execz .LBB22_228
	s_branch .LBB22_229
.LBB22_227:
                                        ; implicit-def: $vgpr48_vgpr49
.LBB22_228:
	ds_read_b64 v[48:49], v50
.LBB22_229:
	s_and_saveexec_b64 s[10:11], s[6:7]
	s_cbranch_execz .LBB22_231
; %bb.230:
	buffer_load_dword v52, v51, s[0:3], 0 offen offset:8
	buffer_load_dword v53, v51, s[0:3], 0 offen offset:12
	ds_read_b64 v[54:55], v50 offset:8
	s_waitcnt vmcnt(0) lgkmcnt(0)
	v_fmac_f64_e32 v[48:49], v[52:53], v[54:55]
.LBB22_231:
	s_or_b64 exec, exec, s[10:11]
	v_mov_b32_e32 v52, 0
	ds_read_b64 v[52:53], v52 offset:16
	s_waitcnt lgkmcnt(0)
	v_mul_f64 v[48:49], v[48:49], v[52:53]
	buffer_store_dword v49, off, s[0:3], 0 offset:20
	buffer_store_dword v48, off, s[0:3], 0 offset:16
.LBB22_232:
	s_or_b64 exec, exec, s[8:9]
	buffer_load_dword v48, off, s[0:3], 0 offset:24
	buffer_load_dword v49, off, s[0:3], 0 offset:28
	v_cmp_gt_u32_e32 vcc, 3, v0
	s_waitcnt vmcnt(0)
	ds_write_b64 v50, v[48:49]
	s_waitcnt lgkmcnt(0)
	; wave barrier
	s_waitcnt lgkmcnt(0)
	s_and_saveexec_b64 s[8:9], vcc
	s_cbranch_execz .LBB22_240
; %bb.233:
	s_and_b64 vcc, exec, s[4:5]
	s_cbranch_vccnz .LBB22_235
; %bb.234:
	buffer_load_dword v48, v51, s[0:3], 0 offen
	buffer_load_dword v49, v51, s[0:3], 0 offen offset:4
	ds_read_b64 v[52:53], v50
	s_waitcnt vmcnt(0) lgkmcnt(0)
	v_mul_f64 v[48:49], v[48:49], v[52:53]
	s_cbranch_execz .LBB22_236
	s_branch .LBB22_237
.LBB22_235:
                                        ; implicit-def: $vgpr48_vgpr49
.LBB22_236:
	ds_read_b64 v[48:49], v50
.LBB22_237:
	v_cmp_ne_u32_e32 vcc, 2, v0
	s_and_saveexec_b64 s[10:11], vcc
	s_cbranch_execz .LBB22_239
; %bb.238:
	buffer_load_dword v53, v51, s[0:3], 0 offen offset:12
	buffer_load_dword v54, off, s[0:3], 0 offset:16
	buffer_load_dword v52, v51, s[0:3], 0 offen offset:8
	buffer_load_dword v55, off, s[0:3], 0 offset:20
	v_mov_b32_e32 v58, 0
	ds_read_b64 v[56:57], v50 offset:8
	ds_read_b64 v[58:59], v58 offset:208
	s_waitcnt vmcnt(1) lgkmcnt(1)
	v_fmac_f64_e32 v[48:49], v[52:53], v[56:57]
	s_waitcnt vmcnt(0) lgkmcnt(0)
	v_fma_f64 v[52:53], v[54:55], v[58:59], v[48:49]
	v_cndmask_b32_e64 v49, v49, v53, s[6:7]
	v_cndmask_b32_e64 v48, v48, v52, s[6:7]
.LBB22_239:
	s_or_b64 exec, exec, s[10:11]
	v_mov_b32_e32 v52, 0
	ds_read_b64 v[52:53], v52 offset:24
	s_waitcnt lgkmcnt(0)
	v_mul_f64 v[48:49], v[48:49], v[52:53]
	buffer_store_dword v49, off, s[0:3], 0 offset:28
	buffer_store_dword v48, off, s[0:3], 0 offset:24
.LBB22_240:
	s_or_b64 exec, exec, s[8:9]
	buffer_load_dword v48, off, s[0:3], 0 offset:32
	buffer_load_dword v49, off, s[0:3], 0 offset:36
	v_cmp_gt_u32_e32 vcc, 4, v0
	s_waitcnt vmcnt(0)
	ds_write_b64 v50, v[48:49]
	s_waitcnt lgkmcnt(0)
	; wave barrier
	s_waitcnt lgkmcnt(0)
	s_and_saveexec_b64 s[6:7], vcc
	s_cbranch_execz .LBB22_250
; %bb.241:
	s_and_b64 vcc, exec, s[4:5]
	s_cbranch_vccnz .LBB22_243
; %bb.242:
	buffer_load_dword v48, v51, s[0:3], 0 offen
	buffer_load_dword v49, v51, s[0:3], 0 offen offset:4
	ds_read_b64 v[52:53], v50
	s_waitcnt vmcnt(0) lgkmcnt(0)
	v_mul_f64 v[48:49], v[48:49], v[52:53]
	s_cbranch_execz .LBB22_244
	s_branch .LBB22_245
.LBB22_243:
                                        ; implicit-def: $vgpr48_vgpr49
.LBB22_244:
	ds_read_b64 v[48:49], v50
.LBB22_245:
	v_cmp_ne_u32_e32 vcc, 3, v0
	s_and_saveexec_b64 s[8:9], vcc
	s_cbranch_execz .LBB22_249
; %bb.246:
	v_mov_b32_e32 v53, 0
	v_add_u32_e32 v52, 0xc8, v1
	v_add3_u32 v53, v1, v53, 8
	s_mov_b64 s[10:11], 0
	v_mov_b32_e32 v54, v0
.LBB22_247:                             ; =>This Inner Loop Header: Depth=1
	buffer_load_dword v56, v53, s[0:3], 0 offen
	buffer_load_dword v57, v53, s[0:3], 0 offen offset:4
	ds_read_b64 v[58:59], v52
	v_add_u32_e32 v54, 1, v54
	v_cmp_lt_u32_e32 vcc, 2, v54
	v_add_u32_e32 v52, 8, v52
	v_add_u32_e32 v53, 8, v53
	s_or_b64 s[10:11], vcc, s[10:11]
	s_waitcnt vmcnt(0) lgkmcnt(0)
	v_fmac_f64_e32 v[48:49], v[56:57], v[58:59]
	s_andn2_b64 exec, exec, s[10:11]
	s_cbranch_execnz .LBB22_247
; %bb.248:
	s_or_b64 exec, exec, s[10:11]
.LBB22_249:
	s_or_b64 exec, exec, s[8:9]
	v_mov_b32_e32 v52, 0
	ds_read_b64 v[52:53], v52 offset:32
	s_waitcnt lgkmcnt(0)
	v_mul_f64 v[48:49], v[48:49], v[52:53]
	buffer_store_dword v49, off, s[0:3], 0 offset:36
	buffer_store_dword v48, off, s[0:3], 0 offset:32
.LBB22_250:
	s_or_b64 exec, exec, s[6:7]
	buffer_load_dword v48, off, s[0:3], 0 offset:40
	buffer_load_dword v49, off, s[0:3], 0 offset:44
	v_cmp_gt_u32_e32 vcc, 5, v0
	s_waitcnt vmcnt(0)
	ds_write_b64 v50, v[48:49]
	s_waitcnt lgkmcnt(0)
	; wave barrier
	s_waitcnt lgkmcnt(0)
	s_and_saveexec_b64 s[6:7], vcc
	s_cbranch_execz .LBB22_260
; %bb.251:
	s_and_b64 vcc, exec, s[4:5]
	s_cbranch_vccnz .LBB22_253
; %bb.252:
	buffer_load_dword v48, v51, s[0:3], 0 offen
	buffer_load_dword v49, v51, s[0:3], 0 offen offset:4
	ds_read_b64 v[52:53], v50
	s_waitcnt vmcnt(0) lgkmcnt(0)
	v_mul_f64 v[48:49], v[48:49], v[52:53]
	s_cbranch_execz .LBB22_254
	s_branch .LBB22_255
.LBB22_253:
                                        ; implicit-def: $vgpr48_vgpr49
.LBB22_254:
	ds_read_b64 v[48:49], v50
.LBB22_255:
	v_cmp_ne_u32_e32 vcc, 4, v0
	s_and_saveexec_b64 s[8:9], vcc
	s_cbranch_execz .LBB22_259
; %bb.256:
	v_mov_b32_e32 v53, 0
	v_add_u32_e32 v52, 0xc8, v1
	v_add3_u32 v53, v1, v53, 8
	s_mov_b64 s[10:11], 0
	v_mov_b32_e32 v54, v0
.LBB22_257:                             ; =>This Inner Loop Header: Depth=1
	buffer_load_dword v56, v53, s[0:3], 0 offen
	buffer_load_dword v57, v53, s[0:3], 0 offen offset:4
	ds_read_b64 v[58:59], v52
	v_add_u32_e32 v54, 1, v54
	v_cmp_lt_u32_e32 vcc, 3, v54
	v_add_u32_e32 v52, 8, v52
	v_add_u32_e32 v53, 8, v53
	s_or_b64 s[10:11], vcc, s[10:11]
	s_waitcnt vmcnt(0) lgkmcnt(0)
	v_fmac_f64_e32 v[48:49], v[56:57], v[58:59]
	s_andn2_b64 exec, exec, s[10:11]
	s_cbranch_execnz .LBB22_257
; %bb.258:
	s_or_b64 exec, exec, s[10:11]
.LBB22_259:
	s_or_b64 exec, exec, s[8:9]
	v_mov_b32_e32 v52, 0
	ds_read_b64 v[52:53], v52 offset:40
	s_waitcnt lgkmcnt(0)
	v_mul_f64 v[48:49], v[48:49], v[52:53]
	buffer_store_dword v49, off, s[0:3], 0 offset:44
	buffer_store_dword v48, off, s[0:3], 0 offset:40
.LBB22_260:
	s_or_b64 exec, exec, s[6:7]
	buffer_load_dword v48, off, s[0:3], 0 offset:48
	buffer_load_dword v49, off, s[0:3], 0 offset:52
	v_cmp_gt_u32_e32 vcc, 6, v0
	s_waitcnt vmcnt(0)
	ds_write_b64 v50, v[48:49]
	s_waitcnt lgkmcnt(0)
	; wave barrier
	s_waitcnt lgkmcnt(0)
	s_and_saveexec_b64 s[6:7], vcc
	s_cbranch_execz .LBB22_270
; %bb.261:
	s_and_b64 vcc, exec, s[4:5]
	s_cbranch_vccnz .LBB22_263
; %bb.262:
	buffer_load_dword v48, v51, s[0:3], 0 offen
	buffer_load_dword v49, v51, s[0:3], 0 offen offset:4
	ds_read_b64 v[52:53], v50
	s_waitcnt vmcnt(0) lgkmcnt(0)
	v_mul_f64 v[48:49], v[48:49], v[52:53]
	s_cbranch_execz .LBB22_264
	s_branch .LBB22_265
.LBB22_263:
                                        ; implicit-def: $vgpr48_vgpr49
.LBB22_264:
	ds_read_b64 v[48:49], v50
.LBB22_265:
	v_cmp_ne_u32_e32 vcc, 5, v0
	s_and_saveexec_b64 s[8:9], vcc
	s_cbranch_execz .LBB22_269
; %bb.266:
	v_mov_b32_e32 v53, 0
	v_add_u32_e32 v52, 0xc8, v1
	v_add3_u32 v53, v1, v53, 8
	s_mov_b64 s[10:11], 0
	v_mov_b32_e32 v54, v0
.LBB22_267:                             ; =>This Inner Loop Header: Depth=1
	buffer_load_dword v56, v53, s[0:3], 0 offen
	buffer_load_dword v57, v53, s[0:3], 0 offen offset:4
	ds_read_b64 v[58:59], v52
	v_add_u32_e32 v54, 1, v54
	v_cmp_lt_u32_e32 vcc, 4, v54
	v_add_u32_e32 v52, 8, v52
	v_add_u32_e32 v53, 8, v53
	s_or_b64 s[10:11], vcc, s[10:11]
	s_waitcnt vmcnt(0) lgkmcnt(0)
	v_fmac_f64_e32 v[48:49], v[56:57], v[58:59]
	s_andn2_b64 exec, exec, s[10:11]
	s_cbranch_execnz .LBB22_267
; %bb.268:
	s_or_b64 exec, exec, s[10:11]
.LBB22_269:
	s_or_b64 exec, exec, s[8:9]
	v_mov_b32_e32 v52, 0
	ds_read_b64 v[52:53], v52 offset:48
	s_waitcnt lgkmcnt(0)
	v_mul_f64 v[48:49], v[48:49], v[52:53]
	buffer_store_dword v49, off, s[0:3], 0 offset:52
	buffer_store_dword v48, off, s[0:3], 0 offset:48
.LBB22_270:
	s_or_b64 exec, exec, s[6:7]
	buffer_load_dword v48, off, s[0:3], 0 offset:56
	buffer_load_dword v49, off, s[0:3], 0 offset:60
	v_cmp_gt_u32_e32 vcc, 7, v0
	s_waitcnt vmcnt(0)
	ds_write_b64 v50, v[48:49]
	s_waitcnt lgkmcnt(0)
	; wave barrier
	s_waitcnt lgkmcnt(0)
	s_and_saveexec_b64 s[6:7], vcc
	s_cbranch_execz .LBB22_280
; %bb.271:
	s_and_b64 vcc, exec, s[4:5]
	s_cbranch_vccnz .LBB22_273
; %bb.272:
	buffer_load_dword v48, v51, s[0:3], 0 offen
	buffer_load_dword v49, v51, s[0:3], 0 offen offset:4
	ds_read_b64 v[52:53], v50
	s_waitcnt vmcnt(0) lgkmcnt(0)
	v_mul_f64 v[48:49], v[48:49], v[52:53]
	s_cbranch_execz .LBB22_274
	s_branch .LBB22_275
.LBB22_273:
                                        ; implicit-def: $vgpr48_vgpr49
.LBB22_274:
	ds_read_b64 v[48:49], v50
.LBB22_275:
	v_cmp_ne_u32_e32 vcc, 6, v0
	s_and_saveexec_b64 s[8:9], vcc
	s_cbranch_execz .LBB22_279
; %bb.276:
	v_mov_b32_e32 v53, 0
	v_add_u32_e32 v52, 0xc8, v1
	v_add3_u32 v53, v1, v53, 8
	s_mov_b64 s[10:11], 0
	v_mov_b32_e32 v54, v0
.LBB22_277:                             ; =>This Inner Loop Header: Depth=1
	buffer_load_dword v56, v53, s[0:3], 0 offen
	buffer_load_dword v57, v53, s[0:3], 0 offen offset:4
	ds_read_b64 v[58:59], v52
	v_add_u32_e32 v54, 1, v54
	v_cmp_lt_u32_e32 vcc, 5, v54
	v_add_u32_e32 v52, 8, v52
	v_add_u32_e32 v53, 8, v53
	s_or_b64 s[10:11], vcc, s[10:11]
	s_waitcnt vmcnt(0) lgkmcnt(0)
	v_fmac_f64_e32 v[48:49], v[56:57], v[58:59]
	s_andn2_b64 exec, exec, s[10:11]
	s_cbranch_execnz .LBB22_277
; %bb.278:
	s_or_b64 exec, exec, s[10:11]
.LBB22_279:
	s_or_b64 exec, exec, s[8:9]
	v_mov_b32_e32 v52, 0
	ds_read_b64 v[52:53], v52 offset:56
	s_waitcnt lgkmcnt(0)
	v_mul_f64 v[48:49], v[48:49], v[52:53]
	buffer_store_dword v49, off, s[0:3], 0 offset:60
	buffer_store_dword v48, off, s[0:3], 0 offset:56
.LBB22_280:
	s_or_b64 exec, exec, s[6:7]
	buffer_load_dword v48, off, s[0:3], 0 offset:64
	buffer_load_dword v49, off, s[0:3], 0 offset:68
	v_cmp_gt_u32_e32 vcc, 8, v0
	s_waitcnt vmcnt(0)
	ds_write_b64 v50, v[48:49]
	s_waitcnt lgkmcnt(0)
	; wave barrier
	s_waitcnt lgkmcnt(0)
	s_and_saveexec_b64 s[6:7], vcc
	s_cbranch_execz .LBB22_290
; %bb.281:
	s_and_b64 vcc, exec, s[4:5]
	s_cbranch_vccnz .LBB22_283
; %bb.282:
	buffer_load_dword v48, v51, s[0:3], 0 offen
	buffer_load_dword v49, v51, s[0:3], 0 offen offset:4
	ds_read_b64 v[52:53], v50
	s_waitcnt vmcnt(0) lgkmcnt(0)
	v_mul_f64 v[48:49], v[48:49], v[52:53]
	s_cbranch_execz .LBB22_284
	s_branch .LBB22_285
.LBB22_283:
                                        ; implicit-def: $vgpr48_vgpr49
.LBB22_284:
	ds_read_b64 v[48:49], v50
.LBB22_285:
	v_cmp_ne_u32_e32 vcc, 7, v0
	s_and_saveexec_b64 s[8:9], vcc
	s_cbranch_execz .LBB22_289
; %bb.286:
	v_mov_b32_e32 v53, 0
	v_add_u32_e32 v52, 0xc8, v1
	v_add3_u32 v53, v1, v53, 8
	s_mov_b64 s[10:11], 0
	v_mov_b32_e32 v54, v0
.LBB22_287:                             ; =>This Inner Loop Header: Depth=1
	buffer_load_dword v56, v53, s[0:3], 0 offen
	buffer_load_dword v57, v53, s[0:3], 0 offen offset:4
	ds_read_b64 v[58:59], v52
	v_add_u32_e32 v54, 1, v54
	v_cmp_lt_u32_e32 vcc, 6, v54
	v_add_u32_e32 v52, 8, v52
	v_add_u32_e32 v53, 8, v53
	s_or_b64 s[10:11], vcc, s[10:11]
	s_waitcnt vmcnt(0) lgkmcnt(0)
	v_fmac_f64_e32 v[48:49], v[56:57], v[58:59]
	s_andn2_b64 exec, exec, s[10:11]
	s_cbranch_execnz .LBB22_287
; %bb.288:
	s_or_b64 exec, exec, s[10:11]
.LBB22_289:
	s_or_b64 exec, exec, s[8:9]
	v_mov_b32_e32 v52, 0
	ds_read_b64 v[52:53], v52 offset:64
	s_waitcnt lgkmcnt(0)
	v_mul_f64 v[48:49], v[48:49], v[52:53]
	buffer_store_dword v49, off, s[0:3], 0 offset:68
	buffer_store_dword v48, off, s[0:3], 0 offset:64
.LBB22_290:
	s_or_b64 exec, exec, s[6:7]
	buffer_load_dword v48, off, s[0:3], 0 offset:72
	buffer_load_dword v49, off, s[0:3], 0 offset:76
	v_cmp_gt_u32_e32 vcc, 9, v0
	s_waitcnt vmcnt(0)
	ds_write_b64 v50, v[48:49]
	s_waitcnt lgkmcnt(0)
	; wave barrier
	s_waitcnt lgkmcnt(0)
	s_and_saveexec_b64 s[6:7], vcc
	s_cbranch_execz .LBB22_300
; %bb.291:
	s_and_b64 vcc, exec, s[4:5]
	s_cbranch_vccnz .LBB22_293
; %bb.292:
	buffer_load_dword v48, v51, s[0:3], 0 offen
	buffer_load_dword v49, v51, s[0:3], 0 offen offset:4
	ds_read_b64 v[52:53], v50
	s_waitcnt vmcnt(0) lgkmcnt(0)
	v_mul_f64 v[48:49], v[48:49], v[52:53]
	s_cbranch_execz .LBB22_294
	s_branch .LBB22_295
.LBB22_293:
                                        ; implicit-def: $vgpr48_vgpr49
.LBB22_294:
	ds_read_b64 v[48:49], v50
.LBB22_295:
	v_cmp_ne_u32_e32 vcc, 8, v0
	s_and_saveexec_b64 s[8:9], vcc
	s_cbranch_execz .LBB22_299
; %bb.296:
	v_mov_b32_e32 v53, 0
	v_add_u32_e32 v52, 0xc8, v1
	v_add3_u32 v53, v1, v53, 8
	s_mov_b64 s[10:11], 0
	v_mov_b32_e32 v54, v0
.LBB22_297:                             ; =>This Inner Loop Header: Depth=1
	buffer_load_dword v56, v53, s[0:3], 0 offen
	buffer_load_dword v57, v53, s[0:3], 0 offen offset:4
	ds_read_b64 v[58:59], v52
	v_add_u32_e32 v54, 1, v54
	v_cmp_lt_u32_e32 vcc, 7, v54
	v_add_u32_e32 v52, 8, v52
	v_add_u32_e32 v53, 8, v53
	s_or_b64 s[10:11], vcc, s[10:11]
	s_waitcnt vmcnt(0) lgkmcnt(0)
	v_fmac_f64_e32 v[48:49], v[56:57], v[58:59]
	s_andn2_b64 exec, exec, s[10:11]
	s_cbranch_execnz .LBB22_297
; %bb.298:
	s_or_b64 exec, exec, s[10:11]
.LBB22_299:
	s_or_b64 exec, exec, s[8:9]
	v_mov_b32_e32 v52, 0
	ds_read_b64 v[52:53], v52 offset:72
	s_waitcnt lgkmcnt(0)
	v_mul_f64 v[48:49], v[48:49], v[52:53]
	buffer_store_dword v49, off, s[0:3], 0 offset:76
	buffer_store_dword v48, off, s[0:3], 0 offset:72
.LBB22_300:
	s_or_b64 exec, exec, s[6:7]
	buffer_load_dword v48, off, s[0:3], 0 offset:80
	buffer_load_dword v49, off, s[0:3], 0 offset:84
	v_cmp_gt_u32_e32 vcc, 10, v0
	s_waitcnt vmcnt(0)
	ds_write_b64 v50, v[48:49]
	s_waitcnt lgkmcnt(0)
	; wave barrier
	s_waitcnt lgkmcnt(0)
	s_and_saveexec_b64 s[6:7], vcc
	s_cbranch_execz .LBB22_310
; %bb.301:
	s_and_b64 vcc, exec, s[4:5]
	s_cbranch_vccnz .LBB22_303
; %bb.302:
	buffer_load_dword v48, v51, s[0:3], 0 offen
	buffer_load_dword v49, v51, s[0:3], 0 offen offset:4
	ds_read_b64 v[52:53], v50
	s_waitcnt vmcnt(0) lgkmcnt(0)
	v_mul_f64 v[48:49], v[48:49], v[52:53]
	s_cbranch_execz .LBB22_304
	s_branch .LBB22_305
.LBB22_303:
                                        ; implicit-def: $vgpr48_vgpr49
.LBB22_304:
	ds_read_b64 v[48:49], v50
.LBB22_305:
	v_cmp_ne_u32_e32 vcc, 9, v0
	s_and_saveexec_b64 s[8:9], vcc
	s_cbranch_execz .LBB22_309
; %bb.306:
	v_mov_b32_e32 v53, 0
	v_add_u32_e32 v52, 0xc8, v1
	v_add3_u32 v53, v1, v53, 8
	s_mov_b64 s[10:11], 0
	v_mov_b32_e32 v54, v0
.LBB22_307:                             ; =>This Inner Loop Header: Depth=1
	buffer_load_dword v56, v53, s[0:3], 0 offen
	buffer_load_dword v57, v53, s[0:3], 0 offen offset:4
	ds_read_b64 v[58:59], v52
	v_add_u32_e32 v54, 1, v54
	v_cmp_lt_u32_e32 vcc, 8, v54
	v_add_u32_e32 v52, 8, v52
	v_add_u32_e32 v53, 8, v53
	s_or_b64 s[10:11], vcc, s[10:11]
	s_waitcnt vmcnt(0) lgkmcnt(0)
	v_fmac_f64_e32 v[48:49], v[56:57], v[58:59]
	s_andn2_b64 exec, exec, s[10:11]
	s_cbranch_execnz .LBB22_307
; %bb.308:
	s_or_b64 exec, exec, s[10:11]
.LBB22_309:
	s_or_b64 exec, exec, s[8:9]
	v_mov_b32_e32 v52, 0
	ds_read_b64 v[52:53], v52 offset:80
	s_waitcnt lgkmcnt(0)
	v_mul_f64 v[48:49], v[48:49], v[52:53]
	buffer_store_dword v49, off, s[0:3], 0 offset:84
	buffer_store_dword v48, off, s[0:3], 0 offset:80
.LBB22_310:
	s_or_b64 exec, exec, s[6:7]
	buffer_load_dword v48, off, s[0:3], 0 offset:88
	buffer_load_dword v49, off, s[0:3], 0 offset:92
	v_cmp_gt_u32_e32 vcc, 11, v0
	s_waitcnt vmcnt(0)
	ds_write_b64 v50, v[48:49]
	s_waitcnt lgkmcnt(0)
	; wave barrier
	s_waitcnt lgkmcnt(0)
	s_and_saveexec_b64 s[6:7], vcc
	s_cbranch_execz .LBB22_320
; %bb.311:
	s_and_b64 vcc, exec, s[4:5]
	s_cbranch_vccnz .LBB22_313
; %bb.312:
	buffer_load_dword v48, v51, s[0:3], 0 offen
	buffer_load_dword v49, v51, s[0:3], 0 offen offset:4
	ds_read_b64 v[52:53], v50
	s_waitcnt vmcnt(0) lgkmcnt(0)
	v_mul_f64 v[48:49], v[48:49], v[52:53]
	s_cbranch_execz .LBB22_314
	s_branch .LBB22_315
.LBB22_313:
                                        ; implicit-def: $vgpr48_vgpr49
.LBB22_314:
	ds_read_b64 v[48:49], v50
.LBB22_315:
	v_cmp_ne_u32_e32 vcc, 10, v0
	s_and_saveexec_b64 s[8:9], vcc
	s_cbranch_execz .LBB22_319
; %bb.316:
	v_mov_b32_e32 v53, 0
	v_add_u32_e32 v52, 0xc8, v1
	v_add3_u32 v53, v1, v53, 8
	s_mov_b64 s[10:11], 0
	v_mov_b32_e32 v54, v0
.LBB22_317:                             ; =>This Inner Loop Header: Depth=1
	buffer_load_dword v56, v53, s[0:3], 0 offen
	buffer_load_dword v57, v53, s[0:3], 0 offen offset:4
	ds_read_b64 v[58:59], v52
	v_add_u32_e32 v54, 1, v54
	v_cmp_lt_u32_e32 vcc, 9, v54
	v_add_u32_e32 v52, 8, v52
	v_add_u32_e32 v53, 8, v53
	s_or_b64 s[10:11], vcc, s[10:11]
	s_waitcnt vmcnt(0) lgkmcnt(0)
	v_fmac_f64_e32 v[48:49], v[56:57], v[58:59]
	s_andn2_b64 exec, exec, s[10:11]
	s_cbranch_execnz .LBB22_317
; %bb.318:
	s_or_b64 exec, exec, s[10:11]
.LBB22_319:
	s_or_b64 exec, exec, s[8:9]
	v_mov_b32_e32 v52, 0
	ds_read_b64 v[52:53], v52 offset:88
	s_waitcnt lgkmcnt(0)
	v_mul_f64 v[48:49], v[48:49], v[52:53]
	buffer_store_dword v49, off, s[0:3], 0 offset:92
	buffer_store_dword v48, off, s[0:3], 0 offset:88
.LBB22_320:
	s_or_b64 exec, exec, s[6:7]
	buffer_load_dword v48, off, s[0:3], 0 offset:96
	buffer_load_dword v49, off, s[0:3], 0 offset:100
	v_cmp_gt_u32_e32 vcc, 12, v0
	s_waitcnt vmcnt(0)
	ds_write_b64 v50, v[48:49]
	s_waitcnt lgkmcnt(0)
	; wave barrier
	s_waitcnt lgkmcnt(0)
	s_and_saveexec_b64 s[6:7], vcc
	s_cbranch_execz .LBB22_330
; %bb.321:
	s_and_b64 vcc, exec, s[4:5]
	s_cbranch_vccnz .LBB22_323
; %bb.322:
	buffer_load_dword v48, v51, s[0:3], 0 offen
	buffer_load_dword v49, v51, s[0:3], 0 offen offset:4
	ds_read_b64 v[52:53], v50
	s_waitcnt vmcnt(0) lgkmcnt(0)
	v_mul_f64 v[48:49], v[48:49], v[52:53]
	s_cbranch_execz .LBB22_324
	s_branch .LBB22_325
.LBB22_323:
                                        ; implicit-def: $vgpr48_vgpr49
.LBB22_324:
	ds_read_b64 v[48:49], v50
.LBB22_325:
	v_cmp_ne_u32_e32 vcc, 11, v0
	s_and_saveexec_b64 s[8:9], vcc
	s_cbranch_execz .LBB22_329
; %bb.326:
	v_mov_b32_e32 v53, 0
	v_add_u32_e32 v52, 0xc8, v1
	v_add3_u32 v53, v1, v53, 8
	s_mov_b64 s[10:11], 0
	v_mov_b32_e32 v54, v0
.LBB22_327:                             ; =>This Inner Loop Header: Depth=1
	buffer_load_dword v56, v53, s[0:3], 0 offen
	buffer_load_dword v57, v53, s[0:3], 0 offen offset:4
	ds_read_b64 v[58:59], v52
	v_add_u32_e32 v54, 1, v54
	v_cmp_lt_u32_e32 vcc, 10, v54
	v_add_u32_e32 v52, 8, v52
	v_add_u32_e32 v53, 8, v53
	s_or_b64 s[10:11], vcc, s[10:11]
	s_waitcnt vmcnt(0) lgkmcnt(0)
	v_fmac_f64_e32 v[48:49], v[56:57], v[58:59]
	s_andn2_b64 exec, exec, s[10:11]
	s_cbranch_execnz .LBB22_327
; %bb.328:
	s_or_b64 exec, exec, s[10:11]
.LBB22_329:
	s_or_b64 exec, exec, s[8:9]
	v_mov_b32_e32 v52, 0
	ds_read_b64 v[52:53], v52 offset:96
	s_waitcnt lgkmcnt(0)
	v_mul_f64 v[48:49], v[48:49], v[52:53]
	buffer_store_dword v49, off, s[0:3], 0 offset:100
	buffer_store_dword v48, off, s[0:3], 0 offset:96
.LBB22_330:
	s_or_b64 exec, exec, s[6:7]
	buffer_load_dword v48, off, s[0:3], 0 offset:104
	buffer_load_dword v49, off, s[0:3], 0 offset:108
	v_cmp_gt_u32_e32 vcc, 13, v0
	s_waitcnt vmcnt(0)
	ds_write_b64 v50, v[48:49]
	s_waitcnt lgkmcnt(0)
	; wave barrier
	s_waitcnt lgkmcnt(0)
	s_and_saveexec_b64 s[6:7], vcc
	s_cbranch_execz .LBB22_340
; %bb.331:
	s_and_b64 vcc, exec, s[4:5]
	s_cbranch_vccnz .LBB22_333
; %bb.332:
	buffer_load_dword v48, v51, s[0:3], 0 offen
	buffer_load_dword v49, v51, s[0:3], 0 offen offset:4
	ds_read_b64 v[52:53], v50
	s_waitcnt vmcnt(0) lgkmcnt(0)
	v_mul_f64 v[48:49], v[48:49], v[52:53]
	s_cbranch_execz .LBB22_334
	s_branch .LBB22_335
.LBB22_333:
                                        ; implicit-def: $vgpr48_vgpr49
.LBB22_334:
	ds_read_b64 v[48:49], v50
.LBB22_335:
	v_cmp_ne_u32_e32 vcc, 12, v0
	s_and_saveexec_b64 s[8:9], vcc
	s_cbranch_execz .LBB22_339
; %bb.336:
	v_mov_b32_e32 v53, 0
	v_add_u32_e32 v52, 0xc8, v1
	v_add3_u32 v53, v1, v53, 8
	s_mov_b64 s[10:11], 0
	v_mov_b32_e32 v54, v0
.LBB22_337:                             ; =>This Inner Loop Header: Depth=1
	buffer_load_dword v56, v53, s[0:3], 0 offen
	buffer_load_dword v57, v53, s[0:3], 0 offen offset:4
	ds_read_b64 v[58:59], v52
	v_add_u32_e32 v54, 1, v54
	v_cmp_lt_u32_e32 vcc, 11, v54
	v_add_u32_e32 v52, 8, v52
	v_add_u32_e32 v53, 8, v53
	s_or_b64 s[10:11], vcc, s[10:11]
	s_waitcnt vmcnt(0) lgkmcnt(0)
	v_fmac_f64_e32 v[48:49], v[56:57], v[58:59]
	s_andn2_b64 exec, exec, s[10:11]
	s_cbranch_execnz .LBB22_337
; %bb.338:
	s_or_b64 exec, exec, s[10:11]
.LBB22_339:
	s_or_b64 exec, exec, s[8:9]
	v_mov_b32_e32 v52, 0
	ds_read_b64 v[52:53], v52 offset:104
	s_waitcnt lgkmcnt(0)
	v_mul_f64 v[48:49], v[48:49], v[52:53]
	buffer_store_dword v49, off, s[0:3], 0 offset:108
	buffer_store_dword v48, off, s[0:3], 0 offset:104
.LBB22_340:
	s_or_b64 exec, exec, s[6:7]
	buffer_load_dword v48, off, s[0:3], 0 offset:112
	buffer_load_dword v49, off, s[0:3], 0 offset:116
	v_cmp_gt_u32_e32 vcc, 14, v0
	s_waitcnt vmcnt(0)
	ds_write_b64 v50, v[48:49]
	s_waitcnt lgkmcnt(0)
	; wave barrier
	s_waitcnt lgkmcnt(0)
	s_and_saveexec_b64 s[6:7], vcc
	s_cbranch_execz .LBB22_350
; %bb.341:
	s_and_b64 vcc, exec, s[4:5]
	s_cbranch_vccnz .LBB22_343
; %bb.342:
	buffer_load_dword v48, v51, s[0:3], 0 offen
	buffer_load_dword v49, v51, s[0:3], 0 offen offset:4
	ds_read_b64 v[52:53], v50
	s_waitcnt vmcnt(0) lgkmcnt(0)
	v_mul_f64 v[48:49], v[48:49], v[52:53]
	s_cbranch_execz .LBB22_344
	s_branch .LBB22_345
.LBB22_343:
                                        ; implicit-def: $vgpr48_vgpr49
.LBB22_344:
	ds_read_b64 v[48:49], v50
.LBB22_345:
	v_cmp_ne_u32_e32 vcc, 13, v0
	s_and_saveexec_b64 s[8:9], vcc
	s_cbranch_execz .LBB22_349
; %bb.346:
	v_mov_b32_e32 v53, 0
	v_add_u32_e32 v52, 0xc8, v1
	v_add3_u32 v53, v1, v53, 8
	s_mov_b64 s[10:11], 0
	v_mov_b32_e32 v54, v0
.LBB22_347:                             ; =>This Inner Loop Header: Depth=1
	buffer_load_dword v56, v53, s[0:3], 0 offen
	buffer_load_dword v57, v53, s[0:3], 0 offen offset:4
	ds_read_b64 v[58:59], v52
	v_add_u32_e32 v54, 1, v54
	v_cmp_lt_u32_e32 vcc, 12, v54
	v_add_u32_e32 v52, 8, v52
	v_add_u32_e32 v53, 8, v53
	s_or_b64 s[10:11], vcc, s[10:11]
	s_waitcnt vmcnt(0) lgkmcnt(0)
	v_fmac_f64_e32 v[48:49], v[56:57], v[58:59]
	s_andn2_b64 exec, exec, s[10:11]
	s_cbranch_execnz .LBB22_347
; %bb.348:
	s_or_b64 exec, exec, s[10:11]
.LBB22_349:
	s_or_b64 exec, exec, s[8:9]
	v_mov_b32_e32 v52, 0
	ds_read_b64 v[52:53], v52 offset:112
	s_waitcnt lgkmcnt(0)
	v_mul_f64 v[48:49], v[48:49], v[52:53]
	buffer_store_dword v49, off, s[0:3], 0 offset:116
	buffer_store_dword v48, off, s[0:3], 0 offset:112
.LBB22_350:
	s_or_b64 exec, exec, s[6:7]
	buffer_load_dword v48, off, s[0:3], 0 offset:120
	buffer_load_dword v49, off, s[0:3], 0 offset:124
	v_cmp_gt_u32_e32 vcc, 15, v0
	s_waitcnt vmcnt(0)
	ds_write_b64 v50, v[48:49]
	s_waitcnt lgkmcnt(0)
	; wave barrier
	s_waitcnt lgkmcnt(0)
	s_and_saveexec_b64 s[6:7], vcc
	s_cbranch_execz .LBB22_360
; %bb.351:
	s_and_b64 vcc, exec, s[4:5]
	s_cbranch_vccnz .LBB22_353
; %bb.352:
	buffer_load_dword v48, v51, s[0:3], 0 offen
	buffer_load_dword v49, v51, s[0:3], 0 offen offset:4
	ds_read_b64 v[52:53], v50
	s_waitcnt vmcnt(0) lgkmcnt(0)
	v_mul_f64 v[48:49], v[48:49], v[52:53]
	s_cbranch_execz .LBB22_354
	s_branch .LBB22_355
.LBB22_353:
                                        ; implicit-def: $vgpr48_vgpr49
.LBB22_354:
	ds_read_b64 v[48:49], v50
.LBB22_355:
	v_cmp_ne_u32_e32 vcc, 14, v0
	s_and_saveexec_b64 s[8:9], vcc
	s_cbranch_execz .LBB22_359
; %bb.356:
	v_mov_b32_e32 v53, 0
	v_add_u32_e32 v52, 0xc8, v1
	v_add3_u32 v53, v1, v53, 8
	s_mov_b64 s[10:11], 0
	v_mov_b32_e32 v54, v0
.LBB22_357:                             ; =>This Inner Loop Header: Depth=1
	buffer_load_dword v56, v53, s[0:3], 0 offen
	buffer_load_dword v57, v53, s[0:3], 0 offen offset:4
	ds_read_b64 v[58:59], v52
	v_add_u32_e32 v54, 1, v54
	v_cmp_lt_u32_e32 vcc, 13, v54
	v_add_u32_e32 v52, 8, v52
	v_add_u32_e32 v53, 8, v53
	s_or_b64 s[10:11], vcc, s[10:11]
	s_waitcnt vmcnt(0) lgkmcnt(0)
	v_fmac_f64_e32 v[48:49], v[56:57], v[58:59]
	s_andn2_b64 exec, exec, s[10:11]
	s_cbranch_execnz .LBB22_357
; %bb.358:
	s_or_b64 exec, exec, s[10:11]
.LBB22_359:
	s_or_b64 exec, exec, s[8:9]
	v_mov_b32_e32 v52, 0
	ds_read_b64 v[52:53], v52 offset:120
	s_waitcnt lgkmcnt(0)
	v_mul_f64 v[48:49], v[48:49], v[52:53]
	buffer_store_dword v49, off, s[0:3], 0 offset:124
	buffer_store_dword v48, off, s[0:3], 0 offset:120
.LBB22_360:
	s_or_b64 exec, exec, s[6:7]
	buffer_load_dword v48, off, s[0:3], 0 offset:128
	buffer_load_dword v49, off, s[0:3], 0 offset:132
	v_cmp_gt_u32_e32 vcc, 16, v0
	s_waitcnt vmcnt(0)
	ds_write_b64 v50, v[48:49]
	s_waitcnt lgkmcnt(0)
	; wave barrier
	s_waitcnt lgkmcnt(0)
	s_and_saveexec_b64 s[6:7], vcc
	s_cbranch_execz .LBB22_370
; %bb.361:
	s_and_b64 vcc, exec, s[4:5]
	s_cbranch_vccnz .LBB22_363
; %bb.362:
	buffer_load_dword v48, v51, s[0:3], 0 offen
	buffer_load_dword v49, v51, s[0:3], 0 offen offset:4
	ds_read_b64 v[52:53], v50
	s_waitcnt vmcnt(0) lgkmcnt(0)
	v_mul_f64 v[48:49], v[48:49], v[52:53]
	s_cbranch_execz .LBB22_364
	s_branch .LBB22_365
.LBB22_363:
                                        ; implicit-def: $vgpr48_vgpr49
.LBB22_364:
	ds_read_b64 v[48:49], v50
.LBB22_365:
	v_cmp_ne_u32_e32 vcc, 15, v0
	s_and_saveexec_b64 s[8:9], vcc
	s_cbranch_execz .LBB22_369
; %bb.366:
	v_mov_b32_e32 v53, 0
	v_add_u32_e32 v52, 0xc8, v1
	v_add3_u32 v53, v1, v53, 8
	s_mov_b64 s[10:11], 0
	v_mov_b32_e32 v54, v0
.LBB22_367:                             ; =>This Inner Loop Header: Depth=1
	buffer_load_dword v56, v53, s[0:3], 0 offen
	buffer_load_dword v57, v53, s[0:3], 0 offen offset:4
	ds_read_b64 v[58:59], v52
	v_add_u32_e32 v54, 1, v54
	v_cmp_lt_u32_e32 vcc, 14, v54
	v_add_u32_e32 v52, 8, v52
	v_add_u32_e32 v53, 8, v53
	s_or_b64 s[10:11], vcc, s[10:11]
	s_waitcnt vmcnt(0) lgkmcnt(0)
	v_fmac_f64_e32 v[48:49], v[56:57], v[58:59]
	s_andn2_b64 exec, exec, s[10:11]
	s_cbranch_execnz .LBB22_367
; %bb.368:
	s_or_b64 exec, exec, s[10:11]
.LBB22_369:
	s_or_b64 exec, exec, s[8:9]
	v_mov_b32_e32 v52, 0
	ds_read_b64 v[52:53], v52 offset:128
	s_waitcnt lgkmcnt(0)
	v_mul_f64 v[48:49], v[48:49], v[52:53]
	buffer_store_dword v49, off, s[0:3], 0 offset:132
	buffer_store_dword v48, off, s[0:3], 0 offset:128
.LBB22_370:
	s_or_b64 exec, exec, s[6:7]
	buffer_load_dword v48, off, s[0:3], 0 offset:136
	buffer_load_dword v49, off, s[0:3], 0 offset:140
	v_cmp_gt_u32_e32 vcc, 17, v0
	s_waitcnt vmcnt(0)
	ds_write_b64 v50, v[48:49]
	s_waitcnt lgkmcnt(0)
	; wave barrier
	s_waitcnt lgkmcnt(0)
	s_and_saveexec_b64 s[6:7], vcc
	s_cbranch_execz .LBB22_380
; %bb.371:
	s_and_b64 vcc, exec, s[4:5]
	s_cbranch_vccnz .LBB22_373
; %bb.372:
	buffer_load_dword v48, v51, s[0:3], 0 offen
	buffer_load_dword v49, v51, s[0:3], 0 offen offset:4
	ds_read_b64 v[52:53], v50
	s_waitcnt vmcnt(0) lgkmcnt(0)
	v_mul_f64 v[48:49], v[48:49], v[52:53]
	s_cbranch_execz .LBB22_374
	s_branch .LBB22_375
.LBB22_373:
                                        ; implicit-def: $vgpr48_vgpr49
.LBB22_374:
	ds_read_b64 v[48:49], v50
.LBB22_375:
	v_cmp_ne_u32_e32 vcc, 16, v0
	s_and_saveexec_b64 s[8:9], vcc
	s_cbranch_execz .LBB22_379
; %bb.376:
	v_mov_b32_e32 v53, 0
	v_add_u32_e32 v52, 0xc8, v1
	v_add3_u32 v53, v1, v53, 8
	s_mov_b64 s[10:11], 0
	v_mov_b32_e32 v54, v0
.LBB22_377:                             ; =>This Inner Loop Header: Depth=1
	buffer_load_dword v56, v53, s[0:3], 0 offen
	buffer_load_dword v57, v53, s[0:3], 0 offen offset:4
	ds_read_b64 v[58:59], v52
	v_add_u32_e32 v54, 1, v54
	v_cmp_lt_u32_e32 vcc, 15, v54
	v_add_u32_e32 v52, 8, v52
	v_add_u32_e32 v53, 8, v53
	s_or_b64 s[10:11], vcc, s[10:11]
	s_waitcnt vmcnt(0) lgkmcnt(0)
	v_fmac_f64_e32 v[48:49], v[56:57], v[58:59]
	s_andn2_b64 exec, exec, s[10:11]
	s_cbranch_execnz .LBB22_377
; %bb.378:
	s_or_b64 exec, exec, s[10:11]
.LBB22_379:
	s_or_b64 exec, exec, s[8:9]
	v_mov_b32_e32 v52, 0
	ds_read_b64 v[52:53], v52 offset:136
	s_waitcnt lgkmcnt(0)
	v_mul_f64 v[48:49], v[48:49], v[52:53]
	buffer_store_dword v49, off, s[0:3], 0 offset:140
	buffer_store_dword v48, off, s[0:3], 0 offset:136
.LBB22_380:
	s_or_b64 exec, exec, s[6:7]
	buffer_load_dword v48, off, s[0:3], 0 offset:144
	buffer_load_dword v49, off, s[0:3], 0 offset:148
	v_cmp_gt_u32_e32 vcc, 18, v0
	s_waitcnt vmcnt(0)
	ds_write_b64 v50, v[48:49]
	s_waitcnt lgkmcnt(0)
	; wave barrier
	s_waitcnt lgkmcnt(0)
	s_and_saveexec_b64 s[6:7], vcc
	s_cbranch_execz .LBB22_390
; %bb.381:
	s_and_b64 vcc, exec, s[4:5]
	s_cbranch_vccnz .LBB22_383
; %bb.382:
	buffer_load_dword v48, v51, s[0:3], 0 offen
	buffer_load_dword v49, v51, s[0:3], 0 offen offset:4
	ds_read_b64 v[52:53], v50
	s_waitcnt vmcnt(0) lgkmcnt(0)
	v_mul_f64 v[48:49], v[48:49], v[52:53]
	s_cbranch_execz .LBB22_384
	s_branch .LBB22_385
.LBB22_383:
                                        ; implicit-def: $vgpr48_vgpr49
.LBB22_384:
	ds_read_b64 v[48:49], v50
.LBB22_385:
	v_cmp_ne_u32_e32 vcc, 17, v0
	s_and_saveexec_b64 s[8:9], vcc
	s_cbranch_execz .LBB22_389
; %bb.386:
	v_mov_b32_e32 v53, 0
	v_add_u32_e32 v52, 0xc8, v1
	v_add3_u32 v53, v1, v53, 8
	s_mov_b64 s[10:11], 0
	v_mov_b32_e32 v54, v0
.LBB22_387:                             ; =>This Inner Loop Header: Depth=1
	buffer_load_dword v56, v53, s[0:3], 0 offen
	buffer_load_dword v57, v53, s[0:3], 0 offen offset:4
	ds_read_b64 v[58:59], v52
	v_add_u32_e32 v54, 1, v54
	v_cmp_lt_u32_e32 vcc, 16, v54
	v_add_u32_e32 v52, 8, v52
	v_add_u32_e32 v53, 8, v53
	s_or_b64 s[10:11], vcc, s[10:11]
	s_waitcnt vmcnt(0) lgkmcnt(0)
	v_fmac_f64_e32 v[48:49], v[56:57], v[58:59]
	s_andn2_b64 exec, exec, s[10:11]
	s_cbranch_execnz .LBB22_387
; %bb.388:
	s_or_b64 exec, exec, s[10:11]
.LBB22_389:
	s_or_b64 exec, exec, s[8:9]
	v_mov_b32_e32 v52, 0
	ds_read_b64 v[52:53], v52 offset:144
	s_waitcnt lgkmcnt(0)
	v_mul_f64 v[48:49], v[48:49], v[52:53]
	buffer_store_dword v49, off, s[0:3], 0 offset:148
	buffer_store_dword v48, off, s[0:3], 0 offset:144
.LBB22_390:
	s_or_b64 exec, exec, s[6:7]
	buffer_load_dword v48, off, s[0:3], 0 offset:152
	buffer_load_dword v49, off, s[0:3], 0 offset:156
	v_cmp_gt_u32_e32 vcc, 19, v0
	s_waitcnt vmcnt(0)
	ds_write_b64 v50, v[48:49]
	s_waitcnt lgkmcnt(0)
	; wave barrier
	s_waitcnt lgkmcnt(0)
	s_and_saveexec_b64 s[6:7], vcc
	s_cbranch_execz .LBB22_400
; %bb.391:
	s_and_b64 vcc, exec, s[4:5]
	s_cbranch_vccnz .LBB22_393
; %bb.392:
	buffer_load_dword v48, v51, s[0:3], 0 offen
	buffer_load_dword v49, v51, s[0:3], 0 offen offset:4
	ds_read_b64 v[52:53], v50
	s_waitcnt vmcnt(0) lgkmcnt(0)
	v_mul_f64 v[48:49], v[48:49], v[52:53]
	s_cbranch_execz .LBB22_394
	s_branch .LBB22_395
.LBB22_393:
                                        ; implicit-def: $vgpr48_vgpr49
.LBB22_394:
	ds_read_b64 v[48:49], v50
.LBB22_395:
	v_cmp_ne_u32_e32 vcc, 18, v0
	s_and_saveexec_b64 s[8:9], vcc
	s_cbranch_execz .LBB22_399
; %bb.396:
	v_mov_b32_e32 v53, 0
	v_add_u32_e32 v52, 0xc8, v1
	v_add3_u32 v53, v1, v53, 8
	s_mov_b64 s[10:11], 0
	v_mov_b32_e32 v54, v0
.LBB22_397:                             ; =>This Inner Loop Header: Depth=1
	buffer_load_dword v56, v53, s[0:3], 0 offen
	buffer_load_dword v57, v53, s[0:3], 0 offen offset:4
	ds_read_b64 v[58:59], v52
	v_add_u32_e32 v54, 1, v54
	v_cmp_lt_u32_e32 vcc, 17, v54
	v_add_u32_e32 v52, 8, v52
	v_add_u32_e32 v53, 8, v53
	s_or_b64 s[10:11], vcc, s[10:11]
	s_waitcnt vmcnt(0) lgkmcnt(0)
	v_fmac_f64_e32 v[48:49], v[56:57], v[58:59]
	s_andn2_b64 exec, exec, s[10:11]
	s_cbranch_execnz .LBB22_397
; %bb.398:
	s_or_b64 exec, exec, s[10:11]
.LBB22_399:
	s_or_b64 exec, exec, s[8:9]
	v_mov_b32_e32 v52, 0
	ds_read_b64 v[52:53], v52 offset:152
	s_waitcnt lgkmcnt(0)
	v_mul_f64 v[48:49], v[48:49], v[52:53]
	buffer_store_dword v49, off, s[0:3], 0 offset:156
	buffer_store_dword v48, off, s[0:3], 0 offset:152
.LBB22_400:
	s_or_b64 exec, exec, s[6:7]
	buffer_load_dword v48, off, s[0:3], 0 offset:160
	buffer_load_dword v49, off, s[0:3], 0 offset:164
	v_cmp_gt_u32_e32 vcc, 20, v0
	s_waitcnt vmcnt(0)
	ds_write_b64 v50, v[48:49]
	s_waitcnt lgkmcnt(0)
	; wave barrier
	s_waitcnt lgkmcnt(0)
	s_and_saveexec_b64 s[6:7], vcc
	s_cbranch_execz .LBB22_410
; %bb.401:
	s_and_b64 vcc, exec, s[4:5]
	s_cbranch_vccnz .LBB22_403
; %bb.402:
	buffer_load_dword v48, v51, s[0:3], 0 offen
	buffer_load_dword v49, v51, s[0:3], 0 offen offset:4
	ds_read_b64 v[52:53], v50
	s_waitcnt vmcnt(0) lgkmcnt(0)
	v_mul_f64 v[48:49], v[48:49], v[52:53]
	s_cbranch_execz .LBB22_404
	s_branch .LBB22_405
.LBB22_403:
                                        ; implicit-def: $vgpr48_vgpr49
.LBB22_404:
	ds_read_b64 v[48:49], v50
.LBB22_405:
	v_cmp_ne_u32_e32 vcc, 19, v0
	s_and_saveexec_b64 s[8:9], vcc
	s_cbranch_execz .LBB22_409
; %bb.406:
	v_mov_b32_e32 v53, 0
	v_add_u32_e32 v52, 0xc8, v1
	v_add3_u32 v53, v1, v53, 8
	s_mov_b64 s[10:11], 0
	v_mov_b32_e32 v54, v0
.LBB22_407:                             ; =>This Inner Loop Header: Depth=1
	buffer_load_dword v56, v53, s[0:3], 0 offen
	buffer_load_dword v57, v53, s[0:3], 0 offen offset:4
	ds_read_b64 v[58:59], v52
	v_add_u32_e32 v54, 1, v54
	v_cmp_lt_u32_e32 vcc, 18, v54
	v_add_u32_e32 v52, 8, v52
	v_add_u32_e32 v53, 8, v53
	s_or_b64 s[10:11], vcc, s[10:11]
	s_waitcnt vmcnt(0) lgkmcnt(0)
	v_fmac_f64_e32 v[48:49], v[56:57], v[58:59]
	s_andn2_b64 exec, exec, s[10:11]
	s_cbranch_execnz .LBB22_407
; %bb.408:
	s_or_b64 exec, exec, s[10:11]
.LBB22_409:
	s_or_b64 exec, exec, s[8:9]
	v_mov_b32_e32 v52, 0
	ds_read_b64 v[52:53], v52 offset:160
	s_waitcnt lgkmcnt(0)
	v_mul_f64 v[48:49], v[48:49], v[52:53]
	buffer_store_dword v49, off, s[0:3], 0 offset:164
	buffer_store_dword v48, off, s[0:3], 0 offset:160
.LBB22_410:
	s_or_b64 exec, exec, s[6:7]
	buffer_load_dword v48, off, s[0:3], 0 offset:168
	buffer_load_dword v49, off, s[0:3], 0 offset:172
	v_cmp_gt_u32_e64 s[6:7], 21, v0
	s_waitcnt vmcnt(0)
	ds_write_b64 v50, v[48:49]
	s_waitcnt lgkmcnt(0)
	; wave barrier
	s_waitcnt lgkmcnt(0)
	s_and_saveexec_b64 s[8:9], s[6:7]
	s_cbranch_execz .LBB22_420
; %bb.411:
	s_and_b64 vcc, exec, s[4:5]
	s_cbranch_vccnz .LBB22_413
; %bb.412:
	buffer_load_dword v48, v51, s[0:3], 0 offen
	buffer_load_dword v49, v51, s[0:3], 0 offen offset:4
	ds_read_b64 v[52:53], v50
	s_waitcnt vmcnt(0) lgkmcnt(0)
	v_mul_f64 v[48:49], v[48:49], v[52:53]
	s_cbranch_execz .LBB22_414
	s_branch .LBB22_415
.LBB22_413:
                                        ; implicit-def: $vgpr48_vgpr49
.LBB22_414:
	ds_read_b64 v[48:49], v50
.LBB22_415:
	v_cmp_ne_u32_e32 vcc, 20, v0
	s_and_saveexec_b64 s[10:11], vcc
	s_cbranch_execz .LBB22_419
; %bb.416:
	v_mov_b32_e32 v53, 0
	v_add_u32_e32 v52, 0xc8, v1
	v_add3_u32 v53, v1, v53, 8
	s_mov_b64 s[12:13], 0
	v_mov_b32_e32 v54, v0
.LBB22_417:                             ; =>This Inner Loop Header: Depth=1
	buffer_load_dword v56, v53, s[0:3], 0 offen
	buffer_load_dword v57, v53, s[0:3], 0 offen offset:4
	ds_read_b64 v[58:59], v52
	v_add_u32_e32 v54, 1, v54
	v_cmp_lt_u32_e32 vcc, 19, v54
	v_add_u32_e32 v52, 8, v52
	v_add_u32_e32 v53, 8, v53
	s_or_b64 s[12:13], vcc, s[12:13]
	s_waitcnt vmcnt(0) lgkmcnt(0)
	v_fmac_f64_e32 v[48:49], v[56:57], v[58:59]
	s_andn2_b64 exec, exec, s[12:13]
	s_cbranch_execnz .LBB22_417
; %bb.418:
	s_or_b64 exec, exec, s[12:13]
.LBB22_419:
	s_or_b64 exec, exec, s[10:11]
	v_mov_b32_e32 v52, 0
	ds_read_b64 v[52:53], v52 offset:168
	s_waitcnt lgkmcnt(0)
	v_mul_f64 v[48:49], v[48:49], v[52:53]
	buffer_store_dword v49, off, s[0:3], 0 offset:172
	buffer_store_dword v48, off, s[0:3], 0 offset:168
.LBB22_420:
	s_or_b64 exec, exec, s[8:9]
	buffer_load_dword v48, off, s[0:3], 0 offset:176
	buffer_load_dword v49, off, s[0:3], 0 offset:180
	v_cmp_ne_u32_e32 vcc, 22, v0
	s_waitcnt vmcnt(0)
	ds_write_b64 v50, v[48:49]
	s_waitcnt lgkmcnt(0)
	; wave barrier
	s_waitcnt lgkmcnt(0)
	s_and_saveexec_b64 s[8:9], vcc
	s_cbranch_execz .LBB22_430
; %bb.421:
	s_and_b64 vcc, exec, s[4:5]
	s_cbranch_vccnz .LBB22_423
; %bb.422:
	buffer_load_dword v48, v51, s[0:3], 0 offen
	buffer_load_dword v49, v51, s[0:3], 0 offen offset:4
	ds_read_b64 v[52:53], v50
	s_waitcnt vmcnt(0) lgkmcnt(0)
	v_mul_f64 v[48:49], v[48:49], v[52:53]
	s_cbranch_execz .LBB22_424
	s_branch .LBB22_425
.LBB22_423:
                                        ; implicit-def: $vgpr48_vgpr49
.LBB22_424:
	ds_read_b64 v[48:49], v50
.LBB22_425:
	s_and_saveexec_b64 s[4:5], s[6:7]
	s_cbranch_execz .LBB22_429
; %bb.426:
	v_mov_b32_e32 v51, 0
	v_add_u32_e32 v50, 0xc8, v1
	v_add3_u32 v1, v1, v51, 8
	s_mov_b64 s[6:7], 0
.LBB22_427:                             ; =>This Inner Loop Header: Depth=1
	buffer_load_dword v52, v1, s[0:3], 0 offen
	buffer_load_dword v53, v1, s[0:3], 0 offen offset:4
	ds_read_b64 v[54:55], v50
	v_add_u32_e32 v0, 1, v0
	v_cmp_lt_u32_e32 vcc, 20, v0
	v_add_u32_e32 v50, 8, v50
	v_add_u32_e32 v1, 8, v1
	s_or_b64 s[6:7], vcc, s[6:7]
	s_waitcnt vmcnt(0) lgkmcnt(0)
	v_fmac_f64_e32 v[48:49], v[52:53], v[54:55]
	s_andn2_b64 exec, exec, s[6:7]
	s_cbranch_execnz .LBB22_427
; %bb.428:
	s_or_b64 exec, exec, s[6:7]
.LBB22_429:
	s_or_b64 exec, exec, s[4:5]
	v_mov_b32_e32 v0, 0
	ds_read_b64 v[0:1], v0 offset:176
	s_waitcnt lgkmcnt(0)
	v_mul_f64 v[0:1], v[48:49], v[0:1]
	buffer_store_dword v1, off, s[0:3], 0 offset:180
	buffer_store_dword v0, off, s[0:3], 0 offset:176
.LBB22_430:
	s_or_b64 exec, exec, s[8:9]
.LBB22_431:
	buffer_load_dword v0, off, s[0:3], 0
	buffer_load_dword v1, off, s[0:3], 0 offset:4
	buffer_load_dword v48, off, s[0:3], 0 offset:8
	;; [unrolled: 1-line block ×15, first 2 shown]
	s_waitcnt vmcnt(14)
	global_store_dwordx2 v[2:3], v[0:1], off
	s_waitcnt vmcnt(13)
	global_store_dwordx2 v[4:5], v[48:49], off
	;; [unrolled: 2-line block ×8, first 2 shown]
	buffer_load_dword v1, off, s[0:3], 0 offset:68
	buffer_load_dword v0, off, s[0:3], 0 offset:64
	s_waitcnt vmcnt(0)
	global_store_dwordx2 v[38:39], v[0:1], off
	buffer_load_dword v0, off, s[0:3], 0 offset:72
	s_nop 0
	buffer_load_dword v1, off, s[0:3], 0 offset:76
	s_waitcnt vmcnt(0)
	global_store_dwordx2 v[22:23], v[0:1], off
	buffer_load_dword v0, off, s[0:3], 0 offset:80
	s_nop 0
	;; [unrolled: 5-line block ×14, first 2 shown]
	buffer_load_dword v1, off, s[0:3], 0 offset:180
	s_waitcnt vmcnt(0)
	global_store_dwordx2 v[12:13], v[0:1], off
.LBB22_432:
	s_endpgm
	.section	.rodata,"a",@progbits
	.p2align	6, 0x0
	.amdhsa_kernel _ZN9rocsolver6v33100L18trti2_kernel_smallILi23EdPdEEv13rocblas_fill_17rocblas_diagonal_T1_iil
		.amdhsa_group_segment_fixed_size 376
		.amdhsa_private_segment_fixed_size 192
		.amdhsa_kernarg_size 32
		.amdhsa_user_sgpr_count 8
		.amdhsa_user_sgpr_private_segment_buffer 1
		.amdhsa_user_sgpr_dispatch_ptr 0
		.amdhsa_user_sgpr_queue_ptr 0
		.amdhsa_user_sgpr_kernarg_segment_ptr 1
		.amdhsa_user_sgpr_dispatch_id 0
		.amdhsa_user_sgpr_flat_scratch_init 1
		.amdhsa_user_sgpr_kernarg_preload_length 0
		.amdhsa_user_sgpr_kernarg_preload_offset 0
		.amdhsa_user_sgpr_private_segment_size 0
		.amdhsa_uses_dynamic_stack 0
		.amdhsa_system_sgpr_private_segment_wavefront_offset 1
		.amdhsa_system_sgpr_workgroup_id_x 1
		.amdhsa_system_sgpr_workgroup_id_y 0
		.amdhsa_system_sgpr_workgroup_id_z 0
		.amdhsa_system_sgpr_workgroup_info 0
		.amdhsa_system_vgpr_workitem_id 0
		.amdhsa_next_free_vgpr 78
		.amdhsa_next_free_sgpr 20
		.amdhsa_accum_offset 80
		.amdhsa_reserve_vcc 1
		.amdhsa_reserve_flat_scratch 0
		.amdhsa_float_round_mode_32 0
		.amdhsa_float_round_mode_16_64 0
		.amdhsa_float_denorm_mode_32 3
		.amdhsa_float_denorm_mode_16_64 3
		.amdhsa_dx10_clamp 1
		.amdhsa_ieee_mode 1
		.amdhsa_fp16_overflow 0
		.amdhsa_tg_split 0
		.amdhsa_exception_fp_ieee_invalid_op 0
		.amdhsa_exception_fp_denorm_src 0
		.amdhsa_exception_fp_ieee_div_zero 0
		.amdhsa_exception_fp_ieee_overflow 0
		.amdhsa_exception_fp_ieee_underflow 0
		.amdhsa_exception_fp_ieee_inexact 0
		.amdhsa_exception_int_div_zero 0
	.end_amdhsa_kernel
	.section	.text._ZN9rocsolver6v33100L18trti2_kernel_smallILi23EdPdEEv13rocblas_fill_17rocblas_diagonal_T1_iil,"axG",@progbits,_ZN9rocsolver6v33100L18trti2_kernel_smallILi23EdPdEEv13rocblas_fill_17rocblas_diagonal_T1_iil,comdat
.Lfunc_end22:
	.size	_ZN9rocsolver6v33100L18trti2_kernel_smallILi23EdPdEEv13rocblas_fill_17rocblas_diagonal_T1_iil, .Lfunc_end22-_ZN9rocsolver6v33100L18trti2_kernel_smallILi23EdPdEEv13rocblas_fill_17rocblas_diagonal_T1_iil
                                        ; -- End function
	.section	.AMDGPU.csdata,"",@progbits
; Kernel info:
; codeLenInByte = 13264
; NumSgprs: 24
; NumVgprs: 78
; NumAgprs: 0
; TotalNumVgprs: 78
; ScratchSize: 192
; MemoryBound: 0
; FloatMode: 240
; IeeeMode: 1
; LDSByteSize: 376 bytes/workgroup (compile time only)
; SGPRBlocks: 2
; VGPRBlocks: 9
; NumSGPRsForWavesPerEU: 24
; NumVGPRsForWavesPerEU: 78
; AccumOffset: 80
; Occupancy: 6
; WaveLimiterHint : 0
; COMPUTE_PGM_RSRC2:SCRATCH_EN: 1
; COMPUTE_PGM_RSRC2:USER_SGPR: 8
; COMPUTE_PGM_RSRC2:TRAP_HANDLER: 0
; COMPUTE_PGM_RSRC2:TGID_X_EN: 1
; COMPUTE_PGM_RSRC2:TGID_Y_EN: 0
; COMPUTE_PGM_RSRC2:TGID_Z_EN: 0
; COMPUTE_PGM_RSRC2:TIDIG_COMP_CNT: 0
; COMPUTE_PGM_RSRC3_GFX90A:ACCUM_OFFSET: 19
; COMPUTE_PGM_RSRC3_GFX90A:TG_SPLIT: 0
	.section	.text._ZN9rocsolver6v33100L18trti2_kernel_smallILi24EdPdEEv13rocblas_fill_17rocblas_diagonal_T1_iil,"axG",@progbits,_ZN9rocsolver6v33100L18trti2_kernel_smallILi24EdPdEEv13rocblas_fill_17rocblas_diagonal_T1_iil,comdat
	.globl	_ZN9rocsolver6v33100L18trti2_kernel_smallILi24EdPdEEv13rocblas_fill_17rocblas_diagonal_T1_iil ; -- Begin function _ZN9rocsolver6v33100L18trti2_kernel_smallILi24EdPdEEv13rocblas_fill_17rocblas_diagonal_T1_iil
	.p2align	8
	.type	_ZN9rocsolver6v33100L18trti2_kernel_smallILi24EdPdEEv13rocblas_fill_17rocblas_diagonal_T1_iil,@function
_ZN9rocsolver6v33100L18trti2_kernel_smallILi24EdPdEEv13rocblas_fill_17rocblas_diagonal_T1_iil: ; @_ZN9rocsolver6v33100L18trti2_kernel_smallILi24EdPdEEv13rocblas_fill_17rocblas_diagonal_T1_iil
; %bb.0:
	s_add_u32 s0, s0, s9
	s_addc_u32 s1, s1, 0
	v_cmp_gt_u32_e32 vcc, 24, v0
	s_and_saveexec_b64 s[6:7], vcc
	s_cbranch_execz .LBB23_452
; %bb.1:
	s_load_dwordx8 s[12:19], s[4:5], 0x0
	s_ashr_i32 s6, s8, 31
	v_lshlrev_b32_e32 v1, 3, v0
	s_waitcnt lgkmcnt(0)
	s_mul_i32 s7, s8, s19
	s_mul_hi_u32 s9, s8, s18
	s_add_i32 s7, s9, s7
	s_mul_i32 s6, s6, s18
	s_add_i32 s7, s7, s6
	s_mul_i32 s6, s8, s18
	s_ashr_i32 s5, s16, 31
	s_lshl_b64 s[6:7], s[6:7], 3
	s_mov_b32 s4, s16
	s_add_u32 s6, s14, s6
	s_addc_u32 s7, s15, s7
	s_lshl_b64 s[4:5], s[4:5], 3
	s_add_u32 s4, s6, s4
	s_addc_u32 s5, s7, s5
	v_mov_b32_e32 v3, s5
	v_add_co_u32_e32 v2, vcc, s4, v1
	s_ashr_i32 s7, s17, 31
	s_mov_b32 s6, s17
	v_addc_co_u32_e32 v3, vcc, 0, v3, vcc
	s_lshl_b64 s[6:7], s[6:7], 3
	v_add_co_u32_e32 v4, vcc, s6, v2
	s_add_i32 s6, s17, s17
	v_add_u32_e32 v8, s6, v0
	v_mov_b32_e32 v5, s7
	v_ashrrev_i32_e32 v9, 31, v8
	global_load_dwordx2 v[42:43], v1, s[4:5]
	v_addc_co_u32_e32 v5, vcc, v3, v5, vcc
	v_lshlrev_b64 v[6:7], 3, v[8:9]
	v_mov_b32_e32 v9, s5
	v_add_co_u32_e32 v6, vcc, s4, v6
	v_addc_co_u32_e32 v7, vcc, v9, v7, vcc
	global_load_dwordx2 v[44:45], v[4:5], off
	global_load_dwordx2 v[50:51], v[6:7], off
	v_add_u32_e32 v10, s17, v8
	v_ashrrev_i32_e32 v11, 31, v10
	v_lshlrev_b64 v[8:9], 3, v[10:11]
	v_add_u32_e32 v12, s17, v10
	v_mov_b32_e32 v11, s5
	v_add_co_u32_e32 v8, vcc, s4, v8
	v_ashrrev_i32_e32 v13, 31, v12
	v_addc_co_u32_e32 v9, vcc, v11, v9, vcc
	v_lshlrev_b64 v[10:11], 3, v[12:13]
	v_add_u32_e32 v14, s17, v12
	v_mov_b32_e32 v13, s5
	v_add_co_u32_e32 v10, vcc, s4, v10
	v_ashrrev_i32_e32 v15, 31, v14
	v_addc_co_u32_e32 v11, vcc, v13, v11, vcc
	;; [unrolled: 6-line block ×12, first 2 shown]
	v_lshlrev_b64 v[32:33], 3, v[34:35]
	v_add_u32_e32 v36, s17, v34
	v_mov_b32_e32 v35, s5
	v_add_co_u32_e32 v32, vcc, s4, v32
	v_ashrrev_i32_e32 v37, 31, v36
	v_add_u32_e32 v38, s17, v36
	v_addc_co_u32_e32 v33, vcc, v35, v33, vcc
	v_lshlrev_b64 v[34:35], 3, v[36:37]
	v_add_u32_e32 v40, s17, v38
	v_mov_b32_e32 v37, s5
	v_add_co_u32_e32 v34, vcc, s4, v34
	v_ashrrev_i32_e32 v39, 31, v38
	v_add_u32_e32 v46, s17, v40
	v_addc_co_u32_e32 v35, vcc, v37, v35, vcc
	;; [unrolled: 7-line block ×3, first 2 shown]
	v_lshlrev_b64 v[38:39], 3, v[40:41]
	v_add_u32_e32 v54, s17, v52
	v_mov_b32_e32 v41, s5
	v_add_co_u32_e32 v38, vcc, s4, v38
	v_add_u32_e32 v40, s17, v54
	v_addc_co_u32_e32 v39, vcc, v41, v39, vcc
	v_ashrrev_i32_e32 v41, 31, v40
	v_lshlrev_b64 v[40:41], 3, v[40:41]
	v_mov_b32_e32 v47, s5
	v_add_co_u32_e32 v40, vcc, s4, v40
	v_addc_co_u32_e32 v41, vcc, v47, v41, vcc
	v_ashrrev_i32_e32 v47, 31, v46
	global_load_dwordx2 v[56:57], v[40:41], off
	s_waitcnt vmcnt(3)
	buffer_store_dword v43, off, s[0:3], 0 offset:4
	buffer_store_dword v42, off, s[0:3], 0
	v_lshlrev_b64 v[42:43], 3, v[46:47]
	global_load_dwordx2 v[58:59], v[8:9], off
	global_load_dwordx2 v[60:61], v[10:11], off
	s_waitcnt vmcnt(6)
	buffer_store_dword v45, off, s[0:3], 0 offset:12
	buffer_store_dword v44, off, s[0:3], 0 offset:8
	v_mov_b32_e32 v44, s5
	v_add_co_u32_e32 v42, vcc, s4, v42
	v_ashrrev_i32_e32 v49, 31, v48
	v_addc_co_u32_e32 v43, vcc, v44, v43, vcc
	v_lshlrev_b64 v[44:45], 3, v[48:49]
	v_mov_b32_e32 v46, s5
	v_add_co_u32_e32 v44, vcc, s4, v44
	v_ashrrev_i32_e32 v53, 31, v52
	v_addc_co_u32_e32 v45, vcc, v46, v45, vcc
	v_lshlrev_b64 v[46:47], 3, v[52:53]
	;; [unrolled: 5-line block ×3, first 2 shown]
	v_mov_b32_e32 v88, s5
	v_add_co_u32_e32 v48, vcc, s4, v48
	global_load_dwordx2 v[62:63], v[12:13], off
	global_load_dwordx2 v[64:65], v[14:15], off
	;; [unrolled: 1-line block ×15, first 2 shown]
	v_addc_co_u32_e32 v49, vcc, v88, v49, vcc
	global_load_dwordx2 v[88:89], v[44:45], off
	global_load_dwordx2 v[90:91], v[46:47], off
	s_cmpk_lg_i32 s13, 0x84
	s_waitcnt vmcnt(24)
	buffer_store_dword v51, off, s[0:3], 0 offset:20
	buffer_store_dword v50, off, s[0:3], 0 offset:16
	global_load_dwordx2 v[50:51], v[48:49], off
	s_waitcnt vmcnt(23)
	buffer_store_dword v59, off, s[0:3], 0 offset:28
	buffer_store_dword v58, off, s[0:3], 0 offset:24
	s_waitcnt vmcnt(24)
	buffer_store_dword v61, off, s[0:3], 0 offset:36
	buffer_store_dword v60, off, s[0:3], 0 offset:32
	;; [unrolled: 3-line block ×20, first 2 shown]
	buffer_store_dword v56, off, s[0:3], 0 offset:184
	buffer_store_dword v57, off, s[0:3], 0 offset:188
	v_mov_b32_e32 v50, 0
	v_mov_b32_e32 v74, 0
	s_cselect_b64 s[8:9], -1, 0
	s_cmpk_eq_i32 s13, 0x84
	v_mov_b32_e32 v51, 0xbff00000
	s_cbranch_scc1 .LBB23_3
; %bb.2:
	v_lshl_add_u32 v60, v0, 3, v74
	buffer_load_dword v50, v60, s[0:3], 0 offen
	buffer_load_dword v51, v60, s[0:3], 0 offen offset:4
	s_waitcnt vmcnt(0)
	v_div_scale_f64 v[52:53], s[4:5], v[50:51], v[50:51], 1.0
	v_rcp_f64_e32 v[54:55], v[52:53]
	v_div_scale_f64 v[56:57], vcc, 1.0, v[50:51], 1.0
	v_fma_f64 v[58:59], -v[52:53], v[54:55], 1.0
	v_fmac_f64_e32 v[54:55], v[54:55], v[58:59]
	v_fma_f64 v[58:59], -v[52:53], v[54:55], 1.0
	v_fmac_f64_e32 v[54:55], v[54:55], v[58:59]
	v_mul_f64 v[58:59], v[56:57], v[54:55]
	v_fma_f64 v[52:53], -v[52:53], v[58:59], v[56:57]
	v_div_fmas_f64 v[52:53], v[52:53], v[54:55], v[58:59]
	v_div_fixup_f64 v[50:51], v[52:53], v[50:51], 1.0
	buffer_store_dword v50, v60, s[0:3], 0 offen
	buffer_store_dword v51, v60, s[0:3], 0 offen offset:4
	v_xor_b32_e32 v51, 0x80000000, v51
.LBB23_3:
	s_cmpk_eq_i32 s12, 0x79
	v_add_u32_e32 v52, 0xc0, v1
	v_add_u32_e32 v53, 0, v1
	s_mov_b64 s[4:5], -1
	ds_write_b64 v1, v[50:51]
	s_cbranch_scc1 .LBB23_227
; %bb.4:
	buffer_load_dword v50, off, s[0:3], 0 offset:176
	buffer_load_dword v51, off, s[0:3], 0 offset:180
	v_cmp_eq_u32_e64 s[4:5], 23, v0
	s_waitcnt vmcnt(0)
	ds_write_b64 v52, v[50:51]
	s_waitcnt lgkmcnt(0)
	; wave barrier
	s_waitcnt lgkmcnt(0)
	s_and_saveexec_b64 s[6:7], s[4:5]
	s_cbranch_execz .LBB23_10
; %bb.5:
	s_and_b64 vcc, exec, s[8:9]
	s_cbranch_vccz .LBB23_7
; %bb.6:
	buffer_load_dword v50, v53, s[0:3], 0 offen
	buffer_load_dword v51, v53, s[0:3], 0 offen offset:4
	ds_read_b64 v[54:55], v52
	s_waitcnt vmcnt(0) lgkmcnt(0)
	v_mul_f64 v[50:51], v[50:51], v[54:55]
	s_cbranch_execz .LBB23_8
	s_branch .LBB23_9
.LBB23_7:
                                        ; implicit-def: $vgpr50_vgpr51
.LBB23_8:
	ds_read_b64 v[50:51], v52
.LBB23_9:
	v_mov_b32_e32 v54, 0
	ds_read_b64 v[54:55], v54 offset:176
	s_waitcnt lgkmcnt(0)
	v_mul_f64 v[50:51], v[50:51], v[54:55]
	buffer_store_dword v51, off, s[0:3], 0 offset:180
	buffer_store_dword v50, off, s[0:3], 0 offset:176
.LBB23_10:
	s_or_b64 exec, exec, s[6:7]
	buffer_load_dword v50, off, s[0:3], 0 offset:168
	buffer_load_dword v51, off, s[0:3], 0 offset:172
	v_or_b32_e32 v54, 8, v74
	v_add_u32_e32 v55, 16, v74
	v_add_u32_e32 v56, 24, v74
	;; [unrolled: 1-line block ×20, first 2 shown]
	v_cmp_lt_u32_e64 s[6:7], 21, v0
	s_waitcnt vmcnt(0)
	ds_write_b64 v52, v[50:51]
	s_waitcnt lgkmcnt(0)
	; wave barrier
	s_waitcnt lgkmcnt(0)
	s_and_saveexec_b64 s[10:11], s[6:7]
	s_cbranch_execz .LBB23_16
; %bb.11:
	s_andn2_b64 vcc, exec, s[8:9]
	s_cbranch_vccnz .LBB23_13
; %bb.12:
	buffer_load_dword v50, v53, s[0:3], 0 offen
	buffer_load_dword v51, v53, s[0:3], 0 offen offset:4
	ds_read_b64 v[76:77], v52
	s_waitcnt vmcnt(0) lgkmcnt(0)
	v_mul_f64 v[50:51], v[50:51], v[76:77]
	s_cbranch_execz .LBB23_14
	s_branch .LBB23_15
.LBB23_13:
                                        ; implicit-def: $vgpr50_vgpr51
.LBB23_14:
	ds_read_b64 v[50:51], v52
.LBB23_15:
	buffer_load_dword v80, off, s[0:3], 0 offset:176
	buffer_load_dword v81, off, s[0:3], 0 offset:180
	v_mov_b32_e32 v75, 0
	ds_read2_b64 v[76:79], v75 offset0:21 offset1:46
	s_waitcnt vmcnt(0) lgkmcnt(0)
	v_fma_f64 v[78:79], v[80:81], v[78:79], v[50:51]
	v_cndmask_b32_e64 v51, v51, v79, s[4:5]
	v_cndmask_b32_e64 v50, v50, v78, s[4:5]
	v_mul_f64 v[50:51], v[50:51], v[76:77]
	buffer_store_dword v51, off, s[0:3], 0 offset:172
	buffer_store_dword v50, off, s[0:3], 0 offset:168
.LBB23_16:
	s_or_b64 exec, exec, s[10:11]
	buffer_load_dword v50, off, s[0:3], 0 offset:160
	buffer_load_dword v51, off, s[0:3], 0 offset:164
	v_cmp_lt_u32_e64 s[4:5], 20, v0
	s_waitcnt vmcnt(0)
	ds_write_b64 v52, v[50:51]
	s_waitcnt lgkmcnt(0)
	; wave barrier
	s_waitcnt lgkmcnt(0)
	s_and_saveexec_b64 s[10:11], s[4:5]
	s_cbranch_execz .LBB23_26
; %bb.17:
	s_andn2_b64 vcc, exec, s[8:9]
	s_cbranch_vccnz .LBB23_19
; %bb.18:
	buffer_load_dword v50, v53, s[0:3], 0 offen
	buffer_load_dword v51, v53, s[0:3], 0 offen offset:4
	ds_read_b64 v[76:77], v52
	s_waitcnt vmcnt(0) lgkmcnt(0)
	v_mul_f64 v[50:51], v[50:51], v[76:77]
	s_cbranch_execz .LBB23_20
	s_branch .LBB23_21
.LBB23_19:
                                        ; implicit-def: $vgpr50_vgpr51
.LBB23_20:
	ds_read_b64 v[50:51], v52
.LBB23_21:
	s_and_saveexec_b64 s[12:13], s[6:7]
	s_cbranch_execz .LBB23_25
; %bb.22:
	v_subrev_u32_e32 v75, 21, v0
	s_movk_i32 s14, 0x168
	s_mov_b64 s[6:7], 0
.LBB23_23:                              ; =>This Inner Loop Header: Depth=1
	buffer_load_dword v76, v74, s[0:3], 0 offen
	buffer_load_dword v77, v74, s[0:3], 0 offen offset:4
	v_mov_b32_e32 v78, s14
	ds_read_b64 v[78:79], v78
	v_add_u32_e32 v75, -1, v75
	s_add_i32 s14, s14, 8
	v_cmp_eq_u32_e32 vcc, 0, v75
	v_add_u32_e32 v74, 8, v74
	s_or_b64 s[6:7], vcc, s[6:7]
	s_waitcnt vmcnt(0) lgkmcnt(0)
	v_fmac_f64_e32 v[50:51], v[76:77], v[78:79]
	s_andn2_b64 exec, exec, s[6:7]
	s_cbranch_execnz .LBB23_23
; %bb.24:
	s_or_b64 exec, exec, s[6:7]
.LBB23_25:
	s_or_b64 exec, exec, s[12:13]
	v_mov_b32_e32 v74, 0
	ds_read_b64 v[74:75], v74 offset:160
	s_waitcnt lgkmcnt(0)
	v_mul_f64 v[50:51], v[50:51], v[74:75]
	buffer_store_dword v51, off, s[0:3], 0 offset:164
	buffer_store_dword v50, off, s[0:3], 0 offset:160
.LBB23_26:
	s_or_b64 exec, exec, s[10:11]
	buffer_load_dword v50, off, s[0:3], 0 offset:152
	buffer_load_dword v51, off, s[0:3], 0 offset:156
	v_cmp_lt_u32_e64 s[6:7], 19, v0
	s_waitcnt vmcnt(0)
	ds_write_b64 v52, v[50:51]
	s_waitcnt lgkmcnt(0)
	; wave barrier
	s_waitcnt lgkmcnt(0)
	s_and_saveexec_b64 s[10:11], s[6:7]
	s_cbranch_execz .LBB23_36
; %bb.27:
	s_andn2_b64 vcc, exec, s[8:9]
	s_cbranch_vccnz .LBB23_29
; %bb.28:
	buffer_load_dword v50, v53, s[0:3], 0 offen
	buffer_load_dword v51, v53, s[0:3], 0 offen offset:4
	ds_read_b64 v[74:75], v52
	s_waitcnt vmcnt(0) lgkmcnt(0)
	v_mul_f64 v[50:51], v[50:51], v[74:75]
	s_cbranch_execz .LBB23_30
	s_branch .LBB23_31
.LBB23_29:
                                        ; implicit-def: $vgpr50_vgpr51
.LBB23_30:
	ds_read_b64 v[50:51], v52
.LBB23_31:
	s_and_saveexec_b64 s[12:13], s[4:5]
	s_cbranch_execz .LBB23_35
; %bb.32:
	v_subrev_u32_e32 v74, 20, v0
	s_movk_i32 s14, 0x160
	s_mov_b64 s[4:5], 0
.LBB23_33:                              ; =>This Inner Loop Header: Depth=1
	buffer_load_dword v76, v73, s[0:3], 0 offen
	buffer_load_dword v77, v73, s[0:3], 0 offen offset:4
	v_mov_b32_e32 v75, s14
	ds_read_b64 v[78:79], v75
	v_add_u32_e32 v74, -1, v74
	s_add_i32 s14, s14, 8
	v_cmp_eq_u32_e32 vcc, 0, v74
	v_add_u32_e32 v73, 8, v73
	s_or_b64 s[4:5], vcc, s[4:5]
	s_waitcnt vmcnt(0) lgkmcnt(0)
	v_fmac_f64_e32 v[50:51], v[76:77], v[78:79]
	s_andn2_b64 exec, exec, s[4:5]
	s_cbranch_execnz .LBB23_33
; %bb.34:
	s_or_b64 exec, exec, s[4:5]
.LBB23_35:
	s_or_b64 exec, exec, s[12:13]
	v_mov_b32_e32 v73, 0
	ds_read_b64 v[74:75], v73 offset:152
	s_waitcnt lgkmcnt(0)
	v_mul_f64 v[50:51], v[50:51], v[74:75]
	buffer_store_dword v51, off, s[0:3], 0 offset:156
	buffer_store_dword v50, off, s[0:3], 0 offset:152
.LBB23_36:
	;; [unrolled: 58-line block ×5, first 2 shown]
	s_or_b64 exec, exec, s[10:11]
	buffer_load_dword v50, off, s[0:3], 0 offset:120
	buffer_load_dword v51, off, s[0:3], 0 offset:124
	v_cmp_lt_u32_e64 s[6:7], 15, v0
	s_waitcnt vmcnt(0)
	ds_write_b64 v52, v[50:51]
	s_waitcnt lgkmcnt(0)
	; wave barrier
	s_waitcnt lgkmcnt(0)
	s_and_saveexec_b64 s[10:11], s[6:7]
	s_cbranch_execz .LBB23_76
; %bb.67:
	s_andn2_b64 vcc, exec, s[8:9]
	s_cbranch_vccnz .LBB23_69
; %bb.68:
	buffer_load_dword v50, v53, s[0:3], 0 offen
	buffer_load_dword v51, v53, s[0:3], 0 offen offset:4
	ds_read_b64 v[70:71], v52
	s_waitcnt vmcnt(0) lgkmcnt(0)
	v_mul_f64 v[50:51], v[50:51], v[70:71]
	s_cbranch_execz .LBB23_70
	s_branch .LBB23_71
.LBB23_69:
                                        ; implicit-def: $vgpr50_vgpr51
.LBB23_70:
	ds_read_b64 v[50:51], v52
.LBB23_71:
	s_and_saveexec_b64 s[12:13], s[4:5]
	s_cbranch_execz .LBB23_75
; %bb.72:
	v_add_u32_e32 v70, -16, v0
	s_movk_i32 s14, 0x140
	s_mov_b64 s[4:5], 0
.LBB23_73:                              ; =>This Inner Loop Header: Depth=1
	buffer_load_dword v72, v69, s[0:3], 0 offen
	buffer_load_dword v73, v69, s[0:3], 0 offen offset:4
	v_mov_b32_e32 v71, s14
	ds_read_b64 v[74:75], v71
	v_add_u32_e32 v70, -1, v70
	s_add_i32 s14, s14, 8
	v_cmp_eq_u32_e32 vcc, 0, v70
	v_add_u32_e32 v69, 8, v69
	s_or_b64 s[4:5], vcc, s[4:5]
	s_waitcnt vmcnt(0) lgkmcnt(0)
	v_fmac_f64_e32 v[50:51], v[72:73], v[74:75]
	s_andn2_b64 exec, exec, s[4:5]
	s_cbranch_execnz .LBB23_73
; %bb.74:
	s_or_b64 exec, exec, s[4:5]
.LBB23_75:
	s_or_b64 exec, exec, s[12:13]
	v_mov_b32_e32 v69, 0
	ds_read_b64 v[70:71], v69 offset:120
	s_waitcnt lgkmcnt(0)
	v_mul_f64 v[50:51], v[50:51], v[70:71]
	buffer_store_dword v51, off, s[0:3], 0 offset:124
	buffer_store_dword v50, off, s[0:3], 0 offset:120
.LBB23_76:
	s_or_b64 exec, exec, s[10:11]
	buffer_load_dword v50, off, s[0:3], 0 offset:112
	buffer_load_dword v51, off, s[0:3], 0 offset:116
	v_cmp_lt_u32_e64 s[4:5], 14, v0
	s_waitcnt vmcnt(0)
	ds_write_b64 v52, v[50:51]
	s_waitcnt lgkmcnt(0)
	; wave barrier
	s_waitcnt lgkmcnt(0)
	s_and_saveexec_b64 s[10:11], s[4:5]
	s_cbranch_execz .LBB23_86
; %bb.77:
	s_andn2_b64 vcc, exec, s[8:9]
	s_cbranch_vccnz .LBB23_79
; %bb.78:
	buffer_load_dword v50, v53, s[0:3], 0 offen
	buffer_load_dword v51, v53, s[0:3], 0 offen offset:4
	ds_read_b64 v[70:71], v52
	s_waitcnt vmcnt(0) lgkmcnt(0)
	v_mul_f64 v[50:51], v[50:51], v[70:71]
	s_cbranch_execz .LBB23_80
	s_branch .LBB23_81
.LBB23_79:
                                        ; implicit-def: $vgpr50_vgpr51
.LBB23_80:
	ds_read_b64 v[50:51], v52
.LBB23_81:
	s_and_saveexec_b64 s[12:13], s[6:7]
	s_cbranch_execz .LBB23_85
; %bb.82:
	v_add_u32_e32 v69, -15, v0
	s_movk_i32 s14, 0x138
	s_mov_b64 s[6:7], 0
.LBB23_83:                              ; =>This Inner Loop Header: Depth=1
	buffer_load_dword v70, v68, s[0:3], 0 offen
	buffer_load_dword v71, v68, s[0:3], 0 offen offset:4
	v_mov_b32_e32 v72, s14
	ds_read_b64 v[72:73], v72
	v_add_u32_e32 v69, -1, v69
	s_add_i32 s14, s14, 8
	v_cmp_eq_u32_e32 vcc, 0, v69
	v_add_u32_e32 v68, 8, v68
	s_or_b64 s[6:7], vcc, s[6:7]
	s_waitcnt vmcnt(0) lgkmcnt(0)
	v_fmac_f64_e32 v[50:51], v[70:71], v[72:73]
	s_andn2_b64 exec, exec, s[6:7]
	s_cbranch_execnz .LBB23_83
; %bb.84:
	s_or_b64 exec, exec, s[6:7]
.LBB23_85:
	s_or_b64 exec, exec, s[12:13]
	v_mov_b32_e32 v68, 0
	ds_read_b64 v[68:69], v68 offset:112
	s_waitcnt lgkmcnt(0)
	v_mul_f64 v[50:51], v[50:51], v[68:69]
	buffer_store_dword v51, off, s[0:3], 0 offset:116
	buffer_store_dword v50, off, s[0:3], 0 offset:112
.LBB23_86:
	;; [unrolled: 58-line block ×3, first 2 shown]
	s_or_b64 exec, exec, s[10:11]
	buffer_load_dword v50, off, s[0:3], 0 offset:96
	buffer_load_dword v51, off, s[0:3], 0 offset:100
	v_cmp_lt_u32_e64 s[4:5], 12, v0
	s_waitcnt vmcnt(0)
	ds_write_b64 v52, v[50:51]
	s_waitcnt lgkmcnt(0)
	; wave barrier
	s_waitcnt lgkmcnt(0)
	s_and_saveexec_b64 s[10:11], s[4:5]
	s_cbranch_execz .LBB23_106
; %bb.97:
	s_andn2_b64 vcc, exec, s[8:9]
	s_cbranch_vccnz .LBB23_99
; %bb.98:
	buffer_load_dword v50, v53, s[0:3], 0 offen
	buffer_load_dword v51, v53, s[0:3], 0 offen offset:4
	ds_read_b64 v[68:69], v52
	s_waitcnt vmcnt(0) lgkmcnt(0)
	v_mul_f64 v[50:51], v[50:51], v[68:69]
	s_cbranch_execz .LBB23_100
	s_branch .LBB23_101
.LBB23_99:
                                        ; implicit-def: $vgpr50_vgpr51
.LBB23_100:
	ds_read_b64 v[50:51], v52
.LBB23_101:
	s_and_saveexec_b64 s[12:13], s[6:7]
	s_cbranch_execz .LBB23_105
; %bb.102:
	v_add_u32_e32 v67, -13, v0
	s_movk_i32 s14, 0x128
	s_mov_b64 s[6:7], 0
.LBB23_103:                             ; =>This Inner Loop Header: Depth=1
	buffer_load_dword v68, v66, s[0:3], 0 offen
	buffer_load_dword v69, v66, s[0:3], 0 offen offset:4
	v_mov_b32_e32 v70, s14
	ds_read_b64 v[70:71], v70
	v_add_u32_e32 v67, -1, v67
	s_add_i32 s14, s14, 8
	v_cmp_eq_u32_e32 vcc, 0, v67
	v_add_u32_e32 v66, 8, v66
	s_or_b64 s[6:7], vcc, s[6:7]
	s_waitcnt vmcnt(0) lgkmcnt(0)
	v_fmac_f64_e32 v[50:51], v[68:69], v[70:71]
	s_andn2_b64 exec, exec, s[6:7]
	s_cbranch_execnz .LBB23_103
; %bb.104:
	s_or_b64 exec, exec, s[6:7]
.LBB23_105:
	s_or_b64 exec, exec, s[12:13]
	v_mov_b32_e32 v66, 0
	ds_read_b64 v[66:67], v66 offset:96
	s_waitcnt lgkmcnt(0)
	v_mul_f64 v[50:51], v[50:51], v[66:67]
	buffer_store_dword v51, off, s[0:3], 0 offset:100
	buffer_store_dword v50, off, s[0:3], 0 offset:96
.LBB23_106:
	s_or_b64 exec, exec, s[10:11]
	buffer_load_dword v50, off, s[0:3], 0 offset:88
	buffer_load_dword v51, off, s[0:3], 0 offset:92
	v_cmp_lt_u32_e64 s[6:7], 11, v0
	s_waitcnt vmcnt(0)
	ds_write_b64 v52, v[50:51]
	s_waitcnt lgkmcnt(0)
	; wave barrier
	s_waitcnt lgkmcnt(0)
	s_and_saveexec_b64 s[10:11], s[6:7]
	s_cbranch_execz .LBB23_116
; %bb.107:
	s_andn2_b64 vcc, exec, s[8:9]
	s_cbranch_vccnz .LBB23_109
; %bb.108:
	buffer_load_dword v50, v53, s[0:3], 0 offen
	buffer_load_dword v51, v53, s[0:3], 0 offen offset:4
	ds_read_b64 v[66:67], v52
	s_waitcnt vmcnt(0) lgkmcnt(0)
	v_mul_f64 v[50:51], v[50:51], v[66:67]
	s_cbranch_execz .LBB23_110
	s_branch .LBB23_111
.LBB23_109:
                                        ; implicit-def: $vgpr50_vgpr51
.LBB23_110:
	ds_read_b64 v[50:51], v52
.LBB23_111:
	s_and_saveexec_b64 s[12:13], s[4:5]
	s_cbranch_execz .LBB23_115
; %bb.112:
	v_add_u32_e32 v66, -12, v0
	s_movk_i32 s14, 0x120
	s_mov_b64 s[4:5], 0
.LBB23_113:                             ; =>This Inner Loop Header: Depth=1
	buffer_load_dword v68, v65, s[0:3], 0 offen
	buffer_load_dword v69, v65, s[0:3], 0 offen offset:4
	v_mov_b32_e32 v67, s14
	ds_read_b64 v[70:71], v67
	v_add_u32_e32 v66, -1, v66
	s_add_i32 s14, s14, 8
	v_cmp_eq_u32_e32 vcc, 0, v66
	v_add_u32_e32 v65, 8, v65
	s_or_b64 s[4:5], vcc, s[4:5]
	s_waitcnt vmcnt(0) lgkmcnt(0)
	v_fmac_f64_e32 v[50:51], v[68:69], v[70:71]
	s_andn2_b64 exec, exec, s[4:5]
	s_cbranch_execnz .LBB23_113
; %bb.114:
	s_or_b64 exec, exec, s[4:5]
.LBB23_115:
	s_or_b64 exec, exec, s[12:13]
	v_mov_b32_e32 v65, 0
	ds_read_b64 v[66:67], v65 offset:88
	s_waitcnt lgkmcnt(0)
	v_mul_f64 v[50:51], v[50:51], v[66:67]
	buffer_store_dword v51, off, s[0:3], 0 offset:92
	buffer_store_dword v50, off, s[0:3], 0 offset:88
.LBB23_116:
	;; [unrolled: 58-line block ×12, first 2 shown]
	s_or_b64 exec, exec, s[10:11]
	buffer_load_dword v50, off, s[0:3], 0
	buffer_load_dword v51, off, s[0:3], 0 offset:4
	v_cmp_ne_u32_e32 vcc, 0, v0
	s_waitcnt vmcnt(0)
	ds_write_b64 v52, v[50:51]
	s_waitcnt lgkmcnt(0)
	; wave barrier
	s_waitcnt lgkmcnt(0)
	s_and_saveexec_b64 s[4:5], vcc
	s_cbranch_execz .LBB23_226
; %bb.217:
	s_andn2_b64 vcc, exec, s[8:9]
	s_cbranch_vccnz .LBB23_219
; %bb.218:
	buffer_load_dword v50, v53, s[0:3], 0 offen
	buffer_load_dword v51, v53, s[0:3], 0 offen offset:4
	ds_read_b64 v[56:57], v52
	s_waitcnt vmcnt(0) lgkmcnt(0)
	v_mul_f64 v[50:51], v[50:51], v[56:57]
	s_cbranch_execz .LBB23_220
	s_branch .LBB23_221
.LBB23_219:
                                        ; implicit-def: $vgpr50_vgpr51
.LBB23_220:
	ds_read_b64 v[50:51], v52
.LBB23_221:
	s_and_saveexec_b64 s[10:11], s[6:7]
	s_cbranch_execz .LBB23_225
; %bb.222:
	v_add_u32_e32 v55, -1, v0
	s_movk_i32 s12, 0xc8
	s_mov_b64 s[6:7], 0
.LBB23_223:                             ; =>This Inner Loop Header: Depth=1
	buffer_load_dword v56, v54, s[0:3], 0 offen
	buffer_load_dword v57, v54, s[0:3], 0 offen offset:4
	v_mov_b32_e32 v58, s12
	ds_read_b64 v[58:59], v58
	v_add_u32_e32 v55, -1, v55
	s_add_i32 s12, s12, 8
	v_cmp_eq_u32_e32 vcc, 0, v55
	v_add_u32_e32 v54, 8, v54
	s_or_b64 s[6:7], vcc, s[6:7]
	s_waitcnt vmcnt(0) lgkmcnt(0)
	v_fmac_f64_e32 v[50:51], v[56:57], v[58:59]
	s_andn2_b64 exec, exec, s[6:7]
	s_cbranch_execnz .LBB23_223
; %bb.224:
	s_or_b64 exec, exec, s[6:7]
.LBB23_225:
	s_or_b64 exec, exec, s[10:11]
	v_mov_b32_e32 v54, 0
	ds_read_b64 v[54:55], v54
	s_waitcnt lgkmcnt(0)
	v_mul_f64 v[50:51], v[50:51], v[54:55]
	buffer_store_dword v51, off, s[0:3], 0 offset:4
	buffer_store_dword v50, off, s[0:3], 0
.LBB23_226:
	s_or_b64 exec, exec, s[4:5]
	s_mov_b64 s[4:5], 0
.LBB23_227:
	s_and_b64 vcc, exec, s[4:5]
	s_cbranch_vccz .LBB23_451
; %bb.228:
	buffer_load_dword v50, off, s[0:3], 0 offset:8
	buffer_load_dword v51, off, s[0:3], 0 offset:12
	v_cmp_eq_u32_e64 s[6:7], 0, v0
	s_waitcnt vmcnt(0)
	ds_write_b64 v52, v[50:51]
	s_waitcnt lgkmcnt(0)
	; wave barrier
	s_waitcnt lgkmcnt(0)
	s_and_saveexec_b64 s[4:5], s[6:7]
	s_cbranch_execz .LBB23_234
; %bb.229:
	s_and_b64 vcc, exec, s[8:9]
	s_cbranch_vccz .LBB23_231
; %bb.230:
	buffer_load_dword v50, v53, s[0:3], 0 offen
	buffer_load_dword v51, v53, s[0:3], 0 offen offset:4
	ds_read_b64 v[54:55], v52
	s_waitcnt vmcnt(0) lgkmcnt(0)
	v_mul_f64 v[50:51], v[50:51], v[54:55]
	s_cbranch_execz .LBB23_232
	s_branch .LBB23_233
.LBB23_231:
                                        ; implicit-def: $vgpr50_vgpr51
.LBB23_232:
	ds_read_b64 v[50:51], v52
.LBB23_233:
	v_mov_b32_e32 v54, 0
	ds_read_b64 v[54:55], v54 offset:8
	s_waitcnt lgkmcnt(0)
	v_mul_f64 v[50:51], v[50:51], v[54:55]
	buffer_store_dword v51, off, s[0:3], 0 offset:12
	buffer_store_dword v50, off, s[0:3], 0 offset:8
.LBB23_234:
	s_or_b64 exec, exec, s[4:5]
	buffer_load_dword v50, off, s[0:3], 0 offset:16
	buffer_load_dword v51, off, s[0:3], 0 offset:20
	v_cndmask_b32_e64 v54, 0, 1, s[8:9]
	v_cmp_gt_u32_e32 vcc, 2, v0
	v_cmp_ne_u32_e64 s[4:5], 1, v54
	s_waitcnt vmcnt(0)
	ds_write_b64 v52, v[50:51]
	s_waitcnt lgkmcnt(0)
	; wave barrier
	s_waitcnt lgkmcnt(0)
	s_and_saveexec_b64 s[8:9], vcc
	s_cbranch_execz .LBB23_242
; %bb.235:
	s_and_b64 vcc, exec, s[4:5]
	s_cbranch_vccnz .LBB23_237
; %bb.236:
	buffer_load_dword v50, v53, s[0:3], 0 offen
	buffer_load_dword v51, v53, s[0:3], 0 offen offset:4
	ds_read_b64 v[54:55], v52
	s_waitcnt vmcnt(0) lgkmcnt(0)
	v_mul_f64 v[50:51], v[50:51], v[54:55]
	s_cbranch_execz .LBB23_238
	s_branch .LBB23_239
.LBB23_237:
                                        ; implicit-def: $vgpr50_vgpr51
.LBB23_238:
	ds_read_b64 v[50:51], v52
.LBB23_239:
	s_and_saveexec_b64 s[10:11], s[6:7]
	s_cbranch_execz .LBB23_241
; %bb.240:
	buffer_load_dword v54, v53, s[0:3], 0 offen offset:8
	buffer_load_dword v55, v53, s[0:3], 0 offen offset:12
	ds_read_b64 v[56:57], v52 offset:8
	s_waitcnt vmcnt(0) lgkmcnt(0)
	v_fmac_f64_e32 v[50:51], v[54:55], v[56:57]
.LBB23_241:
	s_or_b64 exec, exec, s[10:11]
	v_mov_b32_e32 v54, 0
	ds_read_b64 v[54:55], v54 offset:16
	s_waitcnt lgkmcnt(0)
	v_mul_f64 v[50:51], v[50:51], v[54:55]
	buffer_store_dword v51, off, s[0:3], 0 offset:20
	buffer_store_dword v50, off, s[0:3], 0 offset:16
.LBB23_242:
	s_or_b64 exec, exec, s[8:9]
	buffer_load_dword v50, off, s[0:3], 0 offset:24
	buffer_load_dword v51, off, s[0:3], 0 offset:28
	v_cmp_gt_u32_e32 vcc, 3, v0
	s_waitcnt vmcnt(0)
	ds_write_b64 v52, v[50:51]
	s_waitcnt lgkmcnt(0)
	; wave barrier
	s_waitcnt lgkmcnt(0)
	s_and_saveexec_b64 s[8:9], vcc
	s_cbranch_execz .LBB23_250
; %bb.243:
	s_and_b64 vcc, exec, s[4:5]
	s_cbranch_vccnz .LBB23_245
; %bb.244:
	buffer_load_dword v50, v53, s[0:3], 0 offen
	buffer_load_dword v51, v53, s[0:3], 0 offen offset:4
	ds_read_b64 v[54:55], v52
	s_waitcnt vmcnt(0) lgkmcnt(0)
	v_mul_f64 v[50:51], v[50:51], v[54:55]
	s_cbranch_execz .LBB23_246
	s_branch .LBB23_247
.LBB23_245:
                                        ; implicit-def: $vgpr50_vgpr51
.LBB23_246:
	ds_read_b64 v[50:51], v52
.LBB23_247:
	v_cmp_ne_u32_e32 vcc, 2, v0
	s_and_saveexec_b64 s[10:11], vcc
	s_cbranch_execz .LBB23_249
; %bb.248:
	buffer_load_dword v55, v53, s[0:3], 0 offen offset:12
	buffer_load_dword v56, off, s[0:3], 0 offset:16
	buffer_load_dword v54, v53, s[0:3], 0 offen offset:8
	buffer_load_dword v57, off, s[0:3], 0 offset:20
	v_mov_b32_e32 v60, 0
	ds_read_b64 v[58:59], v52 offset:8
	ds_read_b64 v[60:61], v60 offset:208
	s_waitcnt vmcnt(1) lgkmcnt(1)
	v_fmac_f64_e32 v[50:51], v[54:55], v[58:59]
	s_waitcnt vmcnt(0) lgkmcnt(0)
	v_fma_f64 v[54:55], v[56:57], v[60:61], v[50:51]
	v_cndmask_b32_e64 v51, v51, v55, s[6:7]
	v_cndmask_b32_e64 v50, v50, v54, s[6:7]
.LBB23_249:
	s_or_b64 exec, exec, s[10:11]
	v_mov_b32_e32 v54, 0
	ds_read_b64 v[54:55], v54 offset:24
	s_waitcnt lgkmcnt(0)
	v_mul_f64 v[50:51], v[50:51], v[54:55]
	buffer_store_dword v51, off, s[0:3], 0 offset:28
	buffer_store_dword v50, off, s[0:3], 0 offset:24
.LBB23_250:
	s_or_b64 exec, exec, s[8:9]
	buffer_load_dword v50, off, s[0:3], 0 offset:32
	buffer_load_dword v51, off, s[0:3], 0 offset:36
	v_cmp_gt_u32_e32 vcc, 4, v0
	s_waitcnt vmcnt(0)
	ds_write_b64 v52, v[50:51]
	s_waitcnt lgkmcnt(0)
	; wave barrier
	s_waitcnt lgkmcnt(0)
	s_and_saveexec_b64 s[6:7], vcc
	s_cbranch_execz .LBB23_260
; %bb.251:
	s_and_b64 vcc, exec, s[4:5]
	s_cbranch_vccnz .LBB23_253
; %bb.252:
	buffer_load_dword v50, v53, s[0:3], 0 offen
	buffer_load_dword v51, v53, s[0:3], 0 offen offset:4
	ds_read_b64 v[54:55], v52
	s_waitcnt vmcnt(0) lgkmcnt(0)
	v_mul_f64 v[50:51], v[50:51], v[54:55]
	s_cbranch_execz .LBB23_254
	s_branch .LBB23_255
.LBB23_253:
                                        ; implicit-def: $vgpr50_vgpr51
.LBB23_254:
	ds_read_b64 v[50:51], v52
.LBB23_255:
	v_cmp_ne_u32_e32 vcc, 3, v0
	s_and_saveexec_b64 s[8:9], vcc
	s_cbranch_execz .LBB23_259
; %bb.256:
	v_mov_b32_e32 v55, 0
	v_add_u32_e32 v54, 0xc8, v1
	v_add3_u32 v55, v1, v55, 8
	s_mov_b64 s[10:11], 0
	v_mov_b32_e32 v56, v0
.LBB23_257:                             ; =>This Inner Loop Header: Depth=1
	buffer_load_dword v58, v55, s[0:3], 0 offen
	buffer_load_dword v59, v55, s[0:3], 0 offen offset:4
	ds_read_b64 v[60:61], v54
	v_add_u32_e32 v56, 1, v56
	v_cmp_lt_u32_e32 vcc, 2, v56
	v_add_u32_e32 v54, 8, v54
	v_add_u32_e32 v55, 8, v55
	s_or_b64 s[10:11], vcc, s[10:11]
	s_waitcnt vmcnt(0) lgkmcnt(0)
	v_fmac_f64_e32 v[50:51], v[58:59], v[60:61]
	s_andn2_b64 exec, exec, s[10:11]
	s_cbranch_execnz .LBB23_257
; %bb.258:
	s_or_b64 exec, exec, s[10:11]
.LBB23_259:
	s_or_b64 exec, exec, s[8:9]
	v_mov_b32_e32 v54, 0
	ds_read_b64 v[54:55], v54 offset:32
	s_waitcnt lgkmcnt(0)
	v_mul_f64 v[50:51], v[50:51], v[54:55]
	buffer_store_dword v51, off, s[0:3], 0 offset:36
	buffer_store_dword v50, off, s[0:3], 0 offset:32
.LBB23_260:
	s_or_b64 exec, exec, s[6:7]
	buffer_load_dword v50, off, s[0:3], 0 offset:40
	buffer_load_dword v51, off, s[0:3], 0 offset:44
	v_cmp_gt_u32_e32 vcc, 5, v0
	s_waitcnt vmcnt(0)
	ds_write_b64 v52, v[50:51]
	s_waitcnt lgkmcnt(0)
	; wave barrier
	s_waitcnt lgkmcnt(0)
	s_and_saveexec_b64 s[6:7], vcc
	s_cbranch_execz .LBB23_270
; %bb.261:
	s_and_b64 vcc, exec, s[4:5]
	s_cbranch_vccnz .LBB23_263
; %bb.262:
	buffer_load_dword v50, v53, s[0:3], 0 offen
	buffer_load_dword v51, v53, s[0:3], 0 offen offset:4
	ds_read_b64 v[54:55], v52
	s_waitcnt vmcnt(0) lgkmcnt(0)
	v_mul_f64 v[50:51], v[50:51], v[54:55]
	s_cbranch_execz .LBB23_264
	s_branch .LBB23_265
.LBB23_263:
                                        ; implicit-def: $vgpr50_vgpr51
.LBB23_264:
	ds_read_b64 v[50:51], v52
.LBB23_265:
	v_cmp_ne_u32_e32 vcc, 4, v0
	s_and_saveexec_b64 s[8:9], vcc
	s_cbranch_execz .LBB23_269
; %bb.266:
	v_mov_b32_e32 v55, 0
	v_add_u32_e32 v54, 0xc8, v1
	v_add3_u32 v55, v1, v55, 8
	s_mov_b64 s[10:11], 0
	v_mov_b32_e32 v56, v0
.LBB23_267:                             ; =>This Inner Loop Header: Depth=1
	buffer_load_dword v58, v55, s[0:3], 0 offen
	buffer_load_dword v59, v55, s[0:3], 0 offen offset:4
	ds_read_b64 v[60:61], v54
	v_add_u32_e32 v56, 1, v56
	v_cmp_lt_u32_e32 vcc, 3, v56
	v_add_u32_e32 v54, 8, v54
	v_add_u32_e32 v55, 8, v55
	s_or_b64 s[10:11], vcc, s[10:11]
	s_waitcnt vmcnt(0) lgkmcnt(0)
	v_fmac_f64_e32 v[50:51], v[58:59], v[60:61]
	s_andn2_b64 exec, exec, s[10:11]
	s_cbranch_execnz .LBB23_267
; %bb.268:
	s_or_b64 exec, exec, s[10:11]
.LBB23_269:
	s_or_b64 exec, exec, s[8:9]
	v_mov_b32_e32 v54, 0
	ds_read_b64 v[54:55], v54 offset:40
	s_waitcnt lgkmcnt(0)
	v_mul_f64 v[50:51], v[50:51], v[54:55]
	buffer_store_dword v51, off, s[0:3], 0 offset:44
	buffer_store_dword v50, off, s[0:3], 0 offset:40
.LBB23_270:
	;; [unrolled: 60-line block ×18, first 2 shown]
	s_or_b64 exec, exec, s[6:7]
	buffer_load_dword v50, off, s[0:3], 0 offset:176
	buffer_load_dword v51, off, s[0:3], 0 offset:180
	v_cmp_gt_u32_e64 s[6:7], 22, v0
	s_waitcnt vmcnt(0)
	ds_write_b64 v52, v[50:51]
	s_waitcnt lgkmcnt(0)
	; wave barrier
	s_waitcnt lgkmcnt(0)
	s_and_saveexec_b64 s[8:9], s[6:7]
	s_cbranch_execz .LBB23_440
; %bb.431:
	s_and_b64 vcc, exec, s[4:5]
	s_cbranch_vccnz .LBB23_433
; %bb.432:
	buffer_load_dword v50, v53, s[0:3], 0 offen
	buffer_load_dword v51, v53, s[0:3], 0 offen offset:4
	ds_read_b64 v[54:55], v52
	s_waitcnt vmcnt(0) lgkmcnt(0)
	v_mul_f64 v[50:51], v[50:51], v[54:55]
	s_cbranch_execz .LBB23_434
	s_branch .LBB23_435
.LBB23_433:
                                        ; implicit-def: $vgpr50_vgpr51
.LBB23_434:
	ds_read_b64 v[50:51], v52
.LBB23_435:
	v_cmp_ne_u32_e32 vcc, 21, v0
	s_and_saveexec_b64 s[10:11], vcc
	s_cbranch_execz .LBB23_439
; %bb.436:
	v_mov_b32_e32 v55, 0
	v_add_u32_e32 v54, 0xc8, v1
	v_add3_u32 v55, v1, v55, 8
	s_mov_b64 s[12:13], 0
	v_mov_b32_e32 v56, v0
.LBB23_437:                             ; =>This Inner Loop Header: Depth=1
	buffer_load_dword v58, v55, s[0:3], 0 offen
	buffer_load_dword v59, v55, s[0:3], 0 offen offset:4
	ds_read_b64 v[60:61], v54
	v_add_u32_e32 v56, 1, v56
	v_cmp_lt_u32_e32 vcc, 20, v56
	v_add_u32_e32 v54, 8, v54
	v_add_u32_e32 v55, 8, v55
	s_or_b64 s[12:13], vcc, s[12:13]
	s_waitcnt vmcnt(0) lgkmcnt(0)
	v_fmac_f64_e32 v[50:51], v[58:59], v[60:61]
	s_andn2_b64 exec, exec, s[12:13]
	s_cbranch_execnz .LBB23_437
; %bb.438:
	s_or_b64 exec, exec, s[12:13]
.LBB23_439:
	s_or_b64 exec, exec, s[10:11]
	v_mov_b32_e32 v54, 0
	ds_read_b64 v[54:55], v54 offset:176
	s_waitcnt lgkmcnt(0)
	v_mul_f64 v[50:51], v[50:51], v[54:55]
	buffer_store_dword v51, off, s[0:3], 0 offset:180
	buffer_store_dword v50, off, s[0:3], 0 offset:176
.LBB23_440:
	s_or_b64 exec, exec, s[8:9]
	buffer_load_dword v50, off, s[0:3], 0 offset:184
	buffer_load_dword v51, off, s[0:3], 0 offset:188
	v_cmp_ne_u32_e32 vcc, 23, v0
	s_waitcnt vmcnt(0)
	ds_write_b64 v52, v[50:51]
	s_waitcnt lgkmcnt(0)
	; wave barrier
	s_waitcnt lgkmcnt(0)
	s_and_saveexec_b64 s[8:9], vcc
	s_cbranch_execz .LBB23_450
; %bb.441:
	s_and_b64 vcc, exec, s[4:5]
	s_cbranch_vccnz .LBB23_443
; %bb.442:
	buffer_load_dword v50, v53, s[0:3], 0 offen
	buffer_load_dword v51, v53, s[0:3], 0 offen offset:4
	ds_read_b64 v[54:55], v52
	s_waitcnt vmcnt(0) lgkmcnt(0)
	v_mul_f64 v[50:51], v[50:51], v[54:55]
	s_cbranch_execz .LBB23_444
	s_branch .LBB23_445
.LBB23_443:
                                        ; implicit-def: $vgpr50_vgpr51
.LBB23_444:
	ds_read_b64 v[50:51], v52
.LBB23_445:
	s_and_saveexec_b64 s[4:5], s[6:7]
	s_cbranch_execz .LBB23_449
; %bb.446:
	v_mov_b32_e32 v53, 0
	v_add_u32_e32 v52, 0xc8, v1
	v_add3_u32 v1, v1, v53, 8
	s_mov_b64 s[6:7], 0
.LBB23_447:                             ; =>This Inner Loop Header: Depth=1
	buffer_load_dword v54, v1, s[0:3], 0 offen
	buffer_load_dword v55, v1, s[0:3], 0 offen offset:4
	ds_read_b64 v[56:57], v52
	v_add_u32_e32 v0, 1, v0
	v_cmp_lt_u32_e32 vcc, 21, v0
	v_add_u32_e32 v52, 8, v52
	v_add_u32_e32 v1, 8, v1
	s_or_b64 s[6:7], vcc, s[6:7]
	s_waitcnt vmcnt(0) lgkmcnt(0)
	v_fmac_f64_e32 v[50:51], v[54:55], v[56:57]
	s_andn2_b64 exec, exec, s[6:7]
	s_cbranch_execnz .LBB23_447
; %bb.448:
	s_or_b64 exec, exec, s[6:7]
.LBB23_449:
	s_or_b64 exec, exec, s[4:5]
	v_mov_b32_e32 v0, 0
	ds_read_b64 v[0:1], v0 offset:184
	s_waitcnt lgkmcnt(0)
	v_mul_f64 v[0:1], v[50:51], v[0:1]
	buffer_store_dword v1, off, s[0:3], 0 offset:188
	buffer_store_dword v0, off, s[0:3], 0 offset:184
.LBB23_450:
	s_or_b64 exec, exec, s[8:9]
.LBB23_451:
	buffer_load_dword v0, off, s[0:3], 0
	buffer_load_dword v1, off, s[0:3], 0 offset:4
	buffer_load_dword v50, off, s[0:3], 0 offset:8
	buffer_load_dword v51, off, s[0:3], 0 offset:12
	buffer_load_dword v52, off, s[0:3], 0 offset:16
	buffer_load_dword v53, off, s[0:3], 0 offset:20
	buffer_load_dword v54, off, s[0:3], 0 offset:24
	buffer_load_dword v55, off, s[0:3], 0 offset:28
	buffer_load_dword v56, off, s[0:3], 0 offset:32
	buffer_load_dword v57, off, s[0:3], 0 offset:36
	buffer_load_dword v58, off, s[0:3], 0 offset:40
	buffer_load_dword v59, off, s[0:3], 0 offset:44
	buffer_load_dword v60, off, s[0:3], 0 offset:48
	buffer_load_dword v61, off, s[0:3], 0 offset:52
	buffer_load_dword v62, off, s[0:3], 0 offset:56
	buffer_load_dword v63, off, s[0:3], 0 offset:60
	buffer_load_dword v64, off, s[0:3], 0 offset:72
	buffer_load_dword v65, off, s[0:3], 0 offset:76
	buffer_load_dword v66, off, s[0:3], 0 offset:80
	buffer_load_dword v67, off, s[0:3], 0 offset:84
	buffer_load_dword v68, off, s[0:3], 0 offset:88
	buffer_load_dword v69, off, s[0:3], 0 offset:92
	buffer_load_dword v71, off, s[0:3], 0 offset:68
	buffer_load_dword v70, off, s[0:3], 0 offset:64
	buffer_load_dword v72, off, s[0:3], 0 offset:96
	buffer_load_dword v73, off, s[0:3], 0 offset:100
	buffer_load_dword v74, off, s[0:3], 0 offset:104
	buffer_load_dword v75, off, s[0:3], 0 offset:108
	buffer_load_dword v76, off, s[0:3], 0 offset:112
	buffer_load_dword v77, off, s[0:3], 0 offset:116
	buffer_load_dword v78, off, s[0:3], 0 offset:120
	buffer_load_dword v79, off, s[0:3], 0 offset:124
	buffer_load_dword v80, off, s[0:3], 0 offset:128
	buffer_load_dword v81, off, s[0:3], 0 offset:132
	buffer_load_dword v82, off, s[0:3], 0 offset:136
	buffer_load_dword v83, off, s[0:3], 0 offset:140
	buffer_load_dword v84, off, s[0:3], 0 offset:144
	buffer_load_dword v85, off, s[0:3], 0 offset:148
	buffer_load_dword v86, off, s[0:3], 0 offset:152
	buffer_load_dword v87, off, s[0:3], 0 offset:156
	buffer_load_dword v88, off, s[0:3], 0 offset:160
	buffer_load_dword v89, off, s[0:3], 0 offset:164
	buffer_load_dword v90, off, s[0:3], 0 offset:168
	buffer_load_dword v91, off, s[0:3], 0 offset:172
	buffer_load_dword v92, off, s[0:3], 0 offset:176
	buffer_load_dword v93, off, s[0:3], 0 offset:180
	buffer_load_dword v94, off, s[0:3], 0 offset:184
	buffer_load_dword v95, off, s[0:3], 0 offset:188
	s_waitcnt vmcnt(46)
	global_store_dwordx2 v[2:3], v[0:1], off
	s_waitcnt vmcnt(45)
	global_store_dwordx2 v[4:5], v[50:51], off
	;; [unrolled: 2-line block ×9, first 2 shown]
	global_store_dwordx2 v[20:21], v[64:65], off
	global_store_dwordx2 v[22:23], v[66:67], off
	;; [unrolled: 1-line block ×3, first 2 shown]
	s_waitcnt vmcnt(34)
	global_store_dwordx2 v[26:27], v[72:73], off
	s_waitcnt vmcnt(33)
	global_store_dwordx2 v[28:29], v[74:75], off
	;; [unrolled: 2-line block ×12, first 2 shown]
.LBB23_452:
	s_endpgm
	.section	.rodata,"a",@progbits
	.p2align	6, 0x0
	.amdhsa_kernel _ZN9rocsolver6v33100L18trti2_kernel_smallILi24EdPdEEv13rocblas_fill_17rocblas_diagonal_T1_iil
		.amdhsa_group_segment_fixed_size 384
		.amdhsa_private_segment_fixed_size 208
		.amdhsa_kernarg_size 32
		.amdhsa_user_sgpr_count 8
		.amdhsa_user_sgpr_private_segment_buffer 1
		.amdhsa_user_sgpr_dispatch_ptr 0
		.amdhsa_user_sgpr_queue_ptr 0
		.amdhsa_user_sgpr_kernarg_segment_ptr 1
		.amdhsa_user_sgpr_dispatch_id 0
		.amdhsa_user_sgpr_flat_scratch_init 1
		.amdhsa_user_sgpr_kernarg_preload_length 0
		.amdhsa_user_sgpr_kernarg_preload_offset 0
		.amdhsa_user_sgpr_private_segment_size 0
		.amdhsa_uses_dynamic_stack 0
		.amdhsa_system_sgpr_private_segment_wavefront_offset 1
		.amdhsa_system_sgpr_workgroup_id_x 1
		.amdhsa_system_sgpr_workgroup_id_y 0
		.amdhsa_system_sgpr_workgroup_id_z 0
		.amdhsa_system_sgpr_workgroup_info 0
		.amdhsa_system_vgpr_workitem_id 0
		.amdhsa_next_free_vgpr 96
		.amdhsa_next_free_sgpr 20
		.amdhsa_accum_offset 96
		.amdhsa_reserve_vcc 1
		.amdhsa_reserve_flat_scratch 0
		.amdhsa_float_round_mode_32 0
		.amdhsa_float_round_mode_16_64 0
		.amdhsa_float_denorm_mode_32 3
		.amdhsa_float_denorm_mode_16_64 3
		.amdhsa_dx10_clamp 1
		.amdhsa_ieee_mode 1
		.amdhsa_fp16_overflow 0
		.amdhsa_tg_split 0
		.amdhsa_exception_fp_ieee_invalid_op 0
		.amdhsa_exception_fp_denorm_src 0
		.amdhsa_exception_fp_ieee_div_zero 0
		.amdhsa_exception_fp_ieee_overflow 0
		.amdhsa_exception_fp_ieee_underflow 0
		.amdhsa_exception_fp_ieee_inexact 0
		.amdhsa_exception_int_div_zero 0
	.end_amdhsa_kernel
	.section	.text._ZN9rocsolver6v33100L18trti2_kernel_smallILi24EdPdEEv13rocblas_fill_17rocblas_diagonal_T1_iil,"axG",@progbits,_ZN9rocsolver6v33100L18trti2_kernel_smallILi24EdPdEEv13rocblas_fill_17rocblas_diagonal_T1_iil,comdat
.Lfunc_end23:
	.size	_ZN9rocsolver6v33100L18trti2_kernel_smallILi24EdPdEEv13rocblas_fill_17rocblas_diagonal_T1_iil, .Lfunc_end23-_ZN9rocsolver6v33100L18trti2_kernel_smallILi24EdPdEEv13rocblas_fill_17rocblas_diagonal_T1_iil
                                        ; -- End function
	.section	.AMDGPU.csdata,"",@progbits
; Kernel info:
; codeLenInByte = 13800
; NumSgprs: 24
; NumVgprs: 96
; NumAgprs: 0
; TotalNumVgprs: 96
; ScratchSize: 208
; MemoryBound: 0
; FloatMode: 240
; IeeeMode: 1
; LDSByteSize: 384 bytes/workgroup (compile time only)
; SGPRBlocks: 2
; VGPRBlocks: 11
; NumSGPRsForWavesPerEU: 24
; NumVGPRsForWavesPerEU: 96
; AccumOffset: 96
; Occupancy: 5
; WaveLimiterHint : 0
; COMPUTE_PGM_RSRC2:SCRATCH_EN: 1
; COMPUTE_PGM_RSRC2:USER_SGPR: 8
; COMPUTE_PGM_RSRC2:TRAP_HANDLER: 0
; COMPUTE_PGM_RSRC2:TGID_X_EN: 1
; COMPUTE_PGM_RSRC2:TGID_Y_EN: 0
; COMPUTE_PGM_RSRC2:TGID_Z_EN: 0
; COMPUTE_PGM_RSRC2:TIDIG_COMP_CNT: 0
; COMPUTE_PGM_RSRC3_GFX90A:ACCUM_OFFSET: 23
; COMPUTE_PGM_RSRC3_GFX90A:TG_SPLIT: 0
	.section	.text._ZN9rocsolver6v33100L18trti2_kernel_smallILi25EdPdEEv13rocblas_fill_17rocblas_diagonal_T1_iil,"axG",@progbits,_ZN9rocsolver6v33100L18trti2_kernel_smallILi25EdPdEEv13rocblas_fill_17rocblas_diagonal_T1_iil,comdat
	.globl	_ZN9rocsolver6v33100L18trti2_kernel_smallILi25EdPdEEv13rocblas_fill_17rocblas_diagonal_T1_iil ; -- Begin function _ZN9rocsolver6v33100L18trti2_kernel_smallILi25EdPdEEv13rocblas_fill_17rocblas_diagonal_T1_iil
	.p2align	8
	.type	_ZN9rocsolver6v33100L18trti2_kernel_smallILi25EdPdEEv13rocblas_fill_17rocblas_diagonal_T1_iil,@function
_ZN9rocsolver6v33100L18trti2_kernel_smallILi25EdPdEEv13rocblas_fill_17rocblas_diagonal_T1_iil: ; @_ZN9rocsolver6v33100L18trti2_kernel_smallILi25EdPdEEv13rocblas_fill_17rocblas_diagonal_T1_iil
; %bb.0:
	s_add_u32 s0, s0, s9
	s_addc_u32 s1, s1, 0
	v_cmp_gt_u32_e32 vcc, 25, v0
	s_and_saveexec_b64 s[6:7], vcc
	s_cbranch_execz .LBB24_472
; %bb.1:
	s_load_dwordx8 s[12:19], s[4:5], 0x0
	s_ashr_i32 s6, s8, 31
	v_lshlrev_b32_e32 v1, 3, v0
	s_waitcnt lgkmcnt(0)
	s_mul_i32 s7, s8, s19
	s_mul_hi_u32 s9, s8, s18
	s_add_i32 s7, s9, s7
	s_mul_i32 s6, s6, s18
	s_add_i32 s7, s7, s6
	s_mul_i32 s6, s8, s18
	s_ashr_i32 s5, s16, 31
	s_lshl_b64 s[6:7], s[6:7], 3
	s_mov_b32 s4, s16
	s_add_u32 s6, s14, s6
	s_addc_u32 s7, s15, s7
	s_lshl_b64 s[4:5], s[4:5], 3
	s_add_u32 s4, s6, s4
	s_addc_u32 s5, s7, s5
	v_mov_b32_e32 v3, s5
	v_add_co_u32_e32 v2, vcc, s4, v1
	s_ashr_i32 s7, s17, 31
	s_mov_b32 s6, s17
	v_addc_co_u32_e32 v3, vcc, 0, v3, vcc
	s_lshl_b64 s[6:7], s[6:7], 3
	v_add_co_u32_e32 v4, vcc, s6, v2
	s_add_i32 s6, s17, s17
	v_add_u32_e32 v8, s6, v0
	v_mov_b32_e32 v5, s7
	v_ashrrev_i32_e32 v9, 31, v8
	v_addc_co_u32_e32 v5, vcc, v3, v5, vcc
	v_lshlrev_b64 v[6:7], 3, v[8:9]
	v_mov_b32_e32 v9, s5
	v_add_co_u32_e32 v6, vcc, s4, v6
	global_load_dwordx2 v[26:27], v1, s[4:5]
	v_addc_co_u32_e32 v7, vcc, v9, v7, vcc
	global_load_dwordx2 v[28:29], v[4:5], off
	global_load_dwordx2 v[30:31], v[6:7], off
	v_add_u32_e32 v10, s17, v8
	v_ashrrev_i32_e32 v11, 31, v10
	v_lshlrev_b64 v[8:9], 3, v[10:11]
	v_mov_b32_e32 v11, s5
	v_add_co_u32_e32 v8, vcc, s4, v8
	v_addc_co_u32_e32 v9, vcc, v11, v9, vcc
	global_load_dwordx2 v[32:33], v[8:9], off
	v_add_u32_e32 v12, s17, v10
	v_ashrrev_i32_e32 v13, 31, v12
	v_lshlrev_b64 v[10:11], 3, v[12:13]
	v_mov_b32_e32 v13, s5
	v_add_co_u32_e32 v10, vcc, s4, v10
	v_addc_co_u32_e32 v11, vcc, v13, v11, vcc
	global_load_dwordx2 v[52:53], v[10:11], off
	v_add_u32_e32 v14, s17, v12
	v_ashrrev_i32_e32 v15, 31, v14
	v_lshlrev_b64 v[12:13], 3, v[14:15]
	v_add_u32_e32 v16, s17, v14
	v_mov_b32_e32 v15, s5
	v_add_co_u32_e32 v12, vcc, s4, v12
	v_ashrrev_i32_e32 v17, 31, v16
	v_addc_co_u32_e32 v13, vcc, v15, v13, vcc
	v_lshlrev_b64 v[14:15], 3, v[16:17]
	v_mov_b32_e32 v17, s5
	v_add_co_u32_e32 v14, vcc, s4, v14
	v_add_u32_e32 v16, s17, v16
	v_addc_co_u32_e32 v15, vcc, v17, v15, vcc
	v_ashrrev_i32_e32 v17, 31, v16
	v_lshlrev_b64 v[18:19], 3, v[16:17]
	v_mov_b32_e32 v17, s5
	v_add_co_u32_e32 v18, vcc, s4, v18
	v_add_u32_e32 v16, s17, v16
	v_addc_co_u32_e32 v19, vcc, v17, v19, vcc
	v_ashrrev_i32_e32 v17, 31, v16
	;; [unrolled: 6-line block ×3, first 2 shown]
	v_lshlrev_b64 v[16:17], 3, v[20:21]
	v_add_u32_e32 v24, s17, v20
	v_mov_b32_e32 v21, s5
	v_add_co_u32_e32 v16, vcc, s4, v16
	v_ashrrev_i32_e32 v25, 31, v24
	v_addc_co_u32_e32 v17, vcc, v21, v17, vcc
	v_lshlrev_b64 v[20:21], 3, v[24:25]
	v_add_u32_e32 v34, s17, v24
	v_mov_b32_e32 v25, s5
	v_add_co_u32_e32 v20, vcc, s4, v20
	v_ashrrev_i32_e32 v35, 31, v34
	global_load_dwordx2 v[60:61], v[12:13], off
	global_load_dwordx2 v[56:57], v[14:15], off
	;; [unrolled: 1-line block ×4, first 2 shown]
	v_addc_co_u32_e32 v21, vcc, v25, v21, vcc
	v_lshlrev_b64 v[24:25], 3, v[34:35]
	s_waitcnt vmcnt(8)
	buffer_store_dword v27, off, s[0:3], 0 offset:4
	buffer_store_dword v26, off, s[0:3], 0
	s_waitcnt vmcnt(9)
	buffer_store_dword v29, off, s[0:3], 0 offset:12
	buffer_store_dword v28, off, s[0:3], 0 offset:8
	s_waitcnt vmcnt(10)
	buffer_store_dword v31, off, s[0:3], 0 offset:20
	buffer_store_dword v30, off, s[0:3], 0 offset:16
	;; [unrolled: 3-line block ×3, first 2 shown]
	v_add_u32_e32 v28, s17, v34
	v_mov_b32_e32 v35, s5
	v_add_co_u32_e32 v24, vcc, s4, v24
	v_ashrrev_i32_e32 v29, 31, v28
	v_addc_co_u32_e32 v25, vcc, v35, v25, vcc
	v_lshlrev_b64 v[26:27], 3, v[28:29]
	v_add_u32_e32 v30, s17, v28
	v_mov_b32_e32 v29, s5
	v_add_co_u32_e32 v26, vcc, s4, v26
	v_ashrrev_i32_e32 v31, 31, v30
	v_addc_co_u32_e32 v27, vcc, v29, v27, vcc
	v_lshlrev_b64 v[28:29], 3, v[30:31]
	;; [unrolled: 6-line block ×9, first 2 shown]
	v_mov_b32_e32 v45, s5
	v_add_co_u32_e32 v42, vcc, s4, v42
	v_add_u32_e32 v44, s17, v44
	v_addc_co_u32_e32 v43, vcc, v45, v43, vcc
	v_ashrrev_i32_e32 v45, 31, v44
	v_lshlrev_b64 v[46:47], 3, v[44:45]
	v_mov_b32_e32 v45, s5
	v_add_co_u32_e32 v46, vcc, s4, v46
	v_add_u32_e32 v44, s17, v44
	v_addc_co_u32_e32 v47, vcc, v45, v47, vcc
	v_ashrrev_i32_e32 v45, 31, v44
	v_lshlrev_b64 v[48:49], 3, v[44:45]
	;; [unrolled: 6-line block ×4, first 2 shown]
	v_mov_b32_e32 v88, s5
	v_add_co_u32_e32 v44, vcc, s4, v44
	global_load_dwordx2 v[62:63], v[16:17], off
	global_load_dwordx2 v[64:65], v[20:21], off
	;; [unrolled: 1-line block ×13, first 2 shown]
	v_addc_co_u32_e32 v45, vcc, v88, v45, vcc
	global_load_dwordx2 v[88:89], v[48:49], off
	global_load_dwordx2 v[90:91], v[50:51], off
	s_cmpk_lg_i32 s13, 0x84
	s_waitcnt vmcnt(27)
	buffer_store_dword v53, off, s[0:3], 0 offset:36
	buffer_store_dword v52, off, s[0:3], 0 offset:32
	global_load_dwordx2 v[52:53], v[44:45], off
	s_waitcnt vmcnt(29)
	buffer_store_dword v61, off, s[0:3], 0 offset:44
	buffer_store_dword v60, off, s[0:3], 0 offset:40
	s_waitcnt vmcnt(30)
	buffer_store_dword v57, off, s[0:3], 0 offset:52
	buffer_store_dword v56, off, s[0:3], 0 offset:48
	;; [unrolled: 3-line block ×20, first 2 shown]
	v_mov_b32_e32 v52, 0
	v_mov_b32_e32 v77, 0
	s_cselect_b64 s[8:9], -1, 0
	s_cmpk_eq_i32 s13, 0x84
	v_mov_b32_e32 v53, 0xbff00000
	s_cbranch_scc1 .LBB24_3
; %bb.2:
	v_lshl_add_u32 v62, v0, 3, v77
	buffer_load_dword v52, v62, s[0:3], 0 offen
	buffer_load_dword v53, v62, s[0:3], 0 offen offset:4
	s_waitcnt vmcnt(0)
	v_div_scale_f64 v[54:55], s[4:5], v[52:53], v[52:53], 1.0
	v_rcp_f64_e32 v[56:57], v[54:55]
	v_div_scale_f64 v[58:59], vcc, 1.0, v[52:53], 1.0
	v_fma_f64 v[60:61], -v[54:55], v[56:57], 1.0
	v_fmac_f64_e32 v[56:57], v[56:57], v[60:61]
	v_fma_f64 v[60:61], -v[54:55], v[56:57], 1.0
	v_fmac_f64_e32 v[56:57], v[56:57], v[60:61]
	v_mul_f64 v[60:61], v[58:59], v[56:57]
	v_fma_f64 v[54:55], -v[54:55], v[60:61], v[58:59]
	v_div_fmas_f64 v[54:55], v[54:55], v[56:57], v[60:61]
	v_div_fixup_f64 v[52:53], v[54:55], v[52:53], 1.0
	buffer_store_dword v52, v62, s[0:3], 0 offen
	buffer_store_dword v53, v62, s[0:3], 0 offen offset:4
	v_xor_b32_e32 v53, 0x80000000, v53
.LBB24_3:
	s_cmpk_eq_i32 s12, 0x79
	v_add_u32_e32 v54, 0xd0, v1
	v_add_u32_e32 v55, 0, v1
	s_mov_b64 s[4:5], -1
	ds_write_b64 v1, v[52:53]
	s_cbranch_scc1 .LBB24_237
; %bb.4:
	buffer_load_dword v52, off, s[0:3], 0 offset:184
	buffer_load_dword v53, off, s[0:3], 0 offset:188
	v_cmp_eq_u32_e64 s[4:5], 24, v0
	s_waitcnt vmcnt(0)
	ds_write_b64 v54, v[52:53]
	s_waitcnt lgkmcnt(0)
	; wave barrier
	s_waitcnt lgkmcnt(0)
	s_and_saveexec_b64 s[6:7], s[4:5]
	s_cbranch_execz .LBB24_10
; %bb.5:
	s_and_b64 vcc, exec, s[8:9]
	s_cbranch_vccz .LBB24_7
; %bb.6:
	buffer_load_dword v52, v55, s[0:3], 0 offen
	buffer_load_dword v53, v55, s[0:3], 0 offen offset:4
	ds_read_b64 v[56:57], v54
	s_waitcnt vmcnt(0) lgkmcnt(0)
	v_mul_f64 v[52:53], v[52:53], v[56:57]
	s_cbranch_execz .LBB24_8
	s_branch .LBB24_9
.LBB24_7:
                                        ; implicit-def: $vgpr52_vgpr53
.LBB24_8:
	ds_read_b64 v[52:53], v54
.LBB24_9:
	v_mov_b32_e32 v56, 0
	ds_read_b64 v[56:57], v56 offset:184
	s_waitcnt lgkmcnt(0)
	v_mul_f64 v[52:53], v[52:53], v[56:57]
	buffer_store_dword v53, off, s[0:3], 0 offset:188
	buffer_store_dword v52, off, s[0:3], 0 offset:184
.LBB24_10:
	s_or_b64 exec, exec, s[6:7]
	buffer_load_dword v52, off, s[0:3], 0 offset:176
	buffer_load_dword v53, off, s[0:3], 0 offset:180
	v_or_b32_e32 v56, 8, v77
	v_add_u32_e32 v57, 16, v77
	v_add_u32_e32 v58, 24, v77
	;; [unrolled: 1-line block ×21, first 2 shown]
	v_cmp_lt_u32_e64 s[6:7], 22, v0
	s_waitcnt vmcnt(0)
	ds_write_b64 v54, v[52:53]
	s_waitcnt lgkmcnt(0)
	; wave barrier
	s_waitcnt lgkmcnt(0)
	s_and_saveexec_b64 s[10:11], s[6:7]
	s_cbranch_execz .LBB24_16
; %bb.11:
	s_andn2_b64 vcc, exec, s[8:9]
	s_cbranch_vccnz .LBB24_13
; %bb.12:
	buffer_load_dword v52, v55, s[0:3], 0 offen
	buffer_load_dword v53, v55, s[0:3], 0 offen offset:4
	ds_read_b64 v[78:79], v54
	s_waitcnt vmcnt(0) lgkmcnt(0)
	v_mul_f64 v[52:53], v[52:53], v[78:79]
	s_cbranch_execz .LBB24_14
	s_branch .LBB24_15
.LBB24_13:
                                        ; implicit-def: $vgpr52_vgpr53
.LBB24_14:
	ds_read_b64 v[52:53], v54
.LBB24_15:
	buffer_load_dword v82, off, s[0:3], 0 offset:184
	buffer_load_dword v83, off, s[0:3], 0 offset:188
	v_mov_b32_e32 v78, 0
	ds_read2_b64 v[78:81], v78 offset0:22 offset1:49
	s_waitcnt vmcnt(0) lgkmcnt(0)
	v_fma_f64 v[80:81], v[82:83], v[80:81], v[52:53]
	v_cndmask_b32_e64 v53, v53, v81, s[4:5]
	v_cndmask_b32_e64 v52, v52, v80, s[4:5]
	v_mul_f64 v[52:53], v[52:53], v[78:79]
	buffer_store_dword v53, off, s[0:3], 0 offset:180
	buffer_store_dword v52, off, s[0:3], 0 offset:176
.LBB24_16:
	s_or_b64 exec, exec, s[10:11]
	buffer_load_dword v52, off, s[0:3], 0 offset:168
	buffer_load_dword v53, off, s[0:3], 0 offset:172
	v_cmp_lt_u32_e64 s[4:5], 21, v0
	s_waitcnt vmcnt(0)
	ds_write_b64 v54, v[52:53]
	s_waitcnt lgkmcnt(0)
	; wave barrier
	s_waitcnt lgkmcnt(0)
	s_and_saveexec_b64 s[10:11], s[4:5]
	s_cbranch_execz .LBB24_26
; %bb.17:
	s_andn2_b64 vcc, exec, s[8:9]
	s_cbranch_vccnz .LBB24_19
; %bb.18:
	buffer_load_dword v52, v55, s[0:3], 0 offen
	buffer_load_dword v53, v55, s[0:3], 0 offen offset:4
	ds_read_b64 v[78:79], v54
	s_waitcnt vmcnt(0) lgkmcnt(0)
	v_mul_f64 v[52:53], v[52:53], v[78:79]
	s_cbranch_execz .LBB24_20
	s_branch .LBB24_21
.LBB24_19:
                                        ; implicit-def: $vgpr52_vgpr53
.LBB24_20:
	ds_read_b64 v[52:53], v54
.LBB24_21:
	s_and_saveexec_b64 s[12:13], s[6:7]
	s_cbranch_execz .LBB24_25
; %bb.22:
	v_subrev_u32_e32 v78, 22, v0
	s_movk_i32 s14, 0x180
	s_mov_b64 s[6:7], 0
.LBB24_23:                              ; =>This Inner Loop Header: Depth=1
	buffer_load_dword v80, v77, s[0:3], 0 offen
	buffer_load_dword v81, v77, s[0:3], 0 offen offset:4
	v_mov_b32_e32 v79, s14
	ds_read_b64 v[82:83], v79
	v_add_u32_e32 v78, -1, v78
	s_add_i32 s14, s14, 8
	v_cmp_eq_u32_e32 vcc, 0, v78
	v_add_u32_e32 v77, 8, v77
	s_or_b64 s[6:7], vcc, s[6:7]
	s_waitcnt vmcnt(0) lgkmcnt(0)
	v_fmac_f64_e32 v[52:53], v[80:81], v[82:83]
	s_andn2_b64 exec, exec, s[6:7]
	s_cbranch_execnz .LBB24_23
; %bb.24:
	s_or_b64 exec, exec, s[6:7]
.LBB24_25:
	s_or_b64 exec, exec, s[12:13]
	v_mov_b32_e32 v77, 0
	ds_read_b64 v[78:79], v77 offset:168
	s_waitcnt lgkmcnt(0)
	v_mul_f64 v[52:53], v[52:53], v[78:79]
	buffer_store_dword v53, off, s[0:3], 0 offset:172
	buffer_store_dword v52, off, s[0:3], 0 offset:168
.LBB24_26:
	s_or_b64 exec, exec, s[10:11]
	buffer_load_dword v52, off, s[0:3], 0 offset:160
	buffer_load_dword v53, off, s[0:3], 0 offset:164
	v_cmp_lt_u32_e64 s[6:7], 20, v0
	s_waitcnt vmcnt(0)
	ds_write_b64 v54, v[52:53]
	s_waitcnt lgkmcnt(0)
	; wave barrier
	s_waitcnt lgkmcnt(0)
	s_and_saveexec_b64 s[10:11], s[6:7]
	s_cbranch_execz .LBB24_36
; %bb.27:
	s_andn2_b64 vcc, exec, s[8:9]
	s_cbranch_vccnz .LBB24_29
; %bb.28:
	buffer_load_dword v52, v55, s[0:3], 0 offen
	buffer_load_dword v53, v55, s[0:3], 0 offen offset:4
	ds_read_b64 v[78:79], v54
	s_waitcnt vmcnt(0) lgkmcnt(0)
	v_mul_f64 v[52:53], v[52:53], v[78:79]
	s_cbranch_execz .LBB24_30
	s_branch .LBB24_31
.LBB24_29:
                                        ; implicit-def: $vgpr52_vgpr53
.LBB24_30:
	ds_read_b64 v[52:53], v54
.LBB24_31:
	s_and_saveexec_b64 s[12:13], s[4:5]
	s_cbranch_execz .LBB24_35
; %bb.32:
	v_subrev_u32_e32 v77, 21, v0
	s_movk_i32 s14, 0x178
	s_mov_b64 s[4:5], 0
.LBB24_33:                              ; =>This Inner Loop Header: Depth=1
	buffer_load_dword v78, v76, s[0:3], 0 offen
	buffer_load_dword v79, v76, s[0:3], 0 offen offset:4
	v_mov_b32_e32 v80, s14
	ds_read_b64 v[80:81], v80
	v_add_u32_e32 v77, -1, v77
	s_add_i32 s14, s14, 8
	v_cmp_eq_u32_e32 vcc, 0, v77
	v_add_u32_e32 v76, 8, v76
	s_or_b64 s[4:5], vcc, s[4:5]
	s_waitcnt vmcnt(0) lgkmcnt(0)
	v_fmac_f64_e32 v[52:53], v[78:79], v[80:81]
	s_andn2_b64 exec, exec, s[4:5]
	s_cbranch_execnz .LBB24_33
; %bb.34:
	s_or_b64 exec, exec, s[4:5]
.LBB24_35:
	s_or_b64 exec, exec, s[12:13]
	v_mov_b32_e32 v76, 0
	ds_read_b64 v[76:77], v76 offset:160
	s_waitcnt lgkmcnt(0)
	v_mul_f64 v[52:53], v[52:53], v[76:77]
	buffer_store_dword v53, off, s[0:3], 0 offset:164
	buffer_store_dword v52, off, s[0:3], 0 offset:160
.LBB24_36:
	;; [unrolled: 58-line block ×6, first 2 shown]
	s_or_b64 exec, exec, s[10:11]
	buffer_load_dword v52, off, s[0:3], 0 offset:120
	buffer_load_dword v53, off, s[0:3], 0 offset:124
	v_cmp_lt_u32_e64 s[4:5], 15, v0
	s_waitcnt vmcnt(0)
	ds_write_b64 v54, v[52:53]
	s_waitcnt lgkmcnt(0)
	; wave barrier
	s_waitcnt lgkmcnt(0)
	s_and_saveexec_b64 s[10:11], s[4:5]
	s_cbranch_execz .LBB24_86
; %bb.77:
	s_andn2_b64 vcc, exec, s[8:9]
	s_cbranch_vccnz .LBB24_79
; %bb.78:
	buffer_load_dword v52, v55, s[0:3], 0 offen
	buffer_load_dword v53, v55, s[0:3], 0 offen offset:4
	ds_read_b64 v[72:73], v54
	s_waitcnt vmcnt(0) lgkmcnt(0)
	v_mul_f64 v[52:53], v[52:53], v[72:73]
	s_cbranch_execz .LBB24_80
	s_branch .LBB24_81
.LBB24_79:
                                        ; implicit-def: $vgpr52_vgpr53
.LBB24_80:
	ds_read_b64 v[52:53], v54
.LBB24_81:
	s_and_saveexec_b64 s[12:13], s[6:7]
	s_cbranch_execz .LBB24_85
; %bb.82:
	v_add_u32_e32 v72, -16, v0
	s_movk_i32 s14, 0x150
	s_mov_b64 s[6:7], 0
.LBB24_83:                              ; =>This Inner Loop Header: Depth=1
	buffer_load_dword v74, v71, s[0:3], 0 offen
	buffer_load_dword v75, v71, s[0:3], 0 offen offset:4
	v_mov_b32_e32 v73, s14
	ds_read_b64 v[76:77], v73
	v_add_u32_e32 v72, -1, v72
	s_add_i32 s14, s14, 8
	v_cmp_eq_u32_e32 vcc, 0, v72
	v_add_u32_e32 v71, 8, v71
	s_or_b64 s[6:7], vcc, s[6:7]
	s_waitcnt vmcnt(0) lgkmcnt(0)
	v_fmac_f64_e32 v[52:53], v[74:75], v[76:77]
	s_andn2_b64 exec, exec, s[6:7]
	s_cbranch_execnz .LBB24_83
; %bb.84:
	s_or_b64 exec, exec, s[6:7]
.LBB24_85:
	s_or_b64 exec, exec, s[12:13]
	v_mov_b32_e32 v71, 0
	ds_read_b64 v[72:73], v71 offset:120
	s_waitcnt lgkmcnt(0)
	v_mul_f64 v[52:53], v[52:53], v[72:73]
	buffer_store_dword v53, off, s[0:3], 0 offset:124
	buffer_store_dword v52, off, s[0:3], 0 offset:120
.LBB24_86:
	s_or_b64 exec, exec, s[10:11]
	buffer_load_dword v52, off, s[0:3], 0 offset:112
	buffer_load_dword v53, off, s[0:3], 0 offset:116
	v_cmp_lt_u32_e64 s[6:7], 14, v0
	s_waitcnt vmcnt(0)
	ds_write_b64 v54, v[52:53]
	s_waitcnt lgkmcnt(0)
	; wave barrier
	s_waitcnt lgkmcnt(0)
	s_and_saveexec_b64 s[10:11], s[6:7]
	s_cbranch_execz .LBB24_96
; %bb.87:
	s_andn2_b64 vcc, exec, s[8:9]
	s_cbranch_vccnz .LBB24_89
; %bb.88:
	buffer_load_dword v52, v55, s[0:3], 0 offen
	buffer_load_dword v53, v55, s[0:3], 0 offen offset:4
	ds_read_b64 v[72:73], v54
	s_waitcnt vmcnt(0) lgkmcnt(0)
	v_mul_f64 v[52:53], v[52:53], v[72:73]
	s_cbranch_execz .LBB24_90
	s_branch .LBB24_91
.LBB24_89:
                                        ; implicit-def: $vgpr52_vgpr53
.LBB24_90:
	ds_read_b64 v[52:53], v54
.LBB24_91:
	s_and_saveexec_b64 s[12:13], s[4:5]
	s_cbranch_execz .LBB24_95
; %bb.92:
	v_add_u32_e32 v71, -15, v0
	s_movk_i32 s14, 0x148
	s_mov_b64 s[4:5], 0
.LBB24_93:                              ; =>This Inner Loop Header: Depth=1
	buffer_load_dword v72, v70, s[0:3], 0 offen
	buffer_load_dword v73, v70, s[0:3], 0 offen offset:4
	v_mov_b32_e32 v74, s14
	ds_read_b64 v[74:75], v74
	v_add_u32_e32 v71, -1, v71
	s_add_i32 s14, s14, 8
	v_cmp_eq_u32_e32 vcc, 0, v71
	v_add_u32_e32 v70, 8, v70
	s_or_b64 s[4:5], vcc, s[4:5]
	s_waitcnt vmcnt(0) lgkmcnt(0)
	v_fmac_f64_e32 v[52:53], v[72:73], v[74:75]
	s_andn2_b64 exec, exec, s[4:5]
	s_cbranch_execnz .LBB24_93
; %bb.94:
	s_or_b64 exec, exec, s[4:5]
.LBB24_95:
	s_or_b64 exec, exec, s[12:13]
	v_mov_b32_e32 v70, 0
	ds_read_b64 v[70:71], v70 offset:112
	s_waitcnt lgkmcnt(0)
	v_mul_f64 v[52:53], v[52:53], v[70:71]
	buffer_store_dword v53, off, s[0:3], 0 offset:116
	buffer_store_dword v52, off, s[0:3], 0 offset:112
.LBB24_96:
	s_or_b64 exec, exec, s[10:11]
	buffer_load_dword v52, off, s[0:3], 0 offset:104
	buffer_load_dword v53, off, s[0:3], 0 offset:108
	v_cmp_lt_u32_e64 s[4:5], 13, v0
	s_waitcnt vmcnt(0)
	ds_write_b64 v54, v[52:53]
	s_waitcnt lgkmcnt(0)
	; wave barrier
	s_waitcnt lgkmcnt(0)
	s_and_saveexec_b64 s[10:11], s[4:5]
	s_cbranch_execz .LBB24_106
; %bb.97:
	s_andn2_b64 vcc, exec, s[8:9]
	s_cbranch_vccnz .LBB24_99
; %bb.98:
	buffer_load_dword v52, v55, s[0:3], 0 offen
	buffer_load_dword v53, v55, s[0:3], 0 offen offset:4
	ds_read_b64 v[70:71], v54
	s_waitcnt vmcnt(0) lgkmcnt(0)
	v_mul_f64 v[52:53], v[52:53], v[70:71]
	s_cbranch_execz .LBB24_100
	s_branch .LBB24_101
.LBB24_99:
                                        ; implicit-def: $vgpr52_vgpr53
.LBB24_100:
	ds_read_b64 v[52:53], v54
.LBB24_101:
	s_and_saveexec_b64 s[12:13], s[6:7]
	s_cbranch_execz .LBB24_105
; %bb.102:
	v_add_u32_e32 v70, -14, v0
	s_movk_i32 s14, 0x140
	s_mov_b64 s[6:7], 0
.LBB24_103:                             ; =>This Inner Loop Header: Depth=1
	buffer_load_dword v72, v69, s[0:3], 0 offen
	buffer_load_dword v73, v69, s[0:3], 0 offen offset:4
	v_mov_b32_e32 v71, s14
	ds_read_b64 v[74:75], v71
	v_add_u32_e32 v70, -1, v70
	s_add_i32 s14, s14, 8
	v_cmp_eq_u32_e32 vcc, 0, v70
	v_add_u32_e32 v69, 8, v69
	s_or_b64 s[6:7], vcc, s[6:7]
	s_waitcnt vmcnt(0) lgkmcnt(0)
	v_fmac_f64_e32 v[52:53], v[72:73], v[74:75]
	s_andn2_b64 exec, exec, s[6:7]
	s_cbranch_execnz .LBB24_103
; %bb.104:
	s_or_b64 exec, exec, s[6:7]
.LBB24_105:
	s_or_b64 exec, exec, s[12:13]
	v_mov_b32_e32 v69, 0
	ds_read_b64 v[70:71], v69 offset:104
	s_waitcnt lgkmcnt(0)
	v_mul_f64 v[52:53], v[52:53], v[70:71]
	buffer_store_dword v53, off, s[0:3], 0 offset:108
	buffer_store_dword v52, off, s[0:3], 0 offset:104
.LBB24_106:
	s_or_b64 exec, exec, s[10:11]
	buffer_load_dword v52, off, s[0:3], 0 offset:96
	buffer_load_dword v53, off, s[0:3], 0 offset:100
	v_cmp_lt_u32_e64 s[6:7], 12, v0
	s_waitcnt vmcnt(0)
	ds_write_b64 v54, v[52:53]
	s_waitcnt lgkmcnt(0)
	; wave barrier
	s_waitcnt lgkmcnt(0)
	s_and_saveexec_b64 s[10:11], s[6:7]
	s_cbranch_execz .LBB24_116
; %bb.107:
	s_andn2_b64 vcc, exec, s[8:9]
	s_cbranch_vccnz .LBB24_109
; %bb.108:
	buffer_load_dword v52, v55, s[0:3], 0 offen
	buffer_load_dword v53, v55, s[0:3], 0 offen offset:4
	ds_read_b64 v[70:71], v54
	s_waitcnt vmcnt(0) lgkmcnt(0)
	v_mul_f64 v[52:53], v[52:53], v[70:71]
	s_cbranch_execz .LBB24_110
	s_branch .LBB24_111
.LBB24_109:
                                        ; implicit-def: $vgpr52_vgpr53
.LBB24_110:
	ds_read_b64 v[52:53], v54
.LBB24_111:
	s_and_saveexec_b64 s[12:13], s[4:5]
	s_cbranch_execz .LBB24_115
; %bb.112:
	v_add_u32_e32 v69, -13, v0
	s_movk_i32 s14, 0x138
	s_mov_b64 s[4:5], 0
.LBB24_113:                             ; =>This Inner Loop Header: Depth=1
	buffer_load_dword v70, v68, s[0:3], 0 offen
	buffer_load_dword v71, v68, s[0:3], 0 offen offset:4
	v_mov_b32_e32 v72, s14
	ds_read_b64 v[72:73], v72
	v_add_u32_e32 v69, -1, v69
	s_add_i32 s14, s14, 8
	v_cmp_eq_u32_e32 vcc, 0, v69
	v_add_u32_e32 v68, 8, v68
	s_or_b64 s[4:5], vcc, s[4:5]
	s_waitcnt vmcnt(0) lgkmcnt(0)
	v_fmac_f64_e32 v[52:53], v[70:71], v[72:73]
	s_andn2_b64 exec, exec, s[4:5]
	s_cbranch_execnz .LBB24_113
; %bb.114:
	s_or_b64 exec, exec, s[4:5]
.LBB24_115:
	s_or_b64 exec, exec, s[12:13]
	v_mov_b32_e32 v68, 0
	ds_read_b64 v[68:69], v68 offset:96
	s_waitcnt lgkmcnt(0)
	v_mul_f64 v[52:53], v[52:53], v[68:69]
	buffer_store_dword v53, off, s[0:3], 0 offset:100
	buffer_store_dword v52, off, s[0:3], 0 offset:96
.LBB24_116:
	;; [unrolled: 58-line block ×13, first 2 shown]
	s_or_b64 exec, exec, s[10:11]
	buffer_load_dword v52, off, s[0:3], 0
	buffer_load_dword v53, off, s[0:3], 0 offset:4
	v_cmp_ne_u32_e32 vcc, 0, v0
	s_waitcnt vmcnt(0)
	ds_write_b64 v54, v[52:53]
	s_waitcnt lgkmcnt(0)
	; wave barrier
	s_waitcnt lgkmcnt(0)
	s_and_saveexec_b64 s[6:7], vcc
	s_cbranch_execz .LBB24_236
; %bb.227:
	s_andn2_b64 vcc, exec, s[8:9]
	s_cbranch_vccnz .LBB24_229
; %bb.228:
	buffer_load_dword v52, v55, s[0:3], 0 offen
	buffer_load_dword v53, v55, s[0:3], 0 offen offset:4
	ds_read_b64 v[58:59], v54
	s_waitcnt vmcnt(0) lgkmcnt(0)
	v_mul_f64 v[52:53], v[52:53], v[58:59]
	s_cbranch_execz .LBB24_230
	s_branch .LBB24_231
.LBB24_229:
                                        ; implicit-def: $vgpr52_vgpr53
.LBB24_230:
	ds_read_b64 v[52:53], v54
.LBB24_231:
	s_and_saveexec_b64 s[10:11], s[4:5]
	s_cbranch_execz .LBB24_235
; %bb.232:
	v_add_u32_e32 v57, -1, v0
	s_movk_i32 s12, 0xd8
	s_mov_b64 s[4:5], 0
.LBB24_233:                             ; =>This Inner Loop Header: Depth=1
	buffer_load_dword v58, v56, s[0:3], 0 offen
	buffer_load_dword v59, v56, s[0:3], 0 offen offset:4
	v_mov_b32_e32 v60, s12
	ds_read_b64 v[60:61], v60
	v_add_u32_e32 v57, -1, v57
	s_add_i32 s12, s12, 8
	v_cmp_eq_u32_e32 vcc, 0, v57
	v_add_u32_e32 v56, 8, v56
	s_or_b64 s[4:5], vcc, s[4:5]
	s_waitcnt vmcnt(0) lgkmcnt(0)
	v_fmac_f64_e32 v[52:53], v[58:59], v[60:61]
	s_andn2_b64 exec, exec, s[4:5]
	s_cbranch_execnz .LBB24_233
; %bb.234:
	s_or_b64 exec, exec, s[4:5]
.LBB24_235:
	s_or_b64 exec, exec, s[10:11]
	v_mov_b32_e32 v56, 0
	ds_read_b64 v[56:57], v56
	s_waitcnt lgkmcnt(0)
	v_mul_f64 v[52:53], v[52:53], v[56:57]
	buffer_store_dword v53, off, s[0:3], 0 offset:4
	buffer_store_dword v52, off, s[0:3], 0
.LBB24_236:
	s_or_b64 exec, exec, s[6:7]
	s_mov_b64 s[4:5], 0
.LBB24_237:
	s_and_b64 vcc, exec, s[4:5]
	s_cbranch_vccz .LBB24_471
; %bb.238:
	buffer_load_dword v52, off, s[0:3], 0 offset:8
	buffer_load_dword v53, off, s[0:3], 0 offset:12
	v_cmp_eq_u32_e64 s[6:7], 0, v0
	s_waitcnt vmcnt(0)
	ds_write_b64 v54, v[52:53]
	s_waitcnt lgkmcnt(0)
	; wave barrier
	s_waitcnt lgkmcnt(0)
	s_and_saveexec_b64 s[4:5], s[6:7]
	s_cbranch_execz .LBB24_244
; %bb.239:
	s_and_b64 vcc, exec, s[8:9]
	s_cbranch_vccz .LBB24_241
; %bb.240:
	buffer_load_dword v52, v55, s[0:3], 0 offen
	buffer_load_dword v53, v55, s[0:3], 0 offen offset:4
	ds_read_b64 v[56:57], v54
	s_waitcnt vmcnt(0) lgkmcnt(0)
	v_mul_f64 v[52:53], v[52:53], v[56:57]
	s_cbranch_execz .LBB24_242
	s_branch .LBB24_243
.LBB24_241:
                                        ; implicit-def: $vgpr52_vgpr53
.LBB24_242:
	ds_read_b64 v[52:53], v54
.LBB24_243:
	v_mov_b32_e32 v56, 0
	ds_read_b64 v[56:57], v56 offset:8
	s_waitcnt lgkmcnt(0)
	v_mul_f64 v[52:53], v[52:53], v[56:57]
	buffer_store_dword v53, off, s[0:3], 0 offset:12
	buffer_store_dword v52, off, s[0:3], 0 offset:8
.LBB24_244:
	s_or_b64 exec, exec, s[4:5]
	buffer_load_dword v52, off, s[0:3], 0 offset:16
	buffer_load_dword v53, off, s[0:3], 0 offset:20
	v_cndmask_b32_e64 v56, 0, 1, s[8:9]
	v_cmp_gt_u32_e32 vcc, 2, v0
	v_cmp_ne_u32_e64 s[4:5], 1, v56
	s_waitcnt vmcnt(0)
	ds_write_b64 v54, v[52:53]
	s_waitcnt lgkmcnt(0)
	; wave barrier
	s_waitcnt lgkmcnt(0)
	s_and_saveexec_b64 s[8:9], vcc
	s_cbranch_execz .LBB24_252
; %bb.245:
	s_and_b64 vcc, exec, s[4:5]
	s_cbranch_vccnz .LBB24_247
; %bb.246:
	buffer_load_dword v52, v55, s[0:3], 0 offen
	buffer_load_dword v53, v55, s[0:3], 0 offen offset:4
	ds_read_b64 v[56:57], v54
	s_waitcnt vmcnt(0) lgkmcnt(0)
	v_mul_f64 v[52:53], v[52:53], v[56:57]
	s_cbranch_execz .LBB24_248
	s_branch .LBB24_249
.LBB24_247:
                                        ; implicit-def: $vgpr52_vgpr53
.LBB24_248:
	ds_read_b64 v[52:53], v54
.LBB24_249:
	s_and_saveexec_b64 s[10:11], s[6:7]
	s_cbranch_execz .LBB24_251
; %bb.250:
	buffer_load_dword v56, v55, s[0:3], 0 offen offset:8
	buffer_load_dword v57, v55, s[0:3], 0 offen offset:12
	ds_read_b64 v[58:59], v54 offset:8
	s_waitcnt vmcnt(0) lgkmcnt(0)
	v_fmac_f64_e32 v[52:53], v[56:57], v[58:59]
.LBB24_251:
	s_or_b64 exec, exec, s[10:11]
	v_mov_b32_e32 v56, 0
	ds_read_b64 v[56:57], v56 offset:16
	s_waitcnt lgkmcnt(0)
	v_mul_f64 v[52:53], v[52:53], v[56:57]
	buffer_store_dword v53, off, s[0:3], 0 offset:20
	buffer_store_dword v52, off, s[0:3], 0 offset:16
.LBB24_252:
	s_or_b64 exec, exec, s[8:9]
	buffer_load_dword v52, off, s[0:3], 0 offset:24
	buffer_load_dword v53, off, s[0:3], 0 offset:28
	v_cmp_gt_u32_e32 vcc, 3, v0
	s_waitcnt vmcnt(0)
	ds_write_b64 v54, v[52:53]
	s_waitcnt lgkmcnt(0)
	; wave barrier
	s_waitcnt lgkmcnt(0)
	s_and_saveexec_b64 s[8:9], vcc
	s_cbranch_execz .LBB24_260
; %bb.253:
	s_and_b64 vcc, exec, s[4:5]
	s_cbranch_vccnz .LBB24_255
; %bb.254:
	buffer_load_dword v52, v55, s[0:3], 0 offen
	buffer_load_dword v53, v55, s[0:3], 0 offen offset:4
	ds_read_b64 v[56:57], v54
	s_waitcnt vmcnt(0) lgkmcnt(0)
	v_mul_f64 v[52:53], v[52:53], v[56:57]
	s_cbranch_execz .LBB24_256
	s_branch .LBB24_257
.LBB24_255:
                                        ; implicit-def: $vgpr52_vgpr53
.LBB24_256:
	ds_read_b64 v[52:53], v54
.LBB24_257:
	v_cmp_ne_u32_e32 vcc, 2, v0
	s_and_saveexec_b64 s[10:11], vcc
	s_cbranch_execz .LBB24_259
; %bb.258:
	buffer_load_dword v57, v55, s[0:3], 0 offen offset:12
	buffer_load_dword v58, off, s[0:3], 0 offset:16
	buffer_load_dword v56, v55, s[0:3], 0 offen offset:8
	buffer_load_dword v59, off, s[0:3], 0 offset:20
	v_mov_b32_e32 v62, 0
	ds_read_b64 v[60:61], v54 offset:8
	ds_read_b64 v[62:63], v62 offset:224
	s_waitcnt vmcnt(1) lgkmcnt(1)
	v_fmac_f64_e32 v[52:53], v[56:57], v[60:61]
	s_waitcnt vmcnt(0) lgkmcnt(0)
	v_fma_f64 v[56:57], v[58:59], v[62:63], v[52:53]
	v_cndmask_b32_e64 v53, v53, v57, s[6:7]
	v_cndmask_b32_e64 v52, v52, v56, s[6:7]
.LBB24_259:
	s_or_b64 exec, exec, s[10:11]
	v_mov_b32_e32 v56, 0
	ds_read_b64 v[56:57], v56 offset:24
	s_waitcnt lgkmcnt(0)
	v_mul_f64 v[52:53], v[52:53], v[56:57]
	buffer_store_dword v53, off, s[0:3], 0 offset:28
	buffer_store_dword v52, off, s[0:3], 0 offset:24
.LBB24_260:
	s_or_b64 exec, exec, s[8:9]
	buffer_load_dword v52, off, s[0:3], 0 offset:32
	buffer_load_dword v53, off, s[0:3], 0 offset:36
	v_cmp_gt_u32_e32 vcc, 4, v0
	s_waitcnt vmcnt(0)
	ds_write_b64 v54, v[52:53]
	s_waitcnt lgkmcnt(0)
	; wave barrier
	s_waitcnt lgkmcnt(0)
	s_and_saveexec_b64 s[6:7], vcc
	s_cbranch_execz .LBB24_270
; %bb.261:
	s_and_b64 vcc, exec, s[4:5]
	s_cbranch_vccnz .LBB24_263
; %bb.262:
	buffer_load_dword v52, v55, s[0:3], 0 offen
	buffer_load_dword v53, v55, s[0:3], 0 offen offset:4
	ds_read_b64 v[56:57], v54
	s_waitcnt vmcnt(0) lgkmcnt(0)
	v_mul_f64 v[52:53], v[52:53], v[56:57]
	s_cbranch_execz .LBB24_264
	s_branch .LBB24_265
.LBB24_263:
                                        ; implicit-def: $vgpr52_vgpr53
.LBB24_264:
	ds_read_b64 v[52:53], v54
.LBB24_265:
	v_cmp_ne_u32_e32 vcc, 3, v0
	s_and_saveexec_b64 s[8:9], vcc
	s_cbranch_execz .LBB24_269
; %bb.266:
	v_mov_b32_e32 v57, 0
	v_add_u32_e32 v56, 0xd8, v1
	v_add3_u32 v57, v1, v57, 8
	s_mov_b64 s[10:11], 0
	v_mov_b32_e32 v58, v0
.LBB24_267:                             ; =>This Inner Loop Header: Depth=1
	buffer_load_dword v60, v57, s[0:3], 0 offen
	buffer_load_dword v61, v57, s[0:3], 0 offen offset:4
	ds_read_b64 v[62:63], v56
	v_add_u32_e32 v58, 1, v58
	v_cmp_lt_u32_e32 vcc, 2, v58
	v_add_u32_e32 v56, 8, v56
	v_add_u32_e32 v57, 8, v57
	s_or_b64 s[10:11], vcc, s[10:11]
	s_waitcnt vmcnt(0) lgkmcnt(0)
	v_fmac_f64_e32 v[52:53], v[60:61], v[62:63]
	s_andn2_b64 exec, exec, s[10:11]
	s_cbranch_execnz .LBB24_267
; %bb.268:
	s_or_b64 exec, exec, s[10:11]
.LBB24_269:
	s_or_b64 exec, exec, s[8:9]
	v_mov_b32_e32 v56, 0
	ds_read_b64 v[56:57], v56 offset:32
	s_waitcnt lgkmcnt(0)
	v_mul_f64 v[52:53], v[52:53], v[56:57]
	buffer_store_dword v53, off, s[0:3], 0 offset:36
	buffer_store_dword v52, off, s[0:3], 0 offset:32
.LBB24_270:
	s_or_b64 exec, exec, s[6:7]
	buffer_load_dword v52, off, s[0:3], 0 offset:40
	buffer_load_dword v53, off, s[0:3], 0 offset:44
	v_cmp_gt_u32_e32 vcc, 5, v0
	s_waitcnt vmcnt(0)
	ds_write_b64 v54, v[52:53]
	s_waitcnt lgkmcnt(0)
	; wave barrier
	s_waitcnt lgkmcnt(0)
	s_and_saveexec_b64 s[6:7], vcc
	s_cbranch_execz .LBB24_280
; %bb.271:
	s_and_b64 vcc, exec, s[4:5]
	s_cbranch_vccnz .LBB24_273
; %bb.272:
	buffer_load_dword v52, v55, s[0:3], 0 offen
	buffer_load_dword v53, v55, s[0:3], 0 offen offset:4
	ds_read_b64 v[56:57], v54
	s_waitcnt vmcnt(0) lgkmcnt(0)
	v_mul_f64 v[52:53], v[52:53], v[56:57]
	s_cbranch_execz .LBB24_274
	s_branch .LBB24_275
.LBB24_273:
                                        ; implicit-def: $vgpr52_vgpr53
.LBB24_274:
	ds_read_b64 v[52:53], v54
.LBB24_275:
	v_cmp_ne_u32_e32 vcc, 4, v0
	s_and_saveexec_b64 s[8:9], vcc
	s_cbranch_execz .LBB24_279
; %bb.276:
	v_mov_b32_e32 v57, 0
	v_add_u32_e32 v56, 0xd8, v1
	v_add3_u32 v57, v1, v57, 8
	s_mov_b64 s[10:11], 0
	v_mov_b32_e32 v58, v0
.LBB24_277:                             ; =>This Inner Loop Header: Depth=1
	buffer_load_dword v60, v57, s[0:3], 0 offen
	buffer_load_dword v61, v57, s[0:3], 0 offen offset:4
	ds_read_b64 v[62:63], v56
	v_add_u32_e32 v58, 1, v58
	v_cmp_lt_u32_e32 vcc, 3, v58
	v_add_u32_e32 v56, 8, v56
	v_add_u32_e32 v57, 8, v57
	s_or_b64 s[10:11], vcc, s[10:11]
	s_waitcnt vmcnt(0) lgkmcnt(0)
	v_fmac_f64_e32 v[52:53], v[60:61], v[62:63]
	s_andn2_b64 exec, exec, s[10:11]
	s_cbranch_execnz .LBB24_277
; %bb.278:
	s_or_b64 exec, exec, s[10:11]
.LBB24_279:
	s_or_b64 exec, exec, s[8:9]
	v_mov_b32_e32 v56, 0
	ds_read_b64 v[56:57], v56 offset:40
	s_waitcnt lgkmcnt(0)
	v_mul_f64 v[52:53], v[52:53], v[56:57]
	buffer_store_dword v53, off, s[0:3], 0 offset:44
	buffer_store_dword v52, off, s[0:3], 0 offset:40
.LBB24_280:
	;; [unrolled: 60-line block ×19, first 2 shown]
	s_or_b64 exec, exec, s[6:7]
	buffer_load_dword v52, off, s[0:3], 0 offset:184
	buffer_load_dword v53, off, s[0:3], 0 offset:188
	v_cmp_gt_u32_e64 s[6:7], 23, v0
	s_waitcnt vmcnt(0)
	ds_write_b64 v54, v[52:53]
	s_waitcnt lgkmcnt(0)
	; wave barrier
	s_waitcnt lgkmcnt(0)
	s_and_saveexec_b64 s[8:9], s[6:7]
	s_cbranch_execz .LBB24_460
; %bb.451:
	s_and_b64 vcc, exec, s[4:5]
	s_cbranch_vccnz .LBB24_453
; %bb.452:
	buffer_load_dword v52, v55, s[0:3], 0 offen
	buffer_load_dword v53, v55, s[0:3], 0 offen offset:4
	ds_read_b64 v[56:57], v54
	s_waitcnt vmcnt(0) lgkmcnt(0)
	v_mul_f64 v[52:53], v[52:53], v[56:57]
	s_cbranch_execz .LBB24_454
	s_branch .LBB24_455
.LBB24_453:
                                        ; implicit-def: $vgpr52_vgpr53
.LBB24_454:
	ds_read_b64 v[52:53], v54
.LBB24_455:
	v_cmp_ne_u32_e32 vcc, 22, v0
	s_and_saveexec_b64 s[10:11], vcc
	s_cbranch_execz .LBB24_459
; %bb.456:
	v_mov_b32_e32 v57, 0
	v_add_u32_e32 v56, 0xd8, v1
	v_add3_u32 v57, v1, v57, 8
	s_mov_b64 s[12:13], 0
	v_mov_b32_e32 v58, v0
.LBB24_457:                             ; =>This Inner Loop Header: Depth=1
	buffer_load_dword v60, v57, s[0:3], 0 offen
	buffer_load_dword v61, v57, s[0:3], 0 offen offset:4
	ds_read_b64 v[62:63], v56
	v_add_u32_e32 v58, 1, v58
	v_cmp_lt_u32_e32 vcc, 21, v58
	v_add_u32_e32 v56, 8, v56
	v_add_u32_e32 v57, 8, v57
	s_or_b64 s[12:13], vcc, s[12:13]
	s_waitcnt vmcnt(0) lgkmcnt(0)
	v_fmac_f64_e32 v[52:53], v[60:61], v[62:63]
	s_andn2_b64 exec, exec, s[12:13]
	s_cbranch_execnz .LBB24_457
; %bb.458:
	s_or_b64 exec, exec, s[12:13]
.LBB24_459:
	s_or_b64 exec, exec, s[10:11]
	v_mov_b32_e32 v56, 0
	ds_read_b64 v[56:57], v56 offset:184
	s_waitcnt lgkmcnt(0)
	v_mul_f64 v[52:53], v[52:53], v[56:57]
	buffer_store_dword v53, off, s[0:3], 0 offset:188
	buffer_store_dword v52, off, s[0:3], 0 offset:184
.LBB24_460:
	s_or_b64 exec, exec, s[8:9]
	buffer_load_dword v52, off, s[0:3], 0 offset:192
	buffer_load_dword v53, off, s[0:3], 0 offset:196
	v_cmp_ne_u32_e32 vcc, 24, v0
	s_waitcnt vmcnt(0)
	ds_write_b64 v54, v[52:53]
	s_waitcnt lgkmcnt(0)
	; wave barrier
	s_waitcnt lgkmcnt(0)
	s_and_saveexec_b64 s[8:9], vcc
	s_cbranch_execz .LBB24_470
; %bb.461:
	s_and_b64 vcc, exec, s[4:5]
	s_cbranch_vccnz .LBB24_463
; %bb.462:
	buffer_load_dword v52, v55, s[0:3], 0 offen
	buffer_load_dword v53, v55, s[0:3], 0 offen offset:4
	ds_read_b64 v[56:57], v54
	s_waitcnt vmcnt(0) lgkmcnt(0)
	v_mul_f64 v[52:53], v[52:53], v[56:57]
	s_cbranch_execz .LBB24_464
	s_branch .LBB24_465
.LBB24_463:
                                        ; implicit-def: $vgpr52_vgpr53
.LBB24_464:
	ds_read_b64 v[52:53], v54
.LBB24_465:
	s_and_saveexec_b64 s[4:5], s[6:7]
	s_cbranch_execz .LBB24_469
; %bb.466:
	v_mov_b32_e32 v55, 0
	v_add_u32_e32 v54, 0xd8, v1
	v_add3_u32 v1, v1, v55, 8
	s_mov_b64 s[6:7], 0
.LBB24_467:                             ; =>This Inner Loop Header: Depth=1
	buffer_load_dword v56, v1, s[0:3], 0 offen
	buffer_load_dword v57, v1, s[0:3], 0 offen offset:4
	ds_read_b64 v[58:59], v54
	v_add_u32_e32 v0, 1, v0
	v_cmp_lt_u32_e32 vcc, 22, v0
	v_add_u32_e32 v54, 8, v54
	v_add_u32_e32 v1, 8, v1
	s_or_b64 s[6:7], vcc, s[6:7]
	s_waitcnt vmcnt(0) lgkmcnt(0)
	v_fmac_f64_e32 v[52:53], v[56:57], v[58:59]
	s_andn2_b64 exec, exec, s[6:7]
	s_cbranch_execnz .LBB24_467
; %bb.468:
	s_or_b64 exec, exec, s[6:7]
.LBB24_469:
	s_or_b64 exec, exec, s[4:5]
	v_mov_b32_e32 v0, 0
	ds_read_b64 v[0:1], v0 offset:192
	s_waitcnt lgkmcnt(0)
	v_mul_f64 v[0:1], v[52:53], v[0:1]
	buffer_store_dword v1, off, s[0:3], 0 offset:196
	buffer_store_dword v0, off, s[0:3], 0 offset:192
.LBB24_470:
	s_or_b64 exec, exec, s[8:9]
.LBB24_471:
	buffer_load_dword v0, off, s[0:3], 0
	buffer_load_dword v1, off, s[0:3], 0 offset:4
	buffer_load_dword v52, off, s[0:3], 0 offset:8
	;; [unrolled: 1-line block ×15, first 2 shown]
	s_waitcnt vmcnt(14)
	global_store_dwordx2 v[2:3], v[0:1], off
	s_waitcnt vmcnt(13)
	global_store_dwordx2 v[4:5], v[52:53], off
	;; [unrolled: 2-line block ×8, first 2 shown]
	buffer_load_dword v1, off, s[0:3], 0 offset:68
	buffer_load_dword v0, off, s[0:3], 0 offset:64
	s_waitcnt vmcnt(0)
	global_store_dwordx2 v[22:23], v[0:1], off
	buffer_load_dword v0, off, s[0:3], 0 offset:72
	s_nop 0
	buffer_load_dword v1, off, s[0:3], 0 offset:76
	s_waitcnt vmcnt(0)
	global_store_dwordx2 v[16:17], v[0:1], off
	buffer_load_dword v0, off, s[0:3], 0 offset:80
	s_nop 0
	;; [unrolled: 5-line block ×16, first 2 shown]
	buffer_load_dword v1, off, s[0:3], 0 offset:196
	s_waitcnt vmcnt(0)
	global_store_dwordx2 v[44:45], v[0:1], off
.LBB24_472:
	s_endpgm
	.section	.rodata,"a",@progbits
	.p2align	6, 0x0
	.amdhsa_kernel _ZN9rocsolver6v33100L18trti2_kernel_smallILi25EdPdEEv13rocblas_fill_17rocblas_diagonal_T1_iil
		.amdhsa_group_segment_fixed_size 408
		.amdhsa_private_segment_fixed_size 208
		.amdhsa_kernarg_size 32
		.amdhsa_user_sgpr_count 8
		.amdhsa_user_sgpr_private_segment_buffer 1
		.amdhsa_user_sgpr_dispatch_ptr 0
		.amdhsa_user_sgpr_queue_ptr 0
		.amdhsa_user_sgpr_kernarg_segment_ptr 1
		.amdhsa_user_sgpr_dispatch_id 0
		.amdhsa_user_sgpr_flat_scratch_init 1
		.amdhsa_user_sgpr_kernarg_preload_length 0
		.amdhsa_user_sgpr_kernarg_preload_offset 0
		.amdhsa_user_sgpr_private_segment_size 0
		.amdhsa_uses_dynamic_stack 0
		.amdhsa_system_sgpr_private_segment_wavefront_offset 1
		.amdhsa_system_sgpr_workgroup_id_x 1
		.amdhsa_system_sgpr_workgroup_id_y 0
		.amdhsa_system_sgpr_workgroup_id_z 0
		.amdhsa_system_sgpr_workgroup_info 0
		.amdhsa_system_vgpr_workitem_id 0
		.amdhsa_next_free_vgpr 92
		.amdhsa_next_free_sgpr 20
		.amdhsa_accum_offset 92
		.amdhsa_reserve_vcc 1
		.amdhsa_reserve_flat_scratch 0
		.amdhsa_float_round_mode_32 0
		.amdhsa_float_round_mode_16_64 0
		.amdhsa_float_denorm_mode_32 3
		.amdhsa_float_denorm_mode_16_64 3
		.amdhsa_dx10_clamp 1
		.amdhsa_ieee_mode 1
		.amdhsa_fp16_overflow 0
		.amdhsa_tg_split 0
		.amdhsa_exception_fp_ieee_invalid_op 0
		.amdhsa_exception_fp_denorm_src 0
		.amdhsa_exception_fp_ieee_div_zero 0
		.amdhsa_exception_fp_ieee_overflow 0
		.amdhsa_exception_fp_ieee_underflow 0
		.amdhsa_exception_fp_ieee_inexact 0
		.amdhsa_exception_int_div_zero 0
	.end_amdhsa_kernel
	.section	.text._ZN9rocsolver6v33100L18trti2_kernel_smallILi25EdPdEEv13rocblas_fill_17rocblas_diagonal_T1_iil,"axG",@progbits,_ZN9rocsolver6v33100L18trti2_kernel_smallILi25EdPdEEv13rocblas_fill_17rocblas_diagonal_T1_iil,comdat
.Lfunc_end24:
	.size	_ZN9rocsolver6v33100L18trti2_kernel_smallILi25EdPdEEv13rocblas_fill_17rocblas_diagonal_T1_iil, .Lfunc_end24-_ZN9rocsolver6v33100L18trti2_kernel_smallILi25EdPdEEv13rocblas_fill_17rocblas_diagonal_T1_iil
                                        ; -- End function
	.section	.AMDGPU.csdata,"",@progbits
; Kernel info:
; codeLenInByte = 14480
; NumSgprs: 24
; NumVgprs: 92
; NumAgprs: 0
; TotalNumVgprs: 92
; ScratchSize: 208
; MemoryBound: 0
; FloatMode: 240
; IeeeMode: 1
; LDSByteSize: 408 bytes/workgroup (compile time only)
; SGPRBlocks: 2
; VGPRBlocks: 11
; NumSGPRsForWavesPerEU: 24
; NumVGPRsForWavesPerEU: 92
; AccumOffset: 92
; Occupancy: 5
; WaveLimiterHint : 0
; COMPUTE_PGM_RSRC2:SCRATCH_EN: 1
; COMPUTE_PGM_RSRC2:USER_SGPR: 8
; COMPUTE_PGM_RSRC2:TRAP_HANDLER: 0
; COMPUTE_PGM_RSRC2:TGID_X_EN: 1
; COMPUTE_PGM_RSRC2:TGID_Y_EN: 0
; COMPUTE_PGM_RSRC2:TGID_Z_EN: 0
; COMPUTE_PGM_RSRC2:TIDIG_COMP_CNT: 0
; COMPUTE_PGM_RSRC3_GFX90A:ACCUM_OFFSET: 22
; COMPUTE_PGM_RSRC3_GFX90A:TG_SPLIT: 0
	.section	.text._ZN9rocsolver6v33100L18trti2_kernel_smallILi26EdPdEEv13rocblas_fill_17rocblas_diagonal_T1_iil,"axG",@progbits,_ZN9rocsolver6v33100L18trti2_kernel_smallILi26EdPdEEv13rocblas_fill_17rocblas_diagonal_T1_iil,comdat
	.globl	_ZN9rocsolver6v33100L18trti2_kernel_smallILi26EdPdEEv13rocblas_fill_17rocblas_diagonal_T1_iil ; -- Begin function _ZN9rocsolver6v33100L18trti2_kernel_smallILi26EdPdEEv13rocblas_fill_17rocblas_diagonal_T1_iil
	.p2align	8
	.type	_ZN9rocsolver6v33100L18trti2_kernel_smallILi26EdPdEEv13rocblas_fill_17rocblas_diagonal_T1_iil,@function
_ZN9rocsolver6v33100L18trti2_kernel_smallILi26EdPdEEv13rocblas_fill_17rocblas_diagonal_T1_iil: ; @_ZN9rocsolver6v33100L18trti2_kernel_smallILi26EdPdEEv13rocblas_fill_17rocblas_diagonal_T1_iil
; %bb.0:
	s_add_u32 s0, s0, s9
	s_addc_u32 s1, s1, 0
	v_cmp_gt_u32_e32 vcc, 26, v0
	s_and_saveexec_b64 s[6:7], vcc
	s_cbranch_execz .LBB25_492
; %bb.1:
	s_load_dwordx8 s[12:19], s[4:5], 0x0
	s_ashr_i32 s6, s8, 31
	v_lshlrev_b32_e32 v1, 3, v0
	s_waitcnt lgkmcnt(0)
	s_mul_i32 s7, s8, s19
	s_mul_hi_u32 s9, s8, s18
	s_add_i32 s7, s9, s7
	s_mul_i32 s6, s6, s18
	s_add_i32 s7, s7, s6
	s_mul_i32 s6, s8, s18
	s_ashr_i32 s5, s16, 31
	s_lshl_b64 s[6:7], s[6:7], 3
	s_mov_b32 s4, s16
	s_add_u32 s6, s14, s6
	s_addc_u32 s7, s15, s7
	s_lshl_b64 s[4:5], s[4:5], 3
	s_add_u32 s4, s6, s4
	s_addc_u32 s5, s7, s5
	global_load_dwordx2 v[54:55], v1, s[4:5]
	s_add_i32 s8, s17, s17
	v_add_u32_e32 v2, s8, v0
	v_add_u32_e32 v8, s17, v2
	;; [unrolled: 1-line block ×14, first 2 shown]
	v_mov_b32_e32 v3, s5
	v_add_co_u32_e32 v4, vcc, s4, v1
	v_add_u32_e32 v42, s17, v40
	v_addc_co_u32_e32 v5, vcc, 0, v3, vcc
	v_ashrrev_i32_e32 v3, 31, v2
	v_add_u32_e32 v44, s17, v42
	v_lshlrev_b64 v[2:3], 3, v[2:3]
	v_add_u32_e32 v46, s17, v44
	v_mov_b32_e32 v7, s5
	v_ashrrev_i32_e32 v9, 31, v8
	v_add_co_u32_e32 v6, vcc, s4, v2
	v_add_u32_e32 v50, s17, v46
	v_addc_co_u32_e32 v7, vcc, v7, v3, vcc
	v_lshlrev_b64 v[2:3], 3, v[8:9]
	v_add_u32_e32 v58, s17, v50
	v_mov_b32_e32 v13, s5
	v_ashrrev_i32_e32 v11, 31, v10
	v_add_co_u32_e32 v8, vcc, s4, v2
	v_add_u32_e32 v60, s17, v58
	v_addc_co_u32_e32 v9, vcc, v13, v3, vcc
	;; [unrolled: 7-line block ×3, first 2 shown]
	v_lshlrev_b64 v[2:3], 3, v[12:13]
	v_add_u32_e32 v66, s17, v64
	v_mov_b32_e32 v17, s5
	v_add_co_u32_e32 v12, vcc, s4, v2
	v_add_u32_e32 v2, s17, v66
	v_addc_co_u32_e32 v13, vcc, v17, v3, vcc
	v_ashrrev_i32_e32 v3, 31, v2
	v_lshlrev_b64 v[2:3], 3, v[2:3]
	v_mov_b32_e32 v21, s5
	v_ashrrev_i32_e32 v15, 31, v14
	v_add_co_u32_e32 v2, vcc, s4, v2
	v_lshlrev_b64 v[14:15], 3, v[14:15]
	v_addc_co_u32_e32 v3, vcc, v21, v3, vcc
	global_load_dwordx2 v[56:57], v[2:3], off
	global_load_dwordx2 v[70:71], v[6:7], off
	v_mov_b32_e32 v19, s5
	v_add_co_u32_e32 v26, vcc, s4, v14
	v_ashrrev_i32_e32 v17, 31, v16
	v_addc_co_u32_e32 v27, vcc, v19, v15, vcc
	v_lshlrev_b64 v[14:15], 3, v[16:17]
	v_mov_b32_e32 v16, s5
	v_add_co_u32_e32 v28, vcc, s4, v14
	v_ashrrev_i32_e32 v19, 31, v18
	v_addc_co_u32_e32 v29, vcc, v16, v15, vcc
	v_lshlrev_b64 v[14:15], 3, v[18:19]
	v_add_co_u32_e32 v30, vcc, s4, v14
	v_ashrrev_i32_e32 v21, 31, v20
	v_addc_co_u32_e32 v31, vcc, v16, v15, vcc
	v_lshlrev_b64 v[14:15], 3, v[20:21]
	;; [unrolled: 4-line block ×6, first 2 shown]
	v_mov_b32_e32 v17, s5
	v_add_co_u32_e32 v16, vcc, s4, v14
	v_ashrrev_i32_e32 v39, 31, v38
	v_addc_co_u32_e32 v17, vcc, v17, v15, vcc
	v_lshlrev_b64 v[14:15], 3, v[38:39]
	s_mov_b32 s6, s17
	s_ashr_i32 s7, s17, 31
	v_mov_b32_e32 v32, s5
	v_add_co_u32_e32 v14, vcc, s4, v14
	s_lshl_b64 s[6:7], s[6:7], 3
	v_addc_co_u32_e32 v15, vcc, v32, v15, vcc
	v_mov_b32_e32 v43, s7
	v_add_co_u32_e32 v52, vcc, s6, v4
	v_addc_co_u32_e32 v53, vcc, v5, v43, vcc
	s_waitcnt vmcnt(2)
	buffer_store_dword v55, off, s[0:3], 0 offset:4
	global_load_dwordx2 v[68:69], v[52:53], off
	global_load_dwordx2 v[72:73], v[8:9], off
	;; [unrolled: 1-line block ×5, first 2 shown]
	v_ashrrev_i32_e32 v41, 31, v40
	v_lshlrev_b64 v[32:33], 3, v[40:41]
	v_mov_b32_e32 v34, s5
	v_add_co_u32_e32 v32, vcc, s4, v32
	v_ashrrev_i32_e32 v43, 31, v42
	v_addc_co_u32_e32 v33, vcc, v34, v33, vcc
	v_lshlrev_b64 v[34:35], 3, v[42:43]
	v_mov_b32_e32 v36, s5
	v_add_co_u32_e32 v34, vcc, s4, v34
	v_ashrrev_i32_e32 v45, 31, v44
	v_addc_co_u32_e32 v35, vcc, v36, v35, vcc
	;; [unrolled: 5-line block ×3, first 2 shown]
	v_lshlrev_b64 v[36:37], 3, v[46:47]
	v_add_co_u32_e32 v46, vcc, s4, v36
	v_ashrrev_i32_e32 v51, 31, v50
	v_addc_co_u32_e32 v47, vcc, v38, v37, vcc
	v_lshlrev_b64 v[36:37], 3, v[50:51]
	v_add_co_u32_e32 v44, vcc, s4, v36
	v_ashrrev_i32_e32 v59, 31, v58
	v_addc_co_u32_e32 v45, vcc, v38, v37, vcc
	v_lshlrev_b64 v[36:37], 3, v[58:59]
	global_load_dwordx2 v[58:59], v[28:29], off
	v_add_co_u32_e32 v42, vcc, s4, v36
	v_ashrrev_i32_e32 v61, 31, v60
	v_addc_co_u32_e32 v43, vcc, v38, v37, vcc
	v_lshlrev_b64 v[36:37], 3, v[60:61]
	v_add_co_u32_e32 v40, vcc, s4, v36
	v_ashrrev_i32_e32 v63, 31, v62
	v_addc_co_u32_e32 v41, vcc, v38, v37, vcc
	v_lshlrev_b64 v[36:37], 3, v[62:63]
	v_mov_b32_e32 v39, s5
	v_add_co_u32_e32 v38, vcc, s4, v36
	v_ashrrev_i32_e32 v65, 31, v64
	v_addc_co_u32_e32 v39, vcc, v39, v37, vcc
	v_lshlrev_b64 v[36:37], 3, v[64:65]
	v_mov_b32_e32 v50, s5
	;; [unrolled: 5-line block ×3, first 2 shown]
	global_load_dwordx2 v[60:61], v[30:31], off
	global_load_dwordx2 v[62:63], v[24:25], off
	;; [unrolled: 1-line block ×4, first 2 shown]
	v_add_co_u32_e32 v50, vcc, s4, v50
	v_addc_co_u32_e32 v51, vcc, v55, v51, vcc
	global_load_dwordx2 v[80:81], v[18:19], off
	global_load_dwordx2 v[82:83], v[14:15], off
	;; [unrolled: 1-line block ×6, first 2 shown]
	s_cmpk_lg_i32 s13, 0x84
	buffer_store_dword v54, off, s[0:3], 0
	s_waitcnt vmcnt(16)
	buffer_store_dword v69, off, s[0:3], 0 offset:12
	buffer_store_dword v68, off, s[0:3], 0 offset:8
	global_load_dwordx2 v[68:69], v[32:33], off
	s_cselect_b64 s[8:9], -1, 0
	global_load_dwordx2 v[54:55], v[16:17], off
	s_cmpk_eq_i32 s13, 0x84
	buffer_store_dword v71, off, s[0:3], 0 offset:20
	buffer_store_dword v70, off, s[0:3], 0 offset:16
	global_load_dwordx2 v[70:71], v[48:49], off
	s_waitcnt vmcnt(22)
	buffer_store_dword v73, off, s[0:3], 0 offset:28
	buffer_store_dword v72, off, s[0:3], 0 offset:24
	global_load_dwordx2 v[72:73], v[44:45], off
	s_waitcnt vmcnt(24)
	;; [unrolled: 4-line block ×5, first 2 shown]
	buffer_store_dword v59, off, s[0:3], 0 offset:60
	buffer_store_dword v58, off, s[0:3], 0 offset:56
	s_waitcnt vmcnt(31)
	buffer_store_dword v61, off, s[0:3], 0 offset:68
	buffer_store_dword v60, off, s[0:3], 0 offset:64
	s_waitcnt vmcnt(32)
	;; [unrolled: 3-line block ×6, first 2 shown]
	buffer_store_dword v54, off, s[0:3], 0 offset:104
	buffer_store_dword v55, off, s[0:3], 0 offset:108
	;; [unrolled: 1-line block ×8, first 2 shown]
	s_waitcnt vmcnt(32)
	buffer_store_dword v70, off, s[0:3], 0 offset:136
	buffer_store_dword v71, off, s[0:3], 0 offset:140
	buffer_store_dword v86, off, s[0:3], 0 offset:144
	buffer_store_dword v87, off, s[0:3], 0 offset:148
	s_waitcnt vmcnt(33)
	buffer_store_dword v73, off, s[0:3], 0 offset:156
	buffer_store_dword v72, off, s[0:3], 0 offset:152
	buffer_store_dword v89, off, s[0:3], 0 offset:164
	buffer_store_dword v88, off, s[0:3], 0 offset:160
	;; [unrolled: 5-line block ×3, first 2 shown]
	s_waitcnt vmcnt(35)
	buffer_store_dword v76, off, s[0:3], 0 offset:184
	buffer_store_dword v77, off, s[0:3], 0 offset:188
	v_mov_b32_e32 v54, 0
	v_mov_b32_e32 v80, 0
	;; [unrolled: 1-line block ×3, first 2 shown]
	s_waitcnt vmcnt(34)
	buffer_store_dword v78, off, s[0:3], 0 offset:192
	buffer_store_dword v79, off, s[0:3], 0 offset:196
	;; [unrolled: 1-line block ×4, first 2 shown]
	s_cbranch_scc1 .LBB25_3
; %bb.2:
	v_lshl_add_u32 v64, v0, 3, v80
	buffer_load_dword v54, v64, s[0:3], 0 offen
	buffer_load_dword v55, v64, s[0:3], 0 offen offset:4
	s_waitcnt vmcnt(0)
	v_div_scale_f64 v[56:57], s[4:5], v[54:55], v[54:55], 1.0
	v_rcp_f64_e32 v[58:59], v[56:57]
	v_div_scale_f64 v[60:61], vcc, 1.0, v[54:55], 1.0
	v_fma_f64 v[62:63], -v[56:57], v[58:59], 1.0
	v_fmac_f64_e32 v[58:59], v[58:59], v[62:63]
	v_fma_f64 v[62:63], -v[56:57], v[58:59], 1.0
	v_fmac_f64_e32 v[58:59], v[58:59], v[62:63]
	v_mul_f64 v[62:63], v[60:61], v[58:59]
	v_fma_f64 v[56:57], -v[56:57], v[62:63], v[60:61]
	v_div_fmas_f64 v[56:57], v[56:57], v[58:59], v[62:63]
	v_div_fixup_f64 v[54:55], v[56:57], v[54:55], 1.0
	buffer_store_dword v54, v64, s[0:3], 0 offen
	buffer_store_dword v55, v64, s[0:3], 0 offen offset:4
	v_xor_b32_e32 v55, 0x80000000, v55
.LBB25_3:
	s_cmpk_eq_i32 s12, 0x79
	v_add_u32_e32 v56, 0xd0, v1
	v_add_u32_e32 v57, 0, v1
	s_mov_b64 s[4:5], -1
	ds_write_b64 v1, v[54:55]
	s_cbranch_scc1 .LBB25_247
; %bb.4:
	buffer_load_dword v54, off, s[0:3], 0 offset:192
	buffer_load_dword v55, off, s[0:3], 0 offset:196
	v_cmp_eq_u32_e64 s[4:5], 25, v0
	s_waitcnt vmcnt(0)
	ds_write_b64 v56, v[54:55]
	s_waitcnt lgkmcnt(0)
	; wave barrier
	s_waitcnt lgkmcnt(0)
	s_and_saveexec_b64 s[6:7], s[4:5]
	s_cbranch_execz .LBB25_10
; %bb.5:
	s_and_b64 vcc, exec, s[8:9]
	s_cbranch_vccz .LBB25_7
; %bb.6:
	buffer_load_dword v54, v57, s[0:3], 0 offen
	buffer_load_dword v55, v57, s[0:3], 0 offen offset:4
	ds_read_b64 v[58:59], v56
	s_waitcnt vmcnt(0) lgkmcnt(0)
	v_mul_f64 v[54:55], v[54:55], v[58:59]
	s_cbranch_execz .LBB25_8
	s_branch .LBB25_9
.LBB25_7:
                                        ; implicit-def: $vgpr54_vgpr55
.LBB25_8:
	ds_read_b64 v[54:55], v56
.LBB25_9:
	v_mov_b32_e32 v58, 0
	ds_read_b64 v[58:59], v58 offset:192
	s_waitcnt lgkmcnt(0)
	v_mul_f64 v[54:55], v[54:55], v[58:59]
	buffer_store_dword v55, off, s[0:3], 0 offset:196
	buffer_store_dword v54, off, s[0:3], 0 offset:192
.LBB25_10:
	s_or_b64 exec, exec, s[6:7]
	buffer_load_dword v54, off, s[0:3], 0 offset:184
	buffer_load_dword v55, off, s[0:3], 0 offset:188
	v_or_b32_e32 v58, 8, v80
	v_add_u32_e32 v59, 16, v80
	v_add_u32_e32 v60, 24, v80
	;; [unrolled: 1-line block ×22, first 2 shown]
	v_cmp_lt_u32_e64 s[6:7], 23, v0
	s_waitcnt vmcnt(0)
	ds_write_b64 v56, v[54:55]
	s_waitcnt lgkmcnt(0)
	; wave barrier
	s_waitcnt lgkmcnt(0)
	s_and_saveexec_b64 s[10:11], s[6:7]
	s_cbranch_execz .LBB25_16
; %bb.11:
	s_andn2_b64 vcc, exec, s[8:9]
	s_cbranch_vccnz .LBB25_13
; %bb.12:
	buffer_load_dword v54, v57, s[0:3], 0 offen
	buffer_load_dword v55, v57, s[0:3], 0 offen offset:4
	ds_read_b64 v[82:83], v56
	s_waitcnt vmcnt(0) lgkmcnt(0)
	v_mul_f64 v[54:55], v[54:55], v[82:83]
	s_cbranch_execz .LBB25_14
	s_branch .LBB25_15
.LBB25_13:
                                        ; implicit-def: $vgpr54_vgpr55
.LBB25_14:
	ds_read_b64 v[54:55], v56
.LBB25_15:
	buffer_load_dword v86, off, s[0:3], 0 offset:192
	buffer_load_dword v87, off, s[0:3], 0 offset:196
	v_mov_b32_e32 v81, 0
	ds_read2_b64 v[82:85], v81 offset0:23 offset1:50
	s_waitcnt vmcnt(0) lgkmcnt(0)
	v_fma_f64 v[84:85], v[86:87], v[84:85], v[54:55]
	v_cndmask_b32_e64 v55, v55, v85, s[4:5]
	v_cndmask_b32_e64 v54, v54, v84, s[4:5]
	v_mul_f64 v[54:55], v[54:55], v[82:83]
	buffer_store_dword v55, off, s[0:3], 0 offset:188
	buffer_store_dword v54, off, s[0:3], 0 offset:184
.LBB25_16:
	s_or_b64 exec, exec, s[10:11]
	buffer_load_dword v54, off, s[0:3], 0 offset:176
	buffer_load_dword v55, off, s[0:3], 0 offset:180
	v_cmp_lt_u32_e64 s[4:5], 22, v0
	s_waitcnt vmcnt(0)
	ds_write_b64 v56, v[54:55]
	s_waitcnt lgkmcnt(0)
	; wave barrier
	s_waitcnt lgkmcnt(0)
	s_and_saveexec_b64 s[10:11], s[4:5]
	s_cbranch_execz .LBB25_26
; %bb.17:
	s_andn2_b64 vcc, exec, s[8:9]
	s_cbranch_vccnz .LBB25_19
; %bb.18:
	buffer_load_dword v54, v57, s[0:3], 0 offen
	buffer_load_dword v55, v57, s[0:3], 0 offen offset:4
	ds_read_b64 v[82:83], v56
	s_waitcnt vmcnt(0) lgkmcnt(0)
	v_mul_f64 v[54:55], v[54:55], v[82:83]
	s_cbranch_execz .LBB25_20
	s_branch .LBB25_21
.LBB25_19:
                                        ; implicit-def: $vgpr54_vgpr55
.LBB25_20:
	ds_read_b64 v[54:55], v56
.LBB25_21:
	s_and_saveexec_b64 s[12:13], s[6:7]
	s_cbranch_execz .LBB25_25
; %bb.22:
	v_subrev_u32_e32 v81, 23, v0
	s_movk_i32 s14, 0x188
	s_mov_b64 s[6:7], 0
.LBB25_23:                              ; =>This Inner Loop Header: Depth=1
	buffer_load_dword v82, v80, s[0:3], 0 offen
	buffer_load_dword v83, v80, s[0:3], 0 offen offset:4
	v_mov_b32_e32 v84, s14
	ds_read_b64 v[84:85], v84
	v_add_u32_e32 v81, -1, v81
	s_add_i32 s14, s14, 8
	v_cmp_eq_u32_e32 vcc, 0, v81
	v_add_u32_e32 v80, 8, v80
	s_or_b64 s[6:7], vcc, s[6:7]
	s_waitcnt vmcnt(0) lgkmcnt(0)
	v_fmac_f64_e32 v[54:55], v[82:83], v[84:85]
	s_andn2_b64 exec, exec, s[6:7]
	s_cbranch_execnz .LBB25_23
; %bb.24:
	s_or_b64 exec, exec, s[6:7]
.LBB25_25:
	s_or_b64 exec, exec, s[12:13]
	v_mov_b32_e32 v80, 0
	ds_read_b64 v[80:81], v80 offset:176
	s_waitcnt lgkmcnt(0)
	v_mul_f64 v[54:55], v[54:55], v[80:81]
	buffer_store_dword v55, off, s[0:3], 0 offset:180
	buffer_store_dword v54, off, s[0:3], 0 offset:176
.LBB25_26:
	s_or_b64 exec, exec, s[10:11]
	buffer_load_dword v54, off, s[0:3], 0 offset:168
	buffer_load_dword v55, off, s[0:3], 0 offset:172
	v_cmp_lt_u32_e64 s[6:7], 21, v0
	s_waitcnt vmcnt(0)
	ds_write_b64 v56, v[54:55]
	s_waitcnt lgkmcnt(0)
	; wave barrier
	s_waitcnt lgkmcnt(0)
	s_and_saveexec_b64 s[10:11], s[6:7]
	s_cbranch_execz .LBB25_36
; %bb.27:
	s_andn2_b64 vcc, exec, s[8:9]
	s_cbranch_vccnz .LBB25_29
; %bb.28:
	buffer_load_dword v54, v57, s[0:3], 0 offen
	buffer_load_dword v55, v57, s[0:3], 0 offen offset:4
	ds_read_b64 v[80:81], v56
	s_waitcnt vmcnt(0) lgkmcnt(0)
	v_mul_f64 v[54:55], v[54:55], v[80:81]
	s_cbranch_execz .LBB25_30
	s_branch .LBB25_31
.LBB25_29:
                                        ; implicit-def: $vgpr54_vgpr55
.LBB25_30:
	ds_read_b64 v[54:55], v56
.LBB25_31:
	s_and_saveexec_b64 s[12:13], s[4:5]
	s_cbranch_execz .LBB25_35
; %bb.32:
	v_subrev_u32_e32 v80, 22, v0
	s_movk_i32 s14, 0x180
	s_mov_b64 s[4:5], 0
.LBB25_33:                              ; =>This Inner Loop Header: Depth=1
	buffer_load_dword v82, v79, s[0:3], 0 offen
	buffer_load_dword v83, v79, s[0:3], 0 offen offset:4
	v_mov_b32_e32 v81, s14
	ds_read_b64 v[84:85], v81
	v_add_u32_e32 v80, -1, v80
	s_add_i32 s14, s14, 8
	v_cmp_eq_u32_e32 vcc, 0, v80
	v_add_u32_e32 v79, 8, v79
	s_or_b64 s[4:5], vcc, s[4:5]
	s_waitcnt vmcnt(0) lgkmcnt(0)
	v_fmac_f64_e32 v[54:55], v[82:83], v[84:85]
	s_andn2_b64 exec, exec, s[4:5]
	s_cbranch_execnz .LBB25_33
; %bb.34:
	s_or_b64 exec, exec, s[4:5]
.LBB25_35:
	s_or_b64 exec, exec, s[12:13]
	v_mov_b32_e32 v79, 0
	ds_read_b64 v[80:81], v79 offset:168
	s_waitcnt lgkmcnt(0)
	v_mul_f64 v[54:55], v[54:55], v[80:81]
	buffer_store_dword v55, off, s[0:3], 0 offset:172
	buffer_store_dword v54, off, s[0:3], 0 offset:168
.LBB25_36:
	;; [unrolled: 58-line block ×7, first 2 shown]
	s_or_b64 exec, exec, s[10:11]
	buffer_load_dword v54, off, s[0:3], 0 offset:120
	buffer_load_dword v55, off, s[0:3], 0 offset:124
	v_cmp_lt_u32_e64 s[6:7], 15, v0
	s_waitcnt vmcnt(0)
	ds_write_b64 v56, v[54:55]
	s_waitcnt lgkmcnt(0)
	; wave barrier
	s_waitcnt lgkmcnt(0)
	s_and_saveexec_b64 s[10:11], s[6:7]
	s_cbranch_execz .LBB25_96
; %bb.87:
	s_andn2_b64 vcc, exec, s[8:9]
	s_cbranch_vccnz .LBB25_89
; %bb.88:
	buffer_load_dword v54, v57, s[0:3], 0 offen
	buffer_load_dword v55, v57, s[0:3], 0 offen offset:4
	ds_read_b64 v[74:75], v56
	s_waitcnt vmcnt(0) lgkmcnt(0)
	v_mul_f64 v[54:55], v[54:55], v[74:75]
	s_cbranch_execz .LBB25_90
	s_branch .LBB25_91
.LBB25_89:
                                        ; implicit-def: $vgpr54_vgpr55
.LBB25_90:
	ds_read_b64 v[54:55], v56
.LBB25_91:
	s_and_saveexec_b64 s[12:13], s[4:5]
	s_cbranch_execz .LBB25_95
; %bb.92:
	v_add_u32_e32 v74, -16, v0
	s_movk_i32 s14, 0x150
	s_mov_b64 s[4:5], 0
.LBB25_93:                              ; =>This Inner Loop Header: Depth=1
	buffer_load_dword v76, v73, s[0:3], 0 offen
	buffer_load_dword v77, v73, s[0:3], 0 offen offset:4
	v_mov_b32_e32 v75, s14
	ds_read_b64 v[78:79], v75
	v_add_u32_e32 v74, -1, v74
	s_add_i32 s14, s14, 8
	v_cmp_eq_u32_e32 vcc, 0, v74
	v_add_u32_e32 v73, 8, v73
	s_or_b64 s[4:5], vcc, s[4:5]
	s_waitcnt vmcnt(0) lgkmcnt(0)
	v_fmac_f64_e32 v[54:55], v[76:77], v[78:79]
	s_andn2_b64 exec, exec, s[4:5]
	s_cbranch_execnz .LBB25_93
; %bb.94:
	s_or_b64 exec, exec, s[4:5]
.LBB25_95:
	s_or_b64 exec, exec, s[12:13]
	v_mov_b32_e32 v73, 0
	ds_read_b64 v[74:75], v73 offset:120
	s_waitcnt lgkmcnt(0)
	v_mul_f64 v[54:55], v[54:55], v[74:75]
	buffer_store_dword v55, off, s[0:3], 0 offset:124
	buffer_store_dword v54, off, s[0:3], 0 offset:120
.LBB25_96:
	s_or_b64 exec, exec, s[10:11]
	buffer_load_dword v54, off, s[0:3], 0 offset:112
	buffer_load_dword v55, off, s[0:3], 0 offset:116
	v_cmp_lt_u32_e64 s[4:5], 14, v0
	s_waitcnt vmcnt(0)
	ds_write_b64 v56, v[54:55]
	s_waitcnt lgkmcnt(0)
	; wave barrier
	s_waitcnt lgkmcnt(0)
	s_and_saveexec_b64 s[10:11], s[4:5]
	s_cbranch_execz .LBB25_106
; %bb.97:
	s_andn2_b64 vcc, exec, s[8:9]
	s_cbranch_vccnz .LBB25_99
; %bb.98:
	buffer_load_dword v54, v57, s[0:3], 0 offen
	buffer_load_dword v55, v57, s[0:3], 0 offen offset:4
	ds_read_b64 v[74:75], v56
	s_waitcnt vmcnt(0) lgkmcnt(0)
	v_mul_f64 v[54:55], v[54:55], v[74:75]
	s_cbranch_execz .LBB25_100
	s_branch .LBB25_101
.LBB25_99:
                                        ; implicit-def: $vgpr54_vgpr55
.LBB25_100:
	ds_read_b64 v[54:55], v56
.LBB25_101:
	s_and_saveexec_b64 s[12:13], s[6:7]
	s_cbranch_execz .LBB25_105
; %bb.102:
	v_add_u32_e32 v73, -15, v0
	s_movk_i32 s14, 0x148
	s_mov_b64 s[6:7], 0
.LBB25_103:                             ; =>This Inner Loop Header: Depth=1
	buffer_load_dword v74, v72, s[0:3], 0 offen
	buffer_load_dword v75, v72, s[0:3], 0 offen offset:4
	v_mov_b32_e32 v76, s14
	ds_read_b64 v[76:77], v76
	v_add_u32_e32 v73, -1, v73
	s_add_i32 s14, s14, 8
	v_cmp_eq_u32_e32 vcc, 0, v73
	v_add_u32_e32 v72, 8, v72
	s_or_b64 s[6:7], vcc, s[6:7]
	s_waitcnt vmcnt(0) lgkmcnt(0)
	v_fmac_f64_e32 v[54:55], v[74:75], v[76:77]
	s_andn2_b64 exec, exec, s[6:7]
	s_cbranch_execnz .LBB25_103
; %bb.104:
	s_or_b64 exec, exec, s[6:7]
.LBB25_105:
	s_or_b64 exec, exec, s[12:13]
	v_mov_b32_e32 v72, 0
	ds_read_b64 v[72:73], v72 offset:112
	s_waitcnt lgkmcnt(0)
	v_mul_f64 v[54:55], v[54:55], v[72:73]
	buffer_store_dword v55, off, s[0:3], 0 offset:116
	buffer_store_dword v54, off, s[0:3], 0 offset:112
.LBB25_106:
	s_or_b64 exec, exec, s[10:11]
	buffer_load_dword v54, off, s[0:3], 0 offset:104
	buffer_load_dword v55, off, s[0:3], 0 offset:108
	v_cmp_lt_u32_e64 s[6:7], 13, v0
	s_waitcnt vmcnt(0)
	ds_write_b64 v56, v[54:55]
	s_waitcnt lgkmcnt(0)
	; wave barrier
	s_waitcnt lgkmcnt(0)
	s_and_saveexec_b64 s[10:11], s[6:7]
	s_cbranch_execz .LBB25_116
; %bb.107:
	s_andn2_b64 vcc, exec, s[8:9]
	s_cbranch_vccnz .LBB25_109
; %bb.108:
	buffer_load_dword v54, v57, s[0:3], 0 offen
	buffer_load_dword v55, v57, s[0:3], 0 offen offset:4
	ds_read_b64 v[72:73], v56
	s_waitcnt vmcnt(0) lgkmcnt(0)
	v_mul_f64 v[54:55], v[54:55], v[72:73]
	s_cbranch_execz .LBB25_110
	s_branch .LBB25_111
.LBB25_109:
                                        ; implicit-def: $vgpr54_vgpr55
.LBB25_110:
	ds_read_b64 v[54:55], v56
.LBB25_111:
	s_and_saveexec_b64 s[12:13], s[4:5]
	s_cbranch_execz .LBB25_115
; %bb.112:
	v_add_u32_e32 v72, -14, v0
	s_movk_i32 s14, 0x140
	s_mov_b64 s[4:5], 0
.LBB25_113:                             ; =>This Inner Loop Header: Depth=1
	buffer_load_dword v74, v71, s[0:3], 0 offen
	buffer_load_dword v75, v71, s[0:3], 0 offen offset:4
	v_mov_b32_e32 v73, s14
	ds_read_b64 v[76:77], v73
	v_add_u32_e32 v72, -1, v72
	s_add_i32 s14, s14, 8
	v_cmp_eq_u32_e32 vcc, 0, v72
	v_add_u32_e32 v71, 8, v71
	s_or_b64 s[4:5], vcc, s[4:5]
	s_waitcnt vmcnt(0) lgkmcnt(0)
	v_fmac_f64_e32 v[54:55], v[74:75], v[76:77]
	s_andn2_b64 exec, exec, s[4:5]
	s_cbranch_execnz .LBB25_113
; %bb.114:
	s_or_b64 exec, exec, s[4:5]
.LBB25_115:
	s_or_b64 exec, exec, s[12:13]
	v_mov_b32_e32 v71, 0
	ds_read_b64 v[72:73], v71 offset:104
	s_waitcnt lgkmcnt(0)
	v_mul_f64 v[54:55], v[54:55], v[72:73]
	buffer_store_dword v55, off, s[0:3], 0 offset:108
	buffer_store_dword v54, off, s[0:3], 0 offset:104
.LBB25_116:
	;; [unrolled: 58-line block ×14, first 2 shown]
	s_or_b64 exec, exec, s[10:11]
	buffer_load_dword v54, off, s[0:3], 0
	buffer_load_dword v55, off, s[0:3], 0 offset:4
	v_cmp_ne_u32_e32 vcc, 0, v0
	s_waitcnt vmcnt(0)
	ds_write_b64 v56, v[54:55]
	s_waitcnt lgkmcnt(0)
	; wave barrier
	s_waitcnt lgkmcnt(0)
	s_and_saveexec_b64 s[4:5], vcc
	s_cbranch_execz .LBB25_246
; %bb.237:
	s_andn2_b64 vcc, exec, s[8:9]
	s_cbranch_vccnz .LBB25_239
; %bb.238:
	buffer_load_dword v54, v57, s[0:3], 0 offen
	buffer_load_dword v55, v57, s[0:3], 0 offen offset:4
	ds_read_b64 v[60:61], v56
	s_waitcnt vmcnt(0) lgkmcnt(0)
	v_mul_f64 v[54:55], v[54:55], v[60:61]
	s_cbranch_execz .LBB25_240
	s_branch .LBB25_241
.LBB25_239:
                                        ; implicit-def: $vgpr54_vgpr55
.LBB25_240:
	ds_read_b64 v[54:55], v56
.LBB25_241:
	s_and_saveexec_b64 s[10:11], s[6:7]
	s_cbranch_execz .LBB25_245
; %bb.242:
	v_add_u32_e32 v59, -1, v0
	s_movk_i32 s12, 0xd8
	s_mov_b64 s[6:7], 0
.LBB25_243:                             ; =>This Inner Loop Header: Depth=1
	buffer_load_dword v60, v58, s[0:3], 0 offen
	buffer_load_dword v61, v58, s[0:3], 0 offen offset:4
	v_mov_b32_e32 v62, s12
	ds_read_b64 v[62:63], v62
	v_add_u32_e32 v59, -1, v59
	s_add_i32 s12, s12, 8
	v_cmp_eq_u32_e32 vcc, 0, v59
	v_add_u32_e32 v58, 8, v58
	s_or_b64 s[6:7], vcc, s[6:7]
	s_waitcnt vmcnt(0) lgkmcnt(0)
	v_fmac_f64_e32 v[54:55], v[60:61], v[62:63]
	s_andn2_b64 exec, exec, s[6:7]
	s_cbranch_execnz .LBB25_243
; %bb.244:
	s_or_b64 exec, exec, s[6:7]
.LBB25_245:
	s_or_b64 exec, exec, s[10:11]
	v_mov_b32_e32 v58, 0
	ds_read_b64 v[58:59], v58
	s_waitcnt lgkmcnt(0)
	v_mul_f64 v[54:55], v[54:55], v[58:59]
	buffer_store_dword v55, off, s[0:3], 0 offset:4
	buffer_store_dword v54, off, s[0:3], 0
.LBB25_246:
	s_or_b64 exec, exec, s[4:5]
	s_mov_b64 s[4:5], 0
.LBB25_247:
	s_and_b64 vcc, exec, s[4:5]
	s_cbranch_vccz .LBB25_491
; %bb.248:
	buffer_load_dword v54, off, s[0:3], 0 offset:8
	buffer_load_dword v55, off, s[0:3], 0 offset:12
	v_cmp_eq_u32_e64 s[6:7], 0, v0
	s_waitcnt vmcnt(0)
	ds_write_b64 v56, v[54:55]
	s_waitcnt lgkmcnt(0)
	; wave barrier
	s_waitcnt lgkmcnt(0)
	s_and_saveexec_b64 s[4:5], s[6:7]
	s_cbranch_execz .LBB25_254
; %bb.249:
	s_and_b64 vcc, exec, s[8:9]
	s_cbranch_vccz .LBB25_251
; %bb.250:
	buffer_load_dword v54, v57, s[0:3], 0 offen
	buffer_load_dword v55, v57, s[0:3], 0 offen offset:4
	ds_read_b64 v[58:59], v56
	s_waitcnt vmcnt(0) lgkmcnt(0)
	v_mul_f64 v[54:55], v[54:55], v[58:59]
	s_cbranch_execz .LBB25_252
	s_branch .LBB25_253
.LBB25_251:
                                        ; implicit-def: $vgpr54_vgpr55
.LBB25_252:
	ds_read_b64 v[54:55], v56
.LBB25_253:
	v_mov_b32_e32 v58, 0
	ds_read_b64 v[58:59], v58 offset:8
	s_waitcnt lgkmcnt(0)
	v_mul_f64 v[54:55], v[54:55], v[58:59]
	buffer_store_dword v55, off, s[0:3], 0 offset:12
	buffer_store_dword v54, off, s[0:3], 0 offset:8
.LBB25_254:
	s_or_b64 exec, exec, s[4:5]
	buffer_load_dword v54, off, s[0:3], 0 offset:16
	buffer_load_dword v55, off, s[0:3], 0 offset:20
	v_cndmask_b32_e64 v58, 0, 1, s[8:9]
	v_cmp_gt_u32_e32 vcc, 2, v0
	v_cmp_ne_u32_e64 s[4:5], 1, v58
	s_waitcnt vmcnt(0)
	ds_write_b64 v56, v[54:55]
	s_waitcnt lgkmcnt(0)
	; wave barrier
	s_waitcnt lgkmcnt(0)
	s_and_saveexec_b64 s[8:9], vcc
	s_cbranch_execz .LBB25_262
; %bb.255:
	s_and_b64 vcc, exec, s[4:5]
	s_cbranch_vccnz .LBB25_257
; %bb.256:
	buffer_load_dword v54, v57, s[0:3], 0 offen
	buffer_load_dword v55, v57, s[0:3], 0 offen offset:4
	ds_read_b64 v[58:59], v56
	s_waitcnt vmcnt(0) lgkmcnt(0)
	v_mul_f64 v[54:55], v[54:55], v[58:59]
	s_cbranch_execz .LBB25_258
	s_branch .LBB25_259
.LBB25_257:
                                        ; implicit-def: $vgpr54_vgpr55
.LBB25_258:
	ds_read_b64 v[54:55], v56
.LBB25_259:
	s_and_saveexec_b64 s[10:11], s[6:7]
	s_cbranch_execz .LBB25_261
; %bb.260:
	buffer_load_dword v58, v57, s[0:3], 0 offen offset:8
	buffer_load_dword v59, v57, s[0:3], 0 offen offset:12
	ds_read_b64 v[60:61], v56 offset:8
	s_waitcnt vmcnt(0) lgkmcnt(0)
	v_fmac_f64_e32 v[54:55], v[58:59], v[60:61]
.LBB25_261:
	s_or_b64 exec, exec, s[10:11]
	v_mov_b32_e32 v58, 0
	ds_read_b64 v[58:59], v58 offset:16
	s_waitcnt lgkmcnt(0)
	v_mul_f64 v[54:55], v[54:55], v[58:59]
	buffer_store_dword v55, off, s[0:3], 0 offset:20
	buffer_store_dword v54, off, s[0:3], 0 offset:16
.LBB25_262:
	s_or_b64 exec, exec, s[8:9]
	buffer_load_dword v54, off, s[0:3], 0 offset:24
	buffer_load_dword v55, off, s[0:3], 0 offset:28
	v_cmp_gt_u32_e32 vcc, 3, v0
	s_waitcnt vmcnt(0)
	ds_write_b64 v56, v[54:55]
	s_waitcnt lgkmcnt(0)
	; wave barrier
	s_waitcnt lgkmcnt(0)
	s_and_saveexec_b64 s[8:9], vcc
	s_cbranch_execz .LBB25_270
; %bb.263:
	s_and_b64 vcc, exec, s[4:5]
	s_cbranch_vccnz .LBB25_265
; %bb.264:
	buffer_load_dword v54, v57, s[0:3], 0 offen
	buffer_load_dword v55, v57, s[0:3], 0 offen offset:4
	ds_read_b64 v[58:59], v56
	s_waitcnt vmcnt(0) lgkmcnt(0)
	v_mul_f64 v[54:55], v[54:55], v[58:59]
	s_cbranch_execz .LBB25_266
	s_branch .LBB25_267
.LBB25_265:
                                        ; implicit-def: $vgpr54_vgpr55
.LBB25_266:
	ds_read_b64 v[54:55], v56
.LBB25_267:
	v_cmp_ne_u32_e32 vcc, 2, v0
	s_and_saveexec_b64 s[10:11], vcc
	s_cbranch_execz .LBB25_269
; %bb.268:
	buffer_load_dword v59, v57, s[0:3], 0 offen offset:12
	buffer_load_dword v60, off, s[0:3], 0 offset:16
	buffer_load_dword v58, v57, s[0:3], 0 offen offset:8
	buffer_load_dword v61, off, s[0:3], 0 offset:20
	v_mov_b32_e32 v64, 0
	ds_read_b64 v[62:63], v56 offset:8
	ds_read_b64 v[64:65], v64 offset:224
	s_waitcnt vmcnt(1) lgkmcnt(1)
	v_fmac_f64_e32 v[54:55], v[58:59], v[62:63]
	s_waitcnt vmcnt(0) lgkmcnt(0)
	v_fma_f64 v[58:59], v[60:61], v[64:65], v[54:55]
	v_cndmask_b32_e64 v55, v55, v59, s[6:7]
	v_cndmask_b32_e64 v54, v54, v58, s[6:7]
.LBB25_269:
	s_or_b64 exec, exec, s[10:11]
	v_mov_b32_e32 v58, 0
	ds_read_b64 v[58:59], v58 offset:24
	s_waitcnt lgkmcnt(0)
	v_mul_f64 v[54:55], v[54:55], v[58:59]
	buffer_store_dword v55, off, s[0:3], 0 offset:28
	buffer_store_dword v54, off, s[0:3], 0 offset:24
.LBB25_270:
	s_or_b64 exec, exec, s[8:9]
	buffer_load_dword v54, off, s[0:3], 0 offset:32
	buffer_load_dword v55, off, s[0:3], 0 offset:36
	v_cmp_gt_u32_e32 vcc, 4, v0
	s_waitcnt vmcnt(0)
	ds_write_b64 v56, v[54:55]
	s_waitcnt lgkmcnt(0)
	; wave barrier
	s_waitcnt lgkmcnt(0)
	s_and_saveexec_b64 s[6:7], vcc
	s_cbranch_execz .LBB25_280
; %bb.271:
	s_and_b64 vcc, exec, s[4:5]
	s_cbranch_vccnz .LBB25_273
; %bb.272:
	buffer_load_dword v54, v57, s[0:3], 0 offen
	buffer_load_dword v55, v57, s[0:3], 0 offen offset:4
	ds_read_b64 v[58:59], v56
	s_waitcnt vmcnt(0) lgkmcnt(0)
	v_mul_f64 v[54:55], v[54:55], v[58:59]
	s_cbranch_execz .LBB25_274
	s_branch .LBB25_275
.LBB25_273:
                                        ; implicit-def: $vgpr54_vgpr55
.LBB25_274:
	ds_read_b64 v[54:55], v56
.LBB25_275:
	v_cmp_ne_u32_e32 vcc, 3, v0
	s_and_saveexec_b64 s[8:9], vcc
	s_cbranch_execz .LBB25_279
; %bb.276:
	v_mov_b32_e32 v59, 0
	v_add_u32_e32 v58, 0xd8, v1
	v_add3_u32 v59, v1, v59, 8
	s_mov_b64 s[10:11], 0
	v_mov_b32_e32 v60, v0
.LBB25_277:                             ; =>This Inner Loop Header: Depth=1
	buffer_load_dword v62, v59, s[0:3], 0 offen
	buffer_load_dword v63, v59, s[0:3], 0 offen offset:4
	ds_read_b64 v[64:65], v58
	v_add_u32_e32 v60, 1, v60
	v_cmp_lt_u32_e32 vcc, 2, v60
	v_add_u32_e32 v58, 8, v58
	v_add_u32_e32 v59, 8, v59
	s_or_b64 s[10:11], vcc, s[10:11]
	s_waitcnt vmcnt(0) lgkmcnt(0)
	v_fmac_f64_e32 v[54:55], v[62:63], v[64:65]
	s_andn2_b64 exec, exec, s[10:11]
	s_cbranch_execnz .LBB25_277
; %bb.278:
	s_or_b64 exec, exec, s[10:11]
.LBB25_279:
	s_or_b64 exec, exec, s[8:9]
	v_mov_b32_e32 v58, 0
	ds_read_b64 v[58:59], v58 offset:32
	s_waitcnt lgkmcnt(0)
	v_mul_f64 v[54:55], v[54:55], v[58:59]
	buffer_store_dword v55, off, s[0:3], 0 offset:36
	buffer_store_dword v54, off, s[0:3], 0 offset:32
.LBB25_280:
	s_or_b64 exec, exec, s[6:7]
	buffer_load_dword v54, off, s[0:3], 0 offset:40
	buffer_load_dword v55, off, s[0:3], 0 offset:44
	v_cmp_gt_u32_e32 vcc, 5, v0
	s_waitcnt vmcnt(0)
	ds_write_b64 v56, v[54:55]
	s_waitcnt lgkmcnt(0)
	; wave barrier
	s_waitcnt lgkmcnt(0)
	s_and_saveexec_b64 s[6:7], vcc
	s_cbranch_execz .LBB25_290
; %bb.281:
	s_and_b64 vcc, exec, s[4:5]
	s_cbranch_vccnz .LBB25_283
; %bb.282:
	buffer_load_dword v54, v57, s[0:3], 0 offen
	buffer_load_dword v55, v57, s[0:3], 0 offen offset:4
	ds_read_b64 v[58:59], v56
	s_waitcnt vmcnt(0) lgkmcnt(0)
	v_mul_f64 v[54:55], v[54:55], v[58:59]
	s_cbranch_execz .LBB25_284
	s_branch .LBB25_285
.LBB25_283:
                                        ; implicit-def: $vgpr54_vgpr55
.LBB25_284:
	ds_read_b64 v[54:55], v56
.LBB25_285:
	v_cmp_ne_u32_e32 vcc, 4, v0
	s_and_saveexec_b64 s[8:9], vcc
	s_cbranch_execz .LBB25_289
; %bb.286:
	v_mov_b32_e32 v59, 0
	v_add_u32_e32 v58, 0xd8, v1
	v_add3_u32 v59, v1, v59, 8
	s_mov_b64 s[10:11], 0
	v_mov_b32_e32 v60, v0
.LBB25_287:                             ; =>This Inner Loop Header: Depth=1
	buffer_load_dword v62, v59, s[0:3], 0 offen
	buffer_load_dword v63, v59, s[0:3], 0 offen offset:4
	ds_read_b64 v[64:65], v58
	v_add_u32_e32 v60, 1, v60
	v_cmp_lt_u32_e32 vcc, 3, v60
	v_add_u32_e32 v58, 8, v58
	v_add_u32_e32 v59, 8, v59
	s_or_b64 s[10:11], vcc, s[10:11]
	s_waitcnt vmcnt(0) lgkmcnt(0)
	v_fmac_f64_e32 v[54:55], v[62:63], v[64:65]
	s_andn2_b64 exec, exec, s[10:11]
	s_cbranch_execnz .LBB25_287
; %bb.288:
	s_or_b64 exec, exec, s[10:11]
.LBB25_289:
	s_or_b64 exec, exec, s[8:9]
	v_mov_b32_e32 v58, 0
	ds_read_b64 v[58:59], v58 offset:40
	s_waitcnt lgkmcnt(0)
	v_mul_f64 v[54:55], v[54:55], v[58:59]
	buffer_store_dword v55, off, s[0:3], 0 offset:44
	buffer_store_dword v54, off, s[0:3], 0 offset:40
.LBB25_290:
	;; [unrolled: 60-line block ×20, first 2 shown]
	s_or_b64 exec, exec, s[6:7]
	buffer_load_dword v54, off, s[0:3], 0 offset:192
	buffer_load_dword v55, off, s[0:3], 0 offset:196
	v_cmp_gt_u32_e64 s[6:7], 24, v0
	s_waitcnt vmcnt(0)
	ds_write_b64 v56, v[54:55]
	s_waitcnt lgkmcnt(0)
	; wave barrier
	s_waitcnt lgkmcnt(0)
	s_and_saveexec_b64 s[8:9], s[6:7]
	s_cbranch_execz .LBB25_480
; %bb.471:
	s_and_b64 vcc, exec, s[4:5]
	s_cbranch_vccnz .LBB25_473
; %bb.472:
	buffer_load_dword v54, v57, s[0:3], 0 offen
	buffer_load_dword v55, v57, s[0:3], 0 offen offset:4
	ds_read_b64 v[58:59], v56
	s_waitcnt vmcnt(0) lgkmcnt(0)
	v_mul_f64 v[54:55], v[54:55], v[58:59]
	s_cbranch_execz .LBB25_474
	s_branch .LBB25_475
.LBB25_473:
                                        ; implicit-def: $vgpr54_vgpr55
.LBB25_474:
	ds_read_b64 v[54:55], v56
.LBB25_475:
	v_cmp_ne_u32_e32 vcc, 23, v0
	s_and_saveexec_b64 s[10:11], vcc
	s_cbranch_execz .LBB25_479
; %bb.476:
	v_mov_b32_e32 v59, 0
	v_add_u32_e32 v58, 0xd8, v1
	v_add3_u32 v59, v1, v59, 8
	s_mov_b64 s[12:13], 0
	v_mov_b32_e32 v60, v0
.LBB25_477:                             ; =>This Inner Loop Header: Depth=1
	buffer_load_dword v62, v59, s[0:3], 0 offen
	buffer_load_dword v63, v59, s[0:3], 0 offen offset:4
	ds_read_b64 v[64:65], v58
	v_add_u32_e32 v60, 1, v60
	v_cmp_lt_u32_e32 vcc, 22, v60
	v_add_u32_e32 v58, 8, v58
	v_add_u32_e32 v59, 8, v59
	s_or_b64 s[12:13], vcc, s[12:13]
	s_waitcnt vmcnt(0) lgkmcnt(0)
	v_fmac_f64_e32 v[54:55], v[62:63], v[64:65]
	s_andn2_b64 exec, exec, s[12:13]
	s_cbranch_execnz .LBB25_477
; %bb.478:
	s_or_b64 exec, exec, s[12:13]
.LBB25_479:
	s_or_b64 exec, exec, s[10:11]
	v_mov_b32_e32 v58, 0
	ds_read_b64 v[58:59], v58 offset:192
	s_waitcnt lgkmcnt(0)
	v_mul_f64 v[54:55], v[54:55], v[58:59]
	buffer_store_dword v55, off, s[0:3], 0 offset:196
	buffer_store_dword v54, off, s[0:3], 0 offset:192
.LBB25_480:
	s_or_b64 exec, exec, s[8:9]
	buffer_load_dword v54, off, s[0:3], 0 offset:200
	buffer_load_dword v55, off, s[0:3], 0 offset:204
	v_cmp_ne_u32_e32 vcc, 25, v0
	s_waitcnt vmcnt(0)
	ds_write_b64 v56, v[54:55]
	s_waitcnt lgkmcnt(0)
	; wave barrier
	s_waitcnt lgkmcnt(0)
	s_and_saveexec_b64 s[8:9], vcc
	s_cbranch_execz .LBB25_490
; %bb.481:
	s_and_b64 vcc, exec, s[4:5]
	s_cbranch_vccnz .LBB25_483
; %bb.482:
	buffer_load_dword v54, v57, s[0:3], 0 offen
	buffer_load_dword v55, v57, s[0:3], 0 offen offset:4
	ds_read_b64 v[58:59], v56
	s_waitcnt vmcnt(0) lgkmcnt(0)
	v_mul_f64 v[54:55], v[54:55], v[58:59]
	s_cbranch_execz .LBB25_484
	s_branch .LBB25_485
.LBB25_483:
                                        ; implicit-def: $vgpr54_vgpr55
.LBB25_484:
	ds_read_b64 v[54:55], v56
.LBB25_485:
	s_and_saveexec_b64 s[4:5], s[6:7]
	s_cbranch_execz .LBB25_489
; %bb.486:
	v_mov_b32_e32 v57, 0
	v_add_u32_e32 v56, 0xd8, v1
	v_add3_u32 v1, v1, v57, 8
	s_mov_b64 s[6:7], 0
.LBB25_487:                             ; =>This Inner Loop Header: Depth=1
	buffer_load_dword v58, v1, s[0:3], 0 offen
	buffer_load_dword v59, v1, s[0:3], 0 offen offset:4
	ds_read_b64 v[60:61], v56
	v_add_u32_e32 v0, 1, v0
	v_cmp_lt_u32_e32 vcc, 23, v0
	v_add_u32_e32 v56, 8, v56
	v_add_u32_e32 v1, 8, v1
	s_or_b64 s[6:7], vcc, s[6:7]
	s_waitcnt vmcnt(0) lgkmcnt(0)
	v_fmac_f64_e32 v[54:55], v[58:59], v[60:61]
	s_andn2_b64 exec, exec, s[6:7]
	s_cbranch_execnz .LBB25_487
; %bb.488:
	s_or_b64 exec, exec, s[6:7]
.LBB25_489:
	s_or_b64 exec, exec, s[4:5]
	v_mov_b32_e32 v0, 0
	ds_read_b64 v[0:1], v0 offset:200
	s_waitcnt lgkmcnt(0)
	v_mul_f64 v[0:1], v[54:55], v[0:1]
	buffer_store_dword v1, off, s[0:3], 0 offset:204
	buffer_store_dword v0, off, s[0:3], 0 offset:200
.LBB25_490:
	s_or_b64 exec, exec, s[8:9]
.LBB25_491:
	buffer_load_dword v0, off, s[0:3], 0
	buffer_load_dword v1, off, s[0:3], 0 offset:4
	buffer_load_dword v54, off, s[0:3], 0 offset:8
	;; [unrolled: 1-line block ×15, first 2 shown]
	s_waitcnt vmcnt(14)
	global_store_dwordx2 v[4:5], v[0:1], off
	s_waitcnt vmcnt(13)
	global_store_dwordx2 v[52:53], v[54:55], off
	;; [unrolled: 2-line block ×8, first 2 shown]
	buffer_load_dword v1, off, s[0:3], 0 offset:68
	buffer_load_dword v0, off, s[0:3], 0 offset:64
	s_waitcnt vmcnt(0)
	global_store_dwordx2 v[30:31], v[0:1], off
	buffer_load_dword v0, off, s[0:3], 0 offset:72
	s_nop 0
	buffer_load_dword v1, off, s[0:3], 0 offset:76
	s_waitcnt vmcnt(0)
	global_store_dwordx2 v[24:25], v[0:1], off
	buffer_load_dword v0, off, s[0:3], 0 offset:80
	s_nop 0
	;; [unrolled: 5-line block ×17, first 2 shown]
	buffer_load_dword v1, off, s[0:3], 0 offset:204
	s_waitcnt vmcnt(0)
	global_store_dwordx2 v[2:3], v[0:1], off
.LBB25_492:
	s_endpgm
	.section	.rodata,"a",@progbits
	.p2align	6, 0x0
	.amdhsa_kernel _ZN9rocsolver6v33100L18trti2_kernel_smallILi26EdPdEEv13rocblas_fill_17rocblas_diagonal_T1_iil
		.amdhsa_group_segment_fixed_size 416
		.amdhsa_private_segment_fixed_size 224
		.amdhsa_kernarg_size 32
		.amdhsa_user_sgpr_count 8
		.amdhsa_user_sgpr_private_segment_buffer 1
		.amdhsa_user_sgpr_dispatch_ptr 0
		.amdhsa_user_sgpr_queue_ptr 0
		.amdhsa_user_sgpr_kernarg_segment_ptr 1
		.amdhsa_user_sgpr_dispatch_id 0
		.amdhsa_user_sgpr_flat_scratch_init 1
		.amdhsa_user_sgpr_kernarg_preload_length 0
		.amdhsa_user_sgpr_kernarg_preload_offset 0
		.amdhsa_user_sgpr_private_segment_size 0
		.amdhsa_uses_dynamic_stack 0
		.amdhsa_system_sgpr_private_segment_wavefront_offset 1
		.amdhsa_system_sgpr_workgroup_id_x 1
		.amdhsa_system_sgpr_workgroup_id_y 0
		.amdhsa_system_sgpr_workgroup_id_z 0
		.amdhsa_system_sgpr_workgroup_info 0
		.amdhsa_system_vgpr_workitem_id 0
		.amdhsa_next_free_vgpr 92
		.amdhsa_next_free_sgpr 20
		.amdhsa_accum_offset 92
		.amdhsa_reserve_vcc 1
		.amdhsa_reserve_flat_scratch 0
		.amdhsa_float_round_mode_32 0
		.amdhsa_float_round_mode_16_64 0
		.amdhsa_float_denorm_mode_32 3
		.amdhsa_float_denorm_mode_16_64 3
		.amdhsa_dx10_clamp 1
		.amdhsa_ieee_mode 1
		.amdhsa_fp16_overflow 0
		.amdhsa_tg_split 0
		.amdhsa_exception_fp_ieee_invalid_op 0
		.amdhsa_exception_fp_denorm_src 0
		.amdhsa_exception_fp_ieee_div_zero 0
		.amdhsa_exception_fp_ieee_overflow 0
		.amdhsa_exception_fp_ieee_underflow 0
		.amdhsa_exception_fp_ieee_inexact 0
		.amdhsa_exception_int_div_zero 0
	.end_amdhsa_kernel
	.section	.text._ZN9rocsolver6v33100L18trti2_kernel_smallILi26EdPdEEv13rocblas_fill_17rocblas_diagonal_T1_iil,"axG",@progbits,_ZN9rocsolver6v33100L18trti2_kernel_smallILi26EdPdEEv13rocblas_fill_17rocblas_diagonal_T1_iil,comdat
.Lfunc_end25:
	.size	_ZN9rocsolver6v33100L18trti2_kernel_smallILi26EdPdEEv13rocblas_fill_17rocblas_diagonal_T1_iil, .Lfunc_end25-_ZN9rocsolver6v33100L18trti2_kernel_smallILi26EdPdEEv13rocblas_fill_17rocblas_diagonal_T1_iil
                                        ; -- End function
	.section	.AMDGPU.csdata,"",@progbits
; Kernel info:
; codeLenInByte = 15016
; NumSgprs: 24
; NumVgprs: 92
; NumAgprs: 0
; TotalNumVgprs: 92
; ScratchSize: 224
; MemoryBound: 0
; FloatMode: 240
; IeeeMode: 1
; LDSByteSize: 416 bytes/workgroup (compile time only)
; SGPRBlocks: 2
; VGPRBlocks: 11
; NumSGPRsForWavesPerEU: 24
; NumVGPRsForWavesPerEU: 92
; AccumOffset: 92
; Occupancy: 5
; WaveLimiterHint : 0
; COMPUTE_PGM_RSRC2:SCRATCH_EN: 1
; COMPUTE_PGM_RSRC2:USER_SGPR: 8
; COMPUTE_PGM_RSRC2:TRAP_HANDLER: 0
; COMPUTE_PGM_RSRC2:TGID_X_EN: 1
; COMPUTE_PGM_RSRC2:TGID_Y_EN: 0
; COMPUTE_PGM_RSRC2:TGID_Z_EN: 0
; COMPUTE_PGM_RSRC2:TIDIG_COMP_CNT: 0
; COMPUTE_PGM_RSRC3_GFX90A:ACCUM_OFFSET: 22
; COMPUTE_PGM_RSRC3_GFX90A:TG_SPLIT: 0
	.section	.text._ZN9rocsolver6v33100L18trti2_kernel_smallILi27EdPdEEv13rocblas_fill_17rocblas_diagonal_T1_iil,"axG",@progbits,_ZN9rocsolver6v33100L18trti2_kernel_smallILi27EdPdEEv13rocblas_fill_17rocblas_diagonal_T1_iil,comdat
	.globl	_ZN9rocsolver6v33100L18trti2_kernel_smallILi27EdPdEEv13rocblas_fill_17rocblas_diagonal_T1_iil ; -- Begin function _ZN9rocsolver6v33100L18trti2_kernel_smallILi27EdPdEEv13rocblas_fill_17rocblas_diagonal_T1_iil
	.p2align	8
	.type	_ZN9rocsolver6v33100L18trti2_kernel_smallILi27EdPdEEv13rocblas_fill_17rocblas_diagonal_T1_iil,@function
_ZN9rocsolver6v33100L18trti2_kernel_smallILi27EdPdEEv13rocblas_fill_17rocblas_diagonal_T1_iil: ; @_ZN9rocsolver6v33100L18trti2_kernel_smallILi27EdPdEEv13rocblas_fill_17rocblas_diagonal_T1_iil
; %bb.0:
	s_add_u32 s0, s0, s9
	s_addc_u32 s1, s1, 0
	v_cmp_gt_u32_e32 vcc, 27, v0
	s_and_saveexec_b64 s[6:7], vcc
	s_cbranch_execz .LBB26_512
; %bb.1:
	s_load_dwordx8 s[12:19], s[4:5], 0x0
	s_ashr_i32 s6, s8, 31
	v_lshlrev_b32_e32 v1, 3, v0
	s_waitcnt lgkmcnt(0)
	s_mul_i32 s7, s8, s19
	s_mul_hi_u32 s9, s8, s18
	s_add_i32 s7, s9, s7
	s_mul_i32 s6, s6, s18
	s_add_i32 s7, s7, s6
	s_mul_i32 s6, s8, s18
	s_ashr_i32 s5, s16, 31
	s_lshl_b64 s[6:7], s[6:7], 3
	s_mov_b32 s4, s16
	s_add_u32 s6, s14, s6
	s_addc_u32 s7, s15, s7
	s_lshl_b64 s[4:5], s[4:5], 3
	s_add_u32 s4, s6, s4
	s_addc_u32 s5, s7, s5
	v_mov_b32_e32 v3, s5
	v_add_co_u32_e32 v2, vcc, s4, v1
	s_ashr_i32 s7, s17, 31
	s_mov_b32 s6, s17
	v_addc_co_u32_e32 v3, vcc, 0, v3, vcc
	s_lshl_b64 s[6:7], s[6:7], 3
	v_add_co_u32_e32 v4, vcc, s6, v2
	s_add_i32 s6, s17, s17
	v_add_u32_e32 v8, s6, v0
	v_mov_b32_e32 v5, s7
	v_ashrrev_i32_e32 v9, 31, v8
	v_addc_co_u32_e32 v5, vcc, v3, v5, vcc
	v_lshlrev_b64 v[6:7], 3, v[8:9]
	v_add_u32_e32 v10, s17, v8
	v_mov_b32_e32 v9, s5
	v_add_co_u32_e32 v6, vcc, s4, v6
	v_ashrrev_i32_e32 v11, 31, v10
	v_addc_co_u32_e32 v7, vcc, v9, v7, vcc
	v_lshlrev_b64 v[8:9], 3, v[10:11]
	v_add_u32_e32 v12, s17, v10
	v_mov_b32_e32 v11, s5
	v_add_co_u32_e32 v8, vcc, s4, v8
	v_ashrrev_i32_e32 v13, 31, v12
	v_addc_co_u32_e32 v9, vcc, v11, v9, vcc
	v_lshlrev_b64 v[10:11], 3, v[12:13]
	v_mov_b32_e32 v13, s5
	v_add_co_u32_e32 v10, vcc, s4, v10
	global_load_dwordx2 v[20:21], v1, s[4:5]
	v_addc_co_u32_e32 v11, vcc, v13, v11, vcc
	global_load_dwordx2 v[28:29], v[4:5], off
	global_load_dwordx2 v[26:27], v[6:7], off
	;; [unrolled: 1-line block ×4, first 2 shown]
	v_add_u32_e32 v14, s17, v12
	v_ashrrev_i32_e32 v15, 31, v14
	v_lshlrev_b64 v[12:13], 3, v[14:15]
	v_add_u32_e32 v16, s17, v14
	v_mov_b32_e32 v15, s5
	v_add_co_u32_e32 v12, vcc, s4, v12
	v_ashrrev_i32_e32 v17, 31, v16
	v_addc_co_u32_e32 v13, vcc, v15, v13, vcc
	v_lshlrev_b64 v[14:15], 3, v[16:17]
	v_mov_b32_e32 v17, s5
	v_add_co_u32_e32 v14, vcc, s4, v14
	v_add_u32_e32 v18, s17, v16
	v_addc_co_u32_e32 v15, vcc, v17, v15, vcc
	global_load_dwordx2 v[32:33], v[12:13], off
	global_load_dwordx2 v[30:31], v[14:15], off
	v_ashrrev_i32_e32 v19, 31, v18
	v_lshlrev_b64 v[16:17], 3, v[18:19]
	v_mov_b32_e32 v19, s5
	v_add_co_u32_e32 v16, vcc, s4, v16
	v_addc_co_u32_e32 v17, vcc, v19, v17, vcc
	global_load_dwordx2 v[34:35], v[16:17], off
	v_add_u32_e32 v38, s17, v18
	v_add_u32_e32 v36, s17, v38
	;; [unrolled: 1-line block ×19, first 2 shown]
	v_ashrrev_i32_e32 v19, 31, v18
	v_lshlrev_b64 v[18:19], 3, v[18:19]
	v_mov_b32_e32 v37, s5
	v_add_co_u32_e32 v18, vcc, s4, v18
	v_addc_co_u32_e32 v19, vcc, v37, v19, vcc
	global_load_dwordx2 v[78:79], v[18:19], off
	v_ashrrev_i32_e32 v39, 31, v38
	s_waitcnt vmcnt(8)
	buffer_store_dword v21, off, s[0:3], 0 offset:4
	buffer_store_dword v20, off, s[0:3], 0
	s_waitcnt vmcnt(9)
	buffer_store_dword v29, off, s[0:3], 0 offset:12
	buffer_store_dword v28, off, s[0:3], 0 offset:8
	s_waitcnt vmcnt(10)
	buffer_store_dword v27, off, s[0:3], 0 offset:20
	buffer_store_dword v26, off, s[0:3], 0 offset:16
	s_waitcnt vmcnt(11)
	buffer_store_dword v25, off, s[0:3], 0 offset:28
	buffer_store_dword v24, off, s[0:3], 0 offset:24
	s_waitcnt vmcnt(12)
	buffer_store_dword v23, off, s[0:3], 0 offset:36
	buffer_store_dword v22, off, s[0:3], 0 offset:32
	v_lshlrev_b64 v[20:21], 3, v[38:39]
	v_mov_b32_e32 v22, s5
	v_add_co_u32_e32 v54, vcc, s4, v20
	v_ashrrev_i32_e32 v37, 31, v36
	v_addc_co_u32_e32 v55, vcc, v22, v21, vcc
	v_lshlrev_b64 v[20:21], 3, v[36:37]
	v_add_co_u32_e32 v52, vcc, s4, v20
	v_ashrrev_i32_e32 v41, 31, v40
	v_addc_co_u32_e32 v53, vcc, v22, v21, vcc
	v_lshlrev_b64 v[20:21], 3, v[40:41]
	;; [unrolled: 4-line block ×5, first 2 shown]
	v_mov_b32_e32 v24, s5
	v_add_co_u32_e32 v42, vcc, s4, v22
	v_ashrrev_i32_e32 v49, 31, v48
	v_addc_co_u32_e32 v43, vcc, v24, v23, vcc
	v_lshlrev_b64 v[22:23], 3, v[48:49]
	global_load_dwordx2 v[80:81], v[54:55], off
	s_waitcnt vmcnt(14)
	buffer_store_dword v33, off, s[0:3], 0 offset:44
	buffer_store_dword v32, off, s[0:3], 0 offset:40
	s_waitcnt vmcnt(15)
	buffer_store_dword v31, off, s[0:3], 0 offset:52
	buffer_store_dword v30, off, s[0:3], 0 offset:48
	;; [unrolled: 3-line block ×3, first 2 shown]
	v_add_co_u32_e32 v32, vcc, s4, v22
	v_ashrrev_i32_e32 v57, 31, v56
	v_addc_co_u32_e32 v33, vcc, v24, v23, vcc
	v_lshlrev_b64 v[22:23], 3, v[56:57]
	v_add_co_u32_e32 v26, vcc, s4, v22
	v_ashrrev_i32_e32 v59, 31, v58
	v_addc_co_u32_e32 v27, vcc, v24, v23, vcc
	v_lshlrev_b64 v[22:23], 3, v[58:59]
	;; [unrolled: 4-line block ×3, first 2 shown]
	v_mov_b32_e32 v28, s5
	v_add_co_u32_e32 v44, vcc, s4, v24
	v_ashrrev_i32_e32 v63, 31, v62
	v_addc_co_u32_e32 v45, vcc, v28, v25, vcc
	v_lshlrev_b64 v[24:25], 3, v[62:63]
	v_add_co_u32_e32 v34, vcc, s4, v24
	v_ashrrev_i32_e32 v65, 31, v64
	v_addc_co_u32_e32 v35, vcc, v28, v25, vcc
	v_lshlrev_b64 v[24:25], 3, v[64:65]
	v_mov_b32_e32 v29, s5
	v_add_co_u32_e32 v28, vcc, s4, v24
	v_ashrrev_i32_e32 v67, 31, v66
	v_addc_co_u32_e32 v29, vcc, v29, v25, vcc
	v_lshlrev_b64 v[24:25], 3, v[66:67]
	v_mov_b32_e32 v30, s5
	;; [unrolled: 5-line block ×4, first 2 shown]
	v_add_co_u32_e32 v36, vcc, s4, v30
	global_load_dwordx2 v[82:83], v[52:53], off
	global_load_dwordx2 v[84:85], v[50:51], off
	;; [unrolled: 1-line block ×12, first 2 shown]
	v_addc_co_u32_e32 v37, vcc, v37, v31, vcc
	global_load_dwordx2 v[68:69], v[46:47], off
	global_load_dwordx2 v[70:71], v[36:37], off
	v_ashrrev_i32_e32 v73, 31, v72
	v_lshlrev_b64 v[30:31], 3, v[72:73]
	v_mov_b32_e32 v38, s5
	v_add_co_u32_e32 v48, vcc, s4, v30
	v_ashrrev_i32_e32 v75, 31, v74
	v_addc_co_u32_e32 v49, vcc, v38, v31, vcc
	v_lshlrev_b64 v[30:31], 3, v[74:75]
	v_mov_b32_e32 v39, s5
	v_add_co_u32_e32 v38, vcc, s4, v30
	v_ashrrev_i32_e32 v77, 31, v76
	v_addc_co_u32_e32 v39, vcc, v39, v31, vcc
	v_lshlrev_b64 v[30:31], 3, v[76:77]
	v_mov_b32_e32 v72, s5
	v_add_co_u32_e32 v30, vcc, s4, v30
	v_addc_co_u32_e32 v31, vcc, v72, v31, vcc
	global_load_dwordx2 v[72:73], v[48:49], off
	global_load_dwordx2 v[74:75], v[38:39], off
	;; [unrolled: 1-line block ×3, first 2 shown]
	s_cmpk_lg_i32 s13, 0x84
	s_waitcnt vmcnt(23)
	buffer_store_dword v81, off, s[0:3], 0 offset:68
	buffer_store_dword v80, off, s[0:3], 0 offset:64
	s_waitcnt vmcnt(18)
	buffer_store_dword v82, off, s[0:3], 0 offset:72
	buffer_store_dword v83, off, s[0:3], 0 offset:76
	;; [unrolled: 3-line block ×18, first 2 shown]
	buffer_store_dword v79, off, s[0:3], 0 offset:212
	buffer_store_dword v78, off, s[0:3], 0 offset:208
	v_mov_b32_e32 v56, 0
	v_mov_b32_e32 v82, 0
	s_cselect_b64 s[8:9], -1, 0
	s_cmpk_eq_i32 s13, 0x84
	v_mov_b32_e32 v57, 0xbff00000
	s_cbranch_scc1 .LBB26_3
; %bb.2:
	v_lshl_add_u32 v66, v0, 3, v82
	buffer_load_dword v56, v66, s[0:3], 0 offen
	buffer_load_dword v57, v66, s[0:3], 0 offen offset:4
	s_waitcnt vmcnt(0)
	v_div_scale_f64 v[58:59], s[4:5], v[56:57], v[56:57], 1.0
	v_rcp_f64_e32 v[60:61], v[58:59]
	v_div_scale_f64 v[62:63], vcc, 1.0, v[56:57], 1.0
	v_fma_f64 v[64:65], -v[58:59], v[60:61], 1.0
	v_fmac_f64_e32 v[60:61], v[60:61], v[64:65]
	v_fma_f64 v[64:65], -v[58:59], v[60:61], 1.0
	v_fmac_f64_e32 v[60:61], v[60:61], v[64:65]
	v_mul_f64 v[64:65], v[62:63], v[60:61]
	v_fma_f64 v[58:59], -v[58:59], v[64:65], v[62:63]
	v_div_fmas_f64 v[58:59], v[58:59], v[60:61], v[64:65]
	v_div_fixup_f64 v[56:57], v[58:59], v[56:57], 1.0
	buffer_store_dword v56, v66, s[0:3], 0 offen
	buffer_store_dword v57, v66, s[0:3], 0 offen offset:4
	v_xor_b32_e32 v57, 0x80000000, v57
.LBB26_3:
	s_cmpk_eq_i32 s12, 0x79
	v_add_u32_e32 v58, 0xe0, v1
	v_add_u32_e32 v59, 0, v1
	s_mov_b64 s[4:5], -1
	ds_write_b64 v1, v[56:57]
	s_cbranch_scc1 .LBB26_257
; %bb.4:
	buffer_load_dword v56, off, s[0:3], 0 offset:200
	buffer_load_dword v57, off, s[0:3], 0 offset:204
	v_cmp_eq_u32_e64 s[4:5], 26, v0
	s_waitcnt vmcnt(0)
	ds_write_b64 v58, v[56:57]
	s_waitcnt lgkmcnt(0)
	; wave barrier
	s_waitcnt lgkmcnt(0)
	s_and_saveexec_b64 s[6:7], s[4:5]
	s_cbranch_execz .LBB26_10
; %bb.5:
	s_and_b64 vcc, exec, s[8:9]
	s_cbranch_vccz .LBB26_7
; %bb.6:
	buffer_load_dword v56, v59, s[0:3], 0 offen
	buffer_load_dword v57, v59, s[0:3], 0 offen offset:4
	ds_read_b64 v[60:61], v58
	s_waitcnt vmcnt(0) lgkmcnt(0)
	v_mul_f64 v[56:57], v[56:57], v[60:61]
	s_cbranch_execz .LBB26_8
	s_branch .LBB26_9
.LBB26_7:
                                        ; implicit-def: $vgpr56_vgpr57
.LBB26_8:
	ds_read_b64 v[56:57], v58
.LBB26_9:
	v_mov_b32_e32 v60, 0
	ds_read_b64 v[60:61], v60 offset:200
	s_waitcnt lgkmcnt(0)
	v_mul_f64 v[56:57], v[56:57], v[60:61]
	buffer_store_dword v57, off, s[0:3], 0 offset:204
	buffer_store_dword v56, off, s[0:3], 0 offset:200
.LBB26_10:
	s_or_b64 exec, exec, s[6:7]
	buffer_load_dword v56, off, s[0:3], 0 offset:192
	buffer_load_dword v57, off, s[0:3], 0 offset:196
	v_or_b32_e32 v60, 8, v82
	v_add_u32_e32 v61, 16, v82
	v_add_u32_e32 v62, 24, v82
	;; [unrolled: 1-line block ×23, first 2 shown]
	v_cmp_lt_u32_e64 s[6:7], 24, v0
	s_waitcnt vmcnt(0)
	ds_write_b64 v58, v[56:57]
	s_waitcnt lgkmcnt(0)
	; wave barrier
	s_waitcnt lgkmcnt(0)
	s_and_saveexec_b64 s[10:11], s[6:7]
	s_cbranch_execz .LBB26_16
; %bb.11:
	s_andn2_b64 vcc, exec, s[8:9]
	s_cbranch_vccnz .LBB26_13
; %bb.12:
	buffer_load_dword v56, v59, s[0:3], 0 offen
	buffer_load_dword v57, v59, s[0:3], 0 offen offset:4
	ds_read_b64 v[84:85], v58
	s_waitcnt vmcnt(0) lgkmcnt(0)
	v_mul_f64 v[56:57], v[56:57], v[84:85]
	s_cbranch_execz .LBB26_14
	s_branch .LBB26_15
.LBB26_13:
                                        ; implicit-def: $vgpr56_vgpr57
.LBB26_14:
	ds_read_b64 v[56:57], v58
.LBB26_15:
	buffer_load_dword v88, off, s[0:3], 0 offset:200
	buffer_load_dword v89, off, s[0:3], 0 offset:204
	v_mov_b32_e32 v84, 0
	ds_read2_b64 v[84:87], v84 offset0:24 offset1:53
	s_waitcnt vmcnt(0) lgkmcnt(0)
	v_fma_f64 v[86:87], v[88:89], v[86:87], v[56:57]
	v_cndmask_b32_e64 v57, v57, v87, s[4:5]
	v_cndmask_b32_e64 v56, v56, v86, s[4:5]
	v_mul_f64 v[56:57], v[56:57], v[84:85]
	buffer_store_dword v57, off, s[0:3], 0 offset:196
	buffer_store_dword v56, off, s[0:3], 0 offset:192
.LBB26_16:
	s_or_b64 exec, exec, s[10:11]
	buffer_load_dword v56, off, s[0:3], 0 offset:184
	buffer_load_dword v57, off, s[0:3], 0 offset:188
	v_cmp_lt_u32_e64 s[4:5], 23, v0
	s_waitcnt vmcnt(0)
	ds_write_b64 v58, v[56:57]
	s_waitcnt lgkmcnt(0)
	; wave barrier
	s_waitcnt lgkmcnt(0)
	s_and_saveexec_b64 s[10:11], s[4:5]
	s_cbranch_execz .LBB26_26
; %bb.17:
	s_andn2_b64 vcc, exec, s[8:9]
	s_cbranch_vccnz .LBB26_19
; %bb.18:
	buffer_load_dword v56, v59, s[0:3], 0 offen
	buffer_load_dword v57, v59, s[0:3], 0 offen offset:4
	ds_read_b64 v[84:85], v58
	s_waitcnt vmcnt(0) lgkmcnt(0)
	v_mul_f64 v[56:57], v[56:57], v[84:85]
	s_cbranch_execz .LBB26_20
	s_branch .LBB26_21
.LBB26_19:
                                        ; implicit-def: $vgpr56_vgpr57
.LBB26_20:
	ds_read_b64 v[56:57], v58
.LBB26_21:
	s_and_saveexec_b64 s[12:13], s[6:7]
	s_cbranch_execz .LBB26_25
; %bb.22:
	v_subrev_u32_e32 v84, 24, v0
	s_movk_i32 s14, 0x1a0
	s_mov_b64 s[6:7], 0
.LBB26_23:                              ; =>This Inner Loop Header: Depth=1
	buffer_load_dword v86, v82, s[0:3], 0 offen
	buffer_load_dword v87, v82, s[0:3], 0 offen offset:4
	v_mov_b32_e32 v85, s14
	ds_read_b64 v[88:89], v85
	v_add_u32_e32 v84, -1, v84
	s_add_i32 s14, s14, 8
	v_cmp_eq_u32_e32 vcc, 0, v84
	v_add_u32_e32 v82, 8, v82
	s_or_b64 s[6:7], vcc, s[6:7]
	s_waitcnt vmcnt(0) lgkmcnt(0)
	v_fmac_f64_e32 v[56:57], v[86:87], v[88:89]
	s_andn2_b64 exec, exec, s[6:7]
	s_cbranch_execnz .LBB26_23
; %bb.24:
	s_or_b64 exec, exec, s[6:7]
.LBB26_25:
	s_or_b64 exec, exec, s[12:13]
	v_mov_b32_e32 v82, 0
	ds_read_b64 v[84:85], v82 offset:184
	s_waitcnt lgkmcnt(0)
	v_mul_f64 v[56:57], v[56:57], v[84:85]
	buffer_store_dword v57, off, s[0:3], 0 offset:188
	buffer_store_dword v56, off, s[0:3], 0 offset:184
.LBB26_26:
	s_or_b64 exec, exec, s[10:11]
	buffer_load_dword v56, off, s[0:3], 0 offset:176
	buffer_load_dword v57, off, s[0:3], 0 offset:180
	v_cmp_lt_u32_e64 s[6:7], 22, v0
	s_waitcnt vmcnt(0)
	ds_write_b64 v58, v[56:57]
	s_waitcnt lgkmcnt(0)
	; wave barrier
	s_waitcnt lgkmcnt(0)
	s_and_saveexec_b64 s[10:11], s[6:7]
	s_cbranch_execz .LBB26_36
; %bb.27:
	s_andn2_b64 vcc, exec, s[8:9]
	s_cbranch_vccnz .LBB26_29
; %bb.28:
	buffer_load_dword v56, v59, s[0:3], 0 offen
	buffer_load_dword v57, v59, s[0:3], 0 offen offset:4
	ds_read_b64 v[84:85], v58
	s_waitcnt vmcnt(0) lgkmcnt(0)
	v_mul_f64 v[56:57], v[56:57], v[84:85]
	s_cbranch_execz .LBB26_30
	s_branch .LBB26_31
.LBB26_29:
                                        ; implicit-def: $vgpr56_vgpr57
.LBB26_30:
	ds_read_b64 v[56:57], v58
.LBB26_31:
	s_and_saveexec_b64 s[12:13], s[4:5]
	s_cbranch_execz .LBB26_35
; %bb.32:
	v_subrev_u32_e32 v82, 23, v0
	s_movk_i32 s14, 0x198
	s_mov_b64 s[4:5], 0
.LBB26_33:                              ; =>This Inner Loop Header: Depth=1
	buffer_load_dword v84, v83, s[0:3], 0 offen
	buffer_load_dword v85, v83, s[0:3], 0 offen offset:4
	v_mov_b32_e32 v86, s14
	ds_read_b64 v[86:87], v86
	v_add_u32_e32 v82, -1, v82
	s_add_i32 s14, s14, 8
	v_cmp_eq_u32_e32 vcc, 0, v82
	v_add_u32_e32 v83, 8, v83
	s_or_b64 s[4:5], vcc, s[4:5]
	s_waitcnt vmcnt(0) lgkmcnt(0)
	v_fmac_f64_e32 v[56:57], v[84:85], v[86:87]
	s_andn2_b64 exec, exec, s[4:5]
	s_cbranch_execnz .LBB26_33
; %bb.34:
	s_or_b64 exec, exec, s[4:5]
.LBB26_35:
	s_or_b64 exec, exec, s[12:13]
	v_mov_b32_e32 v82, 0
	ds_read_b64 v[82:83], v82 offset:176
	s_waitcnt lgkmcnt(0)
	v_mul_f64 v[56:57], v[56:57], v[82:83]
	buffer_store_dword v57, off, s[0:3], 0 offset:180
	buffer_store_dword v56, off, s[0:3], 0 offset:176
.LBB26_36:
	s_or_b64 exec, exec, s[10:11]
	buffer_load_dword v56, off, s[0:3], 0 offset:168
	buffer_load_dword v57, off, s[0:3], 0 offset:172
	v_cmp_lt_u32_e64 s[4:5], 21, v0
	s_waitcnt vmcnt(0)
	ds_write_b64 v58, v[56:57]
	s_waitcnt lgkmcnt(0)
	; wave barrier
	s_waitcnt lgkmcnt(0)
	s_and_saveexec_b64 s[10:11], s[4:5]
	s_cbranch_execz .LBB26_46
; %bb.37:
	s_andn2_b64 vcc, exec, s[8:9]
	s_cbranch_vccnz .LBB26_39
; %bb.38:
	buffer_load_dword v56, v59, s[0:3], 0 offen
	buffer_load_dword v57, v59, s[0:3], 0 offen offset:4
	ds_read_b64 v[82:83], v58
	s_waitcnt vmcnt(0) lgkmcnt(0)
	v_mul_f64 v[56:57], v[56:57], v[82:83]
	s_cbranch_execz .LBB26_40
	s_branch .LBB26_41
.LBB26_39:
                                        ; implicit-def: $vgpr56_vgpr57
.LBB26_40:
	ds_read_b64 v[56:57], v58
.LBB26_41:
	s_and_saveexec_b64 s[12:13], s[6:7]
	s_cbranch_execz .LBB26_45
; %bb.42:
	v_subrev_u32_e32 v82, 22, v0
	s_movk_i32 s14, 0x190
	s_mov_b64 s[6:7], 0
.LBB26_43:                              ; =>This Inner Loop Header: Depth=1
	buffer_load_dword v84, v81, s[0:3], 0 offen
	buffer_load_dword v85, v81, s[0:3], 0 offen offset:4
	v_mov_b32_e32 v83, s14
	ds_read_b64 v[86:87], v83
	v_add_u32_e32 v82, -1, v82
	s_add_i32 s14, s14, 8
	v_cmp_eq_u32_e32 vcc, 0, v82
	v_add_u32_e32 v81, 8, v81
	s_or_b64 s[6:7], vcc, s[6:7]
	s_waitcnt vmcnt(0) lgkmcnt(0)
	v_fmac_f64_e32 v[56:57], v[84:85], v[86:87]
	s_andn2_b64 exec, exec, s[6:7]
	s_cbranch_execnz .LBB26_43
; %bb.44:
	s_or_b64 exec, exec, s[6:7]
.LBB26_45:
	s_or_b64 exec, exec, s[12:13]
	v_mov_b32_e32 v81, 0
	ds_read_b64 v[82:83], v81 offset:168
	s_waitcnt lgkmcnt(0)
	v_mul_f64 v[56:57], v[56:57], v[82:83]
	buffer_store_dword v57, off, s[0:3], 0 offset:172
	buffer_store_dword v56, off, s[0:3], 0 offset:168
.LBB26_46:
	s_or_b64 exec, exec, s[10:11]
	buffer_load_dword v56, off, s[0:3], 0 offset:160
	buffer_load_dword v57, off, s[0:3], 0 offset:164
	v_cmp_lt_u32_e64 s[6:7], 20, v0
	s_waitcnt vmcnt(0)
	ds_write_b64 v58, v[56:57]
	s_waitcnt lgkmcnt(0)
	; wave barrier
	s_waitcnt lgkmcnt(0)
	s_and_saveexec_b64 s[10:11], s[6:7]
	s_cbranch_execz .LBB26_56
; %bb.47:
	s_andn2_b64 vcc, exec, s[8:9]
	s_cbranch_vccnz .LBB26_49
; %bb.48:
	buffer_load_dword v56, v59, s[0:3], 0 offen
	buffer_load_dword v57, v59, s[0:3], 0 offen offset:4
	ds_read_b64 v[82:83], v58
	s_waitcnt vmcnt(0) lgkmcnt(0)
	v_mul_f64 v[56:57], v[56:57], v[82:83]
	s_cbranch_execz .LBB26_50
	s_branch .LBB26_51
.LBB26_49:
                                        ; implicit-def: $vgpr56_vgpr57
.LBB26_50:
	ds_read_b64 v[56:57], v58
.LBB26_51:
	s_and_saveexec_b64 s[12:13], s[4:5]
	s_cbranch_execz .LBB26_55
; %bb.52:
	v_subrev_u32_e32 v81, 21, v0
	s_movk_i32 s14, 0x188
	s_mov_b64 s[4:5], 0
.LBB26_53:                              ; =>This Inner Loop Header: Depth=1
	buffer_load_dword v82, v80, s[0:3], 0 offen
	buffer_load_dword v83, v80, s[0:3], 0 offen offset:4
	v_mov_b32_e32 v84, s14
	ds_read_b64 v[84:85], v84
	v_add_u32_e32 v81, -1, v81
	s_add_i32 s14, s14, 8
	v_cmp_eq_u32_e32 vcc, 0, v81
	v_add_u32_e32 v80, 8, v80
	s_or_b64 s[4:5], vcc, s[4:5]
	s_waitcnt vmcnt(0) lgkmcnt(0)
	v_fmac_f64_e32 v[56:57], v[82:83], v[84:85]
	s_andn2_b64 exec, exec, s[4:5]
	s_cbranch_execnz .LBB26_53
; %bb.54:
	s_or_b64 exec, exec, s[4:5]
.LBB26_55:
	s_or_b64 exec, exec, s[12:13]
	v_mov_b32_e32 v80, 0
	ds_read_b64 v[80:81], v80 offset:160
	s_waitcnt lgkmcnt(0)
	v_mul_f64 v[56:57], v[56:57], v[80:81]
	buffer_store_dword v57, off, s[0:3], 0 offset:164
	buffer_store_dword v56, off, s[0:3], 0 offset:160
.LBB26_56:
	s_or_b64 exec, exec, s[10:11]
	buffer_load_dword v56, off, s[0:3], 0 offset:152
	buffer_load_dword v57, off, s[0:3], 0 offset:156
	v_cmp_lt_u32_e64 s[4:5], 19, v0
	s_waitcnt vmcnt(0)
	ds_write_b64 v58, v[56:57]
	s_waitcnt lgkmcnt(0)
	; wave barrier
	s_waitcnt lgkmcnt(0)
	s_and_saveexec_b64 s[10:11], s[4:5]
	s_cbranch_execz .LBB26_66
; %bb.57:
	s_andn2_b64 vcc, exec, s[8:9]
	s_cbranch_vccnz .LBB26_59
; %bb.58:
	buffer_load_dword v56, v59, s[0:3], 0 offen
	buffer_load_dword v57, v59, s[0:3], 0 offen offset:4
	ds_read_b64 v[80:81], v58
	s_waitcnt vmcnt(0) lgkmcnt(0)
	v_mul_f64 v[56:57], v[56:57], v[80:81]
	s_cbranch_execz .LBB26_60
	s_branch .LBB26_61
.LBB26_59:
                                        ; implicit-def: $vgpr56_vgpr57
.LBB26_60:
	ds_read_b64 v[56:57], v58
.LBB26_61:
	s_and_saveexec_b64 s[12:13], s[6:7]
	s_cbranch_execz .LBB26_65
; %bb.62:
	v_subrev_u32_e32 v80, 20, v0
	s_movk_i32 s14, 0x180
	s_mov_b64 s[6:7], 0
.LBB26_63:                              ; =>This Inner Loop Header: Depth=1
	buffer_load_dword v82, v79, s[0:3], 0 offen
	buffer_load_dword v83, v79, s[0:3], 0 offen offset:4
	v_mov_b32_e32 v81, s14
	ds_read_b64 v[84:85], v81
	v_add_u32_e32 v80, -1, v80
	s_add_i32 s14, s14, 8
	v_cmp_eq_u32_e32 vcc, 0, v80
	v_add_u32_e32 v79, 8, v79
	s_or_b64 s[6:7], vcc, s[6:7]
	s_waitcnt vmcnt(0) lgkmcnt(0)
	v_fmac_f64_e32 v[56:57], v[82:83], v[84:85]
	s_andn2_b64 exec, exec, s[6:7]
	s_cbranch_execnz .LBB26_63
; %bb.64:
	s_or_b64 exec, exec, s[6:7]
.LBB26_65:
	s_or_b64 exec, exec, s[12:13]
	v_mov_b32_e32 v79, 0
	ds_read_b64 v[80:81], v79 offset:152
	s_waitcnt lgkmcnt(0)
	v_mul_f64 v[56:57], v[56:57], v[80:81]
	buffer_store_dword v57, off, s[0:3], 0 offset:156
	buffer_store_dword v56, off, s[0:3], 0 offset:152
.LBB26_66:
	s_or_b64 exec, exec, s[10:11]
	buffer_load_dword v56, off, s[0:3], 0 offset:144
	buffer_load_dword v57, off, s[0:3], 0 offset:148
	v_cmp_lt_u32_e64 s[6:7], 18, v0
	s_waitcnt vmcnt(0)
	ds_write_b64 v58, v[56:57]
	s_waitcnt lgkmcnt(0)
	; wave barrier
	s_waitcnt lgkmcnt(0)
	s_and_saveexec_b64 s[10:11], s[6:7]
	s_cbranch_execz .LBB26_76
; %bb.67:
	s_andn2_b64 vcc, exec, s[8:9]
	s_cbranch_vccnz .LBB26_69
; %bb.68:
	buffer_load_dword v56, v59, s[0:3], 0 offen
	buffer_load_dword v57, v59, s[0:3], 0 offen offset:4
	ds_read_b64 v[80:81], v58
	s_waitcnt vmcnt(0) lgkmcnt(0)
	v_mul_f64 v[56:57], v[56:57], v[80:81]
	s_cbranch_execz .LBB26_70
	s_branch .LBB26_71
.LBB26_69:
                                        ; implicit-def: $vgpr56_vgpr57
.LBB26_70:
	ds_read_b64 v[56:57], v58
.LBB26_71:
	s_and_saveexec_b64 s[12:13], s[4:5]
	s_cbranch_execz .LBB26_75
; %bb.72:
	v_subrev_u32_e32 v79, 19, v0
	s_movk_i32 s14, 0x178
	s_mov_b64 s[4:5], 0
.LBB26_73:                              ; =>This Inner Loop Header: Depth=1
	buffer_load_dword v80, v78, s[0:3], 0 offen
	buffer_load_dword v81, v78, s[0:3], 0 offen offset:4
	v_mov_b32_e32 v82, s14
	ds_read_b64 v[82:83], v82
	v_add_u32_e32 v79, -1, v79
	s_add_i32 s14, s14, 8
	v_cmp_eq_u32_e32 vcc, 0, v79
	v_add_u32_e32 v78, 8, v78
	s_or_b64 s[4:5], vcc, s[4:5]
	s_waitcnt vmcnt(0) lgkmcnt(0)
	v_fmac_f64_e32 v[56:57], v[80:81], v[82:83]
	s_andn2_b64 exec, exec, s[4:5]
	s_cbranch_execnz .LBB26_73
; %bb.74:
	s_or_b64 exec, exec, s[4:5]
.LBB26_75:
	s_or_b64 exec, exec, s[12:13]
	v_mov_b32_e32 v78, 0
	ds_read_b64 v[78:79], v78 offset:144
	s_waitcnt lgkmcnt(0)
	v_mul_f64 v[56:57], v[56:57], v[78:79]
	buffer_store_dword v57, off, s[0:3], 0 offset:148
	buffer_store_dword v56, off, s[0:3], 0 offset:144
.LBB26_76:
	s_or_b64 exec, exec, s[10:11]
	buffer_load_dword v56, off, s[0:3], 0 offset:136
	buffer_load_dword v57, off, s[0:3], 0 offset:140
	v_cmp_lt_u32_e64 s[4:5], 17, v0
	s_waitcnt vmcnt(0)
	ds_write_b64 v58, v[56:57]
	s_waitcnt lgkmcnt(0)
	; wave barrier
	s_waitcnt lgkmcnt(0)
	s_and_saveexec_b64 s[10:11], s[4:5]
	s_cbranch_execz .LBB26_86
; %bb.77:
	s_andn2_b64 vcc, exec, s[8:9]
	s_cbranch_vccnz .LBB26_79
; %bb.78:
	buffer_load_dword v56, v59, s[0:3], 0 offen
	buffer_load_dword v57, v59, s[0:3], 0 offen offset:4
	ds_read_b64 v[78:79], v58
	s_waitcnt vmcnt(0) lgkmcnt(0)
	v_mul_f64 v[56:57], v[56:57], v[78:79]
	s_cbranch_execz .LBB26_80
	s_branch .LBB26_81
.LBB26_79:
                                        ; implicit-def: $vgpr56_vgpr57
.LBB26_80:
	ds_read_b64 v[56:57], v58
.LBB26_81:
	s_and_saveexec_b64 s[12:13], s[6:7]
	s_cbranch_execz .LBB26_85
; %bb.82:
	v_subrev_u32_e32 v78, 18, v0
	s_movk_i32 s14, 0x170
	s_mov_b64 s[6:7], 0
.LBB26_83:                              ; =>This Inner Loop Header: Depth=1
	buffer_load_dword v80, v77, s[0:3], 0 offen
	buffer_load_dword v81, v77, s[0:3], 0 offen offset:4
	v_mov_b32_e32 v79, s14
	ds_read_b64 v[82:83], v79
	v_add_u32_e32 v78, -1, v78
	s_add_i32 s14, s14, 8
	v_cmp_eq_u32_e32 vcc, 0, v78
	v_add_u32_e32 v77, 8, v77
	s_or_b64 s[6:7], vcc, s[6:7]
	s_waitcnt vmcnt(0) lgkmcnt(0)
	v_fmac_f64_e32 v[56:57], v[80:81], v[82:83]
	s_andn2_b64 exec, exec, s[6:7]
	s_cbranch_execnz .LBB26_83
; %bb.84:
	s_or_b64 exec, exec, s[6:7]
.LBB26_85:
	s_or_b64 exec, exec, s[12:13]
	v_mov_b32_e32 v77, 0
	ds_read_b64 v[78:79], v77 offset:136
	s_waitcnt lgkmcnt(0)
	v_mul_f64 v[56:57], v[56:57], v[78:79]
	buffer_store_dword v57, off, s[0:3], 0 offset:140
	buffer_store_dword v56, off, s[0:3], 0 offset:136
.LBB26_86:
	s_or_b64 exec, exec, s[10:11]
	buffer_load_dword v56, off, s[0:3], 0 offset:128
	buffer_load_dword v57, off, s[0:3], 0 offset:132
	v_cmp_lt_u32_e64 s[6:7], 16, v0
	s_waitcnt vmcnt(0)
	ds_write_b64 v58, v[56:57]
	s_waitcnt lgkmcnt(0)
	; wave barrier
	s_waitcnt lgkmcnt(0)
	s_and_saveexec_b64 s[10:11], s[6:7]
	s_cbranch_execz .LBB26_96
; %bb.87:
	s_andn2_b64 vcc, exec, s[8:9]
	s_cbranch_vccnz .LBB26_89
; %bb.88:
	buffer_load_dword v56, v59, s[0:3], 0 offen
	buffer_load_dword v57, v59, s[0:3], 0 offen offset:4
	ds_read_b64 v[78:79], v58
	s_waitcnt vmcnt(0) lgkmcnt(0)
	v_mul_f64 v[56:57], v[56:57], v[78:79]
	s_cbranch_execz .LBB26_90
	s_branch .LBB26_91
.LBB26_89:
                                        ; implicit-def: $vgpr56_vgpr57
.LBB26_90:
	ds_read_b64 v[56:57], v58
.LBB26_91:
	s_and_saveexec_b64 s[12:13], s[4:5]
	s_cbranch_execz .LBB26_95
; %bb.92:
	v_subrev_u32_e32 v77, 17, v0
	s_movk_i32 s14, 0x168
	s_mov_b64 s[4:5], 0
.LBB26_93:                              ; =>This Inner Loop Header: Depth=1
	buffer_load_dword v78, v76, s[0:3], 0 offen
	buffer_load_dword v79, v76, s[0:3], 0 offen offset:4
	v_mov_b32_e32 v80, s14
	ds_read_b64 v[80:81], v80
	v_add_u32_e32 v77, -1, v77
	s_add_i32 s14, s14, 8
	v_cmp_eq_u32_e32 vcc, 0, v77
	v_add_u32_e32 v76, 8, v76
	s_or_b64 s[4:5], vcc, s[4:5]
	s_waitcnt vmcnt(0) lgkmcnt(0)
	v_fmac_f64_e32 v[56:57], v[78:79], v[80:81]
	s_andn2_b64 exec, exec, s[4:5]
	s_cbranch_execnz .LBB26_93
; %bb.94:
	s_or_b64 exec, exec, s[4:5]
.LBB26_95:
	s_or_b64 exec, exec, s[12:13]
	v_mov_b32_e32 v76, 0
	ds_read_b64 v[76:77], v76 offset:128
	s_waitcnt lgkmcnt(0)
	v_mul_f64 v[56:57], v[56:57], v[76:77]
	buffer_store_dword v57, off, s[0:3], 0 offset:132
	buffer_store_dword v56, off, s[0:3], 0 offset:128
.LBB26_96:
	s_or_b64 exec, exec, s[10:11]
	buffer_load_dword v56, off, s[0:3], 0 offset:120
	buffer_load_dword v57, off, s[0:3], 0 offset:124
	v_cmp_lt_u32_e64 s[4:5], 15, v0
	s_waitcnt vmcnt(0)
	ds_write_b64 v58, v[56:57]
	s_waitcnt lgkmcnt(0)
	; wave barrier
	s_waitcnt lgkmcnt(0)
	s_and_saveexec_b64 s[10:11], s[4:5]
	s_cbranch_execz .LBB26_106
; %bb.97:
	s_andn2_b64 vcc, exec, s[8:9]
	s_cbranch_vccnz .LBB26_99
; %bb.98:
	buffer_load_dword v56, v59, s[0:3], 0 offen
	buffer_load_dword v57, v59, s[0:3], 0 offen offset:4
	ds_read_b64 v[76:77], v58
	s_waitcnt vmcnt(0) lgkmcnt(0)
	v_mul_f64 v[56:57], v[56:57], v[76:77]
	s_cbranch_execz .LBB26_100
	s_branch .LBB26_101
.LBB26_99:
                                        ; implicit-def: $vgpr56_vgpr57
.LBB26_100:
	ds_read_b64 v[56:57], v58
.LBB26_101:
	s_and_saveexec_b64 s[12:13], s[6:7]
	s_cbranch_execz .LBB26_105
; %bb.102:
	v_add_u32_e32 v76, -16, v0
	s_movk_i32 s14, 0x160
	s_mov_b64 s[6:7], 0
.LBB26_103:                             ; =>This Inner Loop Header: Depth=1
	buffer_load_dword v78, v75, s[0:3], 0 offen
	buffer_load_dword v79, v75, s[0:3], 0 offen offset:4
	v_mov_b32_e32 v77, s14
	ds_read_b64 v[80:81], v77
	v_add_u32_e32 v76, -1, v76
	s_add_i32 s14, s14, 8
	v_cmp_eq_u32_e32 vcc, 0, v76
	v_add_u32_e32 v75, 8, v75
	s_or_b64 s[6:7], vcc, s[6:7]
	s_waitcnt vmcnt(0) lgkmcnt(0)
	v_fmac_f64_e32 v[56:57], v[78:79], v[80:81]
	s_andn2_b64 exec, exec, s[6:7]
	s_cbranch_execnz .LBB26_103
; %bb.104:
	s_or_b64 exec, exec, s[6:7]
.LBB26_105:
	s_or_b64 exec, exec, s[12:13]
	v_mov_b32_e32 v75, 0
	ds_read_b64 v[76:77], v75 offset:120
	s_waitcnt lgkmcnt(0)
	v_mul_f64 v[56:57], v[56:57], v[76:77]
	buffer_store_dword v57, off, s[0:3], 0 offset:124
	buffer_store_dword v56, off, s[0:3], 0 offset:120
.LBB26_106:
	s_or_b64 exec, exec, s[10:11]
	buffer_load_dword v56, off, s[0:3], 0 offset:112
	buffer_load_dword v57, off, s[0:3], 0 offset:116
	v_cmp_lt_u32_e64 s[6:7], 14, v0
	s_waitcnt vmcnt(0)
	ds_write_b64 v58, v[56:57]
	s_waitcnt lgkmcnt(0)
	; wave barrier
	s_waitcnt lgkmcnt(0)
	s_and_saveexec_b64 s[10:11], s[6:7]
	s_cbranch_execz .LBB26_116
; %bb.107:
	s_andn2_b64 vcc, exec, s[8:9]
	s_cbranch_vccnz .LBB26_109
; %bb.108:
	buffer_load_dword v56, v59, s[0:3], 0 offen
	buffer_load_dword v57, v59, s[0:3], 0 offen offset:4
	ds_read_b64 v[76:77], v58
	s_waitcnt vmcnt(0) lgkmcnt(0)
	v_mul_f64 v[56:57], v[56:57], v[76:77]
	s_cbranch_execz .LBB26_110
	s_branch .LBB26_111
.LBB26_109:
                                        ; implicit-def: $vgpr56_vgpr57
.LBB26_110:
	ds_read_b64 v[56:57], v58
.LBB26_111:
	s_and_saveexec_b64 s[12:13], s[4:5]
	s_cbranch_execz .LBB26_115
; %bb.112:
	v_add_u32_e32 v75, -15, v0
	s_movk_i32 s14, 0x158
	s_mov_b64 s[4:5], 0
.LBB26_113:                             ; =>This Inner Loop Header: Depth=1
	buffer_load_dword v76, v74, s[0:3], 0 offen
	buffer_load_dword v77, v74, s[0:3], 0 offen offset:4
	v_mov_b32_e32 v78, s14
	ds_read_b64 v[78:79], v78
	v_add_u32_e32 v75, -1, v75
	s_add_i32 s14, s14, 8
	v_cmp_eq_u32_e32 vcc, 0, v75
	v_add_u32_e32 v74, 8, v74
	s_or_b64 s[4:5], vcc, s[4:5]
	s_waitcnt vmcnt(0) lgkmcnt(0)
	v_fmac_f64_e32 v[56:57], v[76:77], v[78:79]
	s_andn2_b64 exec, exec, s[4:5]
	s_cbranch_execnz .LBB26_113
; %bb.114:
	s_or_b64 exec, exec, s[4:5]
.LBB26_115:
	s_or_b64 exec, exec, s[12:13]
	v_mov_b32_e32 v74, 0
	ds_read_b64 v[74:75], v74 offset:112
	s_waitcnt lgkmcnt(0)
	v_mul_f64 v[56:57], v[56:57], v[74:75]
	buffer_store_dword v57, off, s[0:3], 0 offset:116
	buffer_store_dword v56, off, s[0:3], 0 offset:112
.LBB26_116:
	s_or_b64 exec, exec, s[10:11]
	buffer_load_dword v56, off, s[0:3], 0 offset:104
	buffer_load_dword v57, off, s[0:3], 0 offset:108
	v_cmp_lt_u32_e64 s[4:5], 13, v0
	s_waitcnt vmcnt(0)
	ds_write_b64 v58, v[56:57]
	s_waitcnt lgkmcnt(0)
	; wave barrier
	s_waitcnt lgkmcnt(0)
	s_and_saveexec_b64 s[10:11], s[4:5]
	s_cbranch_execz .LBB26_126
; %bb.117:
	s_andn2_b64 vcc, exec, s[8:9]
	s_cbranch_vccnz .LBB26_119
; %bb.118:
	buffer_load_dword v56, v59, s[0:3], 0 offen
	buffer_load_dword v57, v59, s[0:3], 0 offen offset:4
	ds_read_b64 v[74:75], v58
	s_waitcnt vmcnt(0) lgkmcnt(0)
	v_mul_f64 v[56:57], v[56:57], v[74:75]
	s_cbranch_execz .LBB26_120
	s_branch .LBB26_121
.LBB26_119:
                                        ; implicit-def: $vgpr56_vgpr57
.LBB26_120:
	ds_read_b64 v[56:57], v58
.LBB26_121:
	s_and_saveexec_b64 s[12:13], s[6:7]
	s_cbranch_execz .LBB26_125
; %bb.122:
	v_add_u32_e32 v74, -14, v0
	s_movk_i32 s14, 0x150
	s_mov_b64 s[6:7], 0
.LBB26_123:                             ; =>This Inner Loop Header: Depth=1
	buffer_load_dword v76, v73, s[0:3], 0 offen
	buffer_load_dword v77, v73, s[0:3], 0 offen offset:4
	v_mov_b32_e32 v75, s14
	ds_read_b64 v[78:79], v75
	v_add_u32_e32 v74, -1, v74
	s_add_i32 s14, s14, 8
	v_cmp_eq_u32_e32 vcc, 0, v74
	v_add_u32_e32 v73, 8, v73
	s_or_b64 s[6:7], vcc, s[6:7]
	s_waitcnt vmcnt(0) lgkmcnt(0)
	v_fmac_f64_e32 v[56:57], v[76:77], v[78:79]
	s_andn2_b64 exec, exec, s[6:7]
	s_cbranch_execnz .LBB26_123
; %bb.124:
	s_or_b64 exec, exec, s[6:7]
.LBB26_125:
	s_or_b64 exec, exec, s[12:13]
	v_mov_b32_e32 v73, 0
	ds_read_b64 v[74:75], v73 offset:104
	s_waitcnt lgkmcnt(0)
	v_mul_f64 v[56:57], v[56:57], v[74:75]
	buffer_store_dword v57, off, s[0:3], 0 offset:108
	buffer_store_dword v56, off, s[0:3], 0 offset:104
.LBB26_126:
	s_or_b64 exec, exec, s[10:11]
	buffer_load_dword v56, off, s[0:3], 0 offset:96
	buffer_load_dword v57, off, s[0:3], 0 offset:100
	v_cmp_lt_u32_e64 s[6:7], 12, v0
	s_waitcnt vmcnt(0)
	ds_write_b64 v58, v[56:57]
	s_waitcnt lgkmcnt(0)
	; wave barrier
	s_waitcnt lgkmcnt(0)
	s_and_saveexec_b64 s[10:11], s[6:7]
	s_cbranch_execz .LBB26_136
; %bb.127:
	s_andn2_b64 vcc, exec, s[8:9]
	s_cbranch_vccnz .LBB26_129
; %bb.128:
	buffer_load_dword v56, v59, s[0:3], 0 offen
	buffer_load_dword v57, v59, s[0:3], 0 offen offset:4
	ds_read_b64 v[74:75], v58
	s_waitcnt vmcnt(0) lgkmcnt(0)
	v_mul_f64 v[56:57], v[56:57], v[74:75]
	s_cbranch_execz .LBB26_130
	s_branch .LBB26_131
.LBB26_129:
                                        ; implicit-def: $vgpr56_vgpr57
.LBB26_130:
	ds_read_b64 v[56:57], v58
.LBB26_131:
	s_and_saveexec_b64 s[12:13], s[4:5]
	s_cbranch_execz .LBB26_135
; %bb.132:
	v_add_u32_e32 v73, -13, v0
	s_movk_i32 s14, 0x148
	s_mov_b64 s[4:5], 0
.LBB26_133:                             ; =>This Inner Loop Header: Depth=1
	buffer_load_dword v74, v72, s[0:3], 0 offen
	buffer_load_dword v75, v72, s[0:3], 0 offen offset:4
	v_mov_b32_e32 v76, s14
	ds_read_b64 v[76:77], v76
	v_add_u32_e32 v73, -1, v73
	s_add_i32 s14, s14, 8
	v_cmp_eq_u32_e32 vcc, 0, v73
	v_add_u32_e32 v72, 8, v72
	s_or_b64 s[4:5], vcc, s[4:5]
	s_waitcnt vmcnt(0) lgkmcnt(0)
	v_fmac_f64_e32 v[56:57], v[74:75], v[76:77]
	s_andn2_b64 exec, exec, s[4:5]
	s_cbranch_execnz .LBB26_133
; %bb.134:
	s_or_b64 exec, exec, s[4:5]
.LBB26_135:
	s_or_b64 exec, exec, s[12:13]
	v_mov_b32_e32 v72, 0
	ds_read_b64 v[72:73], v72 offset:96
	s_waitcnt lgkmcnt(0)
	v_mul_f64 v[56:57], v[56:57], v[72:73]
	buffer_store_dword v57, off, s[0:3], 0 offset:100
	buffer_store_dword v56, off, s[0:3], 0 offset:96
.LBB26_136:
	s_or_b64 exec, exec, s[10:11]
	buffer_load_dword v56, off, s[0:3], 0 offset:88
	buffer_load_dword v57, off, s[0:3], 0 offset:92
	v_cmp_lt_u32_e64 s[4:5], 11, v0
	s_waitcnt vmcnt(0)
	ds_write_b64 v58, v[56:57]
	s_waitcnt lgkmcnt(0)
	; wave barrier
	s_waitcnt lgkmcnt(0)
	s_and_saveexec_b64 s[10:11], s[4:5]
	s_cbranch_execz .LBB26_146
; %bb.137:
	s_andn2_b64 vcc, exec, s[8:9]
	s_cbranch_vccnz .LBB26_139
; %bb.138:
	buffer_load_dword v56, v59, s[0:3], 0 offen
	buffer_load_dword v57, v59, s[0:3], 0 offen offset:4
	ds_read_b64 v[72:73], v58
	s_waitcnt vmcnt(0) lgkmcnt(0)
	v_mul_f64 v[56:57], v[56:57], v[72:73]
	s_cbranch_execz .LBB26_140
	s_branch .LBB26_141
.LBB26_139:
                                        ; implicit-def: $vgpr56_vgpr57
.LBB26_140:
	ds_read_b64 v[56:57], v58
.LBB26_141:
	s_and_saveexec_b64 s[12:13], s[6:7]
	s_cbranch_execz .LBB26_145
; %bb.142:
	v_add_u32_e32 v72, -12, v0
	s_movk_i32 s14, 0x140
	s_mov_b64 s[6:7], 0
.LBB26_143:                             ; =>This Inner Loop Header: Depth=1
	buffer_load_dword v74, v71, s[0:3], 0 offen
	buffer_load_dword v75, v71, s[0:3], 0 offen offset:4
	v_mov_b32_e32 v73, s14
	ds_read_b64 v[76:77], v73
	v_add_u32_e32 v72, -1, v72
	s_add_i32 s14, s14, 8
	v_cmp_eq_u32_e32 vcc, 0, v72
	v_add_u32_e32 v71, 8, v71
	s_or_b64 s[6:7], vcc, s[6:7]
	s_waitcnt vmcnt(0) lgkmcnt(0)
	v_fmac_f64_e32 v[56:57], v[74:75], v[76:77]
	s_andn2_b64 exec, exec, s[6:7]
	s_cbranch_execnz .LBB26_143
; %bb.144:
	s_or_b64 exec, exec, s[6:7]
.LBB26_145:
	s_or_b64 exec, exec, s[12:13]
	v_mov_b32_e32 v71, 0
	ds_read_b64 v[72:73], v71 offset:88
	s_waitcnt lgkmcnt(0)
	v_mul_f64 v[56:57], v[56:57], v[72:73]
	buffer_store_dword v57, off, s[0:3], 0 offset:92
	buffer_store_dword v56, off, s[0:3], 0 offset:88
.LBB26_146:
	s_or_b64 exec, exec, s[10:11]
	buffer_load_dword v56, off, s[0:3], 0 offset:80
	buffer_load_dword v57, off, s[0:3], 0 offset:84
	v_cmp_lt_u32_e64 s[6:7], 10, v0
	s_waitcnt vmcnt(0)
	ds_write_b64 v58, v[56:57]
	s_waitcnt lgkmcnt(0)
	; wave barrier
	s_waitcnt lgkmcnt(0)
	s_and_saveexec_b64 s[10:11], s[6:7]
	s_cbranch_execz .LBB26_156
; %bb.147:
	s_andn2_b64 vcc, exec, s[8:9]
	s_cbranch_vccnz .LBB26_149
; %bb.148:
	buffer_load_dword v56, v59, s[0:3], 0 offen
	buffer_load_dword v57, v59, s[0:3], 0 offen offset:4
	ds_read_b64 v[72:73], v58
	s_waitcnt vmcnt(0) lgkmcnt(0)
	v_mul_f64 v[56:57], v[56:57], v[72:73]
	s_cbranch_execz .LBB26_150
	s_branch .LBB26_151
.LBB26_149:
                                        ; implicit-def: $vgpr56_vgpr57
.LBB26_150:
	ds_read_b64 v[56:57], v58
.LBB26_151:
	s_and_saveexec_b64 s[12:13], s[4:5]
	s_cbranch_execz .LBB26_155
; %bb.152:
	v_add_u32_e32 v71, -11, v0
	s_movk_i32 s14, 0x138
	s_mov_b64 s[4:5], 0
.LBB26_153:                             ; =>This Inner Loop Header: Depth=1
	buffer_load_dword v72, v70, s[0:3], 0 offen
	buffer_load_dword v73, v70, s[0:3], 0 offen offset:4
	v_mov_b32_e32 v74, s14
	ds_read_b64 v[74:75], v74
	v_add_u32_e32 v71, -1, v71
	s_add_i32 s14, s14, 8
	v_cmp_eq_u32_e32 vcc, 0, v71
	v_add_u32_e32 v70, 8, v70
	s_or_b64 s[4:5], vcc, s[4:5]
	s_waitcnt vmcnt(0) lgkmcnt(0)
	v_fmac_f64_e32 v[56:57], v[72:73], v[74:75]
	s_andn2_b64 exec, exec, s[4:5]
	s_cbranch_execnz .LBB26_153
; %bb.154:
	s_or_b64 exec, exec, s[4:5]
.LBB26_155:
	s_or_b64 exec, exec, s[12:13]
	v_mov_b32_e32 v70, 0
	ds_read_b64 v[70:71], v70 offset:80
	s_waitcnt lgkmcnt(0)
	v_mul_f64 v[56:57], v[56:57], v[70:71]
	buffer_store_dword v57, off, s[0:3], 0 offset:84
	buffer_store_dword v56, off, s[0:3], 0 offset:80
.LBB26_156:
	s_or_b64 exec, exec, s[10:11]
	buffer_load_dword v56, off, s[0:3], 0 offset:72
	buffer_load_dword v57, off, s[0:3], 0 offset:76
	v_cmp_lt_u32_e64 s[4:5], 9, v0
	s_waitcnt vmcnt(0)
	ds_write_b64 v58, v[56:57]
	s_waitcnt lgkmcnt(0)
	; wave barrier
	s_waitcnt lgkmcnt(0)
	s_and_saveexec_b64 s[10:11], s[4:5]
	s_cbranch_execz .LBB26_166
; %bb.157:
	s_andn2_b64 vcc, exec, s[8:9]
	s_cbranch_vccnz .LBB26_159
; %bb.158:
	buffer_load_dword v56, v59, s[0:3], 0 offen
	buffer_load_dword v57, v59, s[0:3], 0 offen offset:4
	ds_read_b64 v[70:71], v58
	s_waitcnt vmcnt(0) lgkmcnt(0)
	v_mul_f64 v[56:57], v[56:57], v[70:71]
	s_cbranch_execz .LBB26_160
	s_branch .LBB26_161
.LBB26_159:
                                        ; implicit-def: $vgpr56_vgpr57
.LBB26_160:
	ds_read_b64 v[56:57], v58
.LBB26_161:
	s_and_saveexec_b64 s[12:13], s[6:7]
	s_cbranch_execz .LBB26_165
; %bb.162:
	v_add_u32_e32 v70, -10, v0
	s_movk_i32 s14, 0x130
	s_mov_b64 s[6:7], 0
.LBB26_163:                             ; =>This Inner Loop Header: Depth=1
	buffer_load_dword v72, v69, s[0:3], 0 offen
	buffer_load_dword v73, v69, s[0:3], 0 offen offset:4
	v_mov_b32_e32 v71, s14
	ds_read_b64 v[74:75], v71
	v_add_u32_e32 v70, -1, v70
	s_add_i32 s14, s14, 8
	v_cmp_eq_u32_e32 vcc, 0, v70
	v_add_u32_e32 v69, 8, v69
	s_or_b64 s[6:7], vcc, s[6:7]
	s_waitcnt vmcnt(0) lgkmcnt(0)
	v_fmac_f64_e32 v[56:57], v[72:73], v[74:75]
	s_andn2_b64 exec, exec, s[6:7]
	s_cbranch_execnz .LBB26_163
; %bb.164:
	s_or_b64 exec, exec, s[6:7]
.LBB26_165:
	s_or_b64 exec, exec, s[12:13]
	v_mov_b32_e32 v69, 0
	ds_read_b64 v[70:71], v69 offset:72
	s_waitcnt lgkmcnt(0)
	v_mul_f64 v[56:57], v[56:57], v[70:71]
	buffer_store_dword v57, off, s[0:3], 0 offset:76
	buffer_store_dword v56, off, s[0:3], 0 offset:72
.LBB26_166:
	s_or_b64 exec, exec, s[10:11]
	buffer_load_dword v56, off, s[0:3], 0 offset:64
	buffer_load_dword v57, off, s[0:3], 0 offset:68
	v_cmp_lt_u32_e64 s[6:7], 8, v0
	s_waitcnt vmcnt(0)
	ds_write_b64 v58, v[56:57]
	s_waitcnt lgkmcnt(0)
	; wave barrier
	s_waitcnt lgkmcnt(0)
	s_and_saveexec_b64 s[10:11], s[6:7]
	s_cbranch_execz .LBB26_176
; %bb.167:
	s_andn2_b64 vcc, exec, s[8:9]
	s_cbranch_vccnz .LBB26_169
; %bb.168:
	buffer_load_dword v56, v59, s[0:3], 0 offen
	buffer_load_dword v57, v59, s[0:3], 0 offen offset:4
	ds_read_b64 v[70:71], v58
	s_waitcnt vmcnt(0) lgkmcnt(0)
	v_mul_f64 v[56:57], v[56:57], v[70:71]
	s_cbranch_execz .LBB26_170
	s_branch .LBB26_171
.LBB26_169:
                                        ; implicit-def: $vgpr56_vgpr57
.LBB26_170:
	ds_read_b64 v[56:57], v58
.LBB26_171:
	s_and_saveexec_b64 s[12:13], s[4:5]
	s_cbranch_execz .LBB26_175
; %bb.172:
	v_add_u32_e32 v69, -9, v0
	s_movk_i32 s14, 0x128
	s_mov_b64 s[4:5], 0
.LBB26_173:                             ; =>This Inner Loop Header: Depth=1
	buffer_load_dword v70, v68, s[0:3], 0 offen
	buffer_load_dword v71, v68, s[0:3], 0 offen offset:4
	v_mov_b32_e32 v72, s14
	ds_read_b64 v[72:73], v72
	v_add_u32_e32 v69, -1, v69
	s_add_i32 s14, s14, 8
	v_cmp_eq_u32_e32 vcc, 0, v69
	v_add_u32_e32 v68, 8, v68
	s_or_b64 s[4:5], vcc, s[4:5]
	s_waitcnt vmcnt(0) lgkmcnt(0)
	v_fmac_f64_e32 v[56:57], v[70:71], v[72:73]
	s_andn2_b64 exec, exec, s[4:5]
	s_cbranch_execnz .LBB26_173
; %bb.174:
	s_or_b64 exec, exec, s[4:5]
.LBB26_175:
	s_or_b64 exec, exec, s[12:13]
	v_mov_b32_e32 v68, 0
	ds_read_b64 v[68:69], v68 offset:64
	s_waitcnt lgkmcnt(0)
	v_mul_f64 v[56:57], v[56:57], v[68:69]
	buffer_store_dword v57, off, s[0:3], 0 offset:68
	buffer_store_dword v56, off, s[0:3], 0 offset:64
.LBB26_176:
	s_or_b64 exec, exec, s[10:11]
	buffer_load_dword v56, off, s[0:3], 0 offset:56
	buffer_load_dword v57, off, s[0:3], 0 offset:60
	v_cmp_lt_u32_e64 s[4:5], 7, v0
	s_waitcnt vmcnt(0)
	ds_write_b64 v58, v[56:57]
	s_waitcnt lgkmcnt(0)
	; wave barrier
	s_waitcnt lgkmcnt(0)
	s_and_saveexec_b64 s[10:11], s[4:5]
	s_cbranch_execz .LBB26_186
; %bb.177:
	s_andn2_b64 vcc, exec, s[8:9]
	s_cbranch_vccnz .LBB26_179
; %bb.178:
	buffer_load_dword v56, v59, s[0:3], 0 offen
	buffer_load_dword v57, v59, s[0:3], 0 offen offset:4
	ds_read_b64 v[68:69], v58
	s_waitcnt vmcnt(0) lgkmcnt(0)
	v_mul_f64 v[56:57], v[56:57], v[68:69]
	s_cbranch_execz .LBB26_180
	s_branch .LBB26_181
.LBB26_179:
                                        ; implicit-def: $vgpr56_vgpr57
.LBB26_180:
	ds_read_b64 v[56:57], v58
.LBB26_181:
	s_and_saveexec_b64 s[12:13], s[6:7]
	s_cbranch_execz .LBB26_185
; %bb.182:
	v_add_u32_e32 v68, -8, v0
	s_movk_i32 s14, 0x120
	s_mov_b64 s[6:7], 0
.LBB26_183:                             ; =>This Inner Loop Header: Depth=1
	buffer_load_dword v70, v67, s[0:3], 0 offen
	buffer_load_dword v71, v67, s[0:3], 0 offen offset:4
	v_mov_b32_e32 v69, s14
	ds_read_b64 v[72:73], v69
	v_add_u32_e32 v68, -1, v68
	s_add_i32 s14, s14, 8
	v_cmp_eq_u32_e32 vcc, 0, v68
	v_add_u32_e32 v67, 8, v67
	s_or_b64 s[6:7], vcc, s[6:7]
	s_waitcnt vmcnt(0) lgkmcnt(0)
	v_fmac_f64_e32 v[56:57], v[70:71], v[72:73]
	s_andn2_b64 exec, exec, s[6:7]
	s_cbranch_execnz .LBB26_183
; %bb.184:
	s_or_b64 exec, exec, s[6:7]
.LBB26_185:
	s_or_b64 exec, exec, s[12:13]
	v_mov_b32_e32 v67, 0
	ds_read_b64 v[68:69], v67 offset:56
	s_waitcnt lgkmcnt(0)
	v_mul_f64 v[56:57], v[56:57], v[68:69]
	buffer_store_dword v57, off, s[0:3], 0 offset:60
	buffer_store_dword v56, off, s[0:3], 0 offset:56
.LBB26_186:
	s_or_b64 exec, exec, s[10:11]
	buffer_load_dword v56, off, s[0:3], 0 offset:48
	buffer_load_dword v57, off, s[0:3], 0 offset:52
	v_cmp_lt_u32_e64 s[6:7], 6, v0
	s_waitcnt vmcnt(0)
	ds_write_b64 v58, v[56:57]
	s_waitcnt lgkmcnt(0)
	; wave barrier
	s_waitcnt lgkmcnt(0)
	s_and_saveexec_b64 s[10:11], s[6:7]
	s_cbranch_execz .LBB26_196
; %bb.187:
	s_andn2_b64 vcc, exec, s[8:9]
	s_cbranch_vccnz .LBB26_189
; %bb.188:
	buffer_load_dword v56, v59, s[0:3], 0 offen
	buffer_load_dword v57, v59, s[0:3], 0 offen offset:4
	ds_read_b64 v[68:69], v58
	s_waitcnt vmcnt(0) lgkmcnt(0)
	v_mul_f64 v[56:57], v[56:57], v[68:69]
	s_cbranch_execz .LBB26_190
	s_branch .LBB26_191
.LBB26_189:
                                        ; implicit-def: $vgpr56_vgpr57
.LBB26_190:
	ds_read_b64 v[56:57], v58
.LBB26_191:
	s_and_saveexec_b64 s[12:13], s[4:5]
	s_cbranch_execz .LBB26_195
; %bb.192:
	v_add_u32_e32 v67, -7, v0
	s_movk_i32 s14, 0x118
	s_mov_b64 s[4:5], 0
.LBB26_193:                             ; =>This Inner Loop Header: Depth=1
	buffer_load_dword v68, v66, s[0:3], 0 offen
	buffer_load_dword v69, v66, s[0:3], 0 offen offset:4
	v_mov_b32_e32 v70, s14
	ds_read_b64 v[70:71], v70
	v_add_u32_e32 v67, -1, v67
	s_add_i32 s14, s14, 8
	v_cmp_eq_u32_e32 vcc, 0, v67
	v_add_u32_e32 v66, 8, v66
	s_or_b64 s[4:5], vcc, s[4:5]
	s_waitcnt vmcnt(0) lgkmcnt(0)
	v_fmac_f64_e32 v[56:57], v[68:69], v[70:71]
	s_andn2_b64 exec, exec, s[4:5]
	s_cbranch_execnz .LBB26_193
; %bb.194:
	s_or_b64 exec, exec, s[4:5]
.LBB26_195:
	s_or_b64 exec, exec, s[12:13]
	v_mov_b32_e32 v66, 0
	ds_read_b64 v[66:67], v66 offset:48
	s_waitcnt lgkmcnt(0)
	v_mul_f64 v[56:57], v[56:57], v[66:67]
	buffer_store_dword v57, off, s[0:3], 0 offset:52
	buffer_store_dword v56, off, s[0:3], 0 offset:48
.LBB26_196:
	s_or_b64 exec, exec, s[10:11]
	buffer_load_dword v56, off, s[0:3], 0 offset:40
	buffer_load_dword v57, off, s[0:3], 0 offset:44
	v_cmp_lt_u32_e64 s[4:5], 5, v0
	s_waitcnt vmcnt(0)
	ds_write_b64 v58, v[56:57]
	s_waitcnt lgkmcnt(0)
	; wave barrier
	s_waitcnt lgkmcnt(0)
	s_and_saveexec_b64 s[10:11], s[4:5]
	s_cbranch_execz .LBB26_206
; %bb.197:
	s_andn2_b64 vcc, exec, s[8:9]
	s_cbranch_vccnz .LBB26_199
; %bb.198:
	buffer_load_dword v56, v59, s[0:3], 0 offen
	buffer_load_dword v57, v59, s[0:3], 0 offen offset:4
	ds_read_b64 v[66:67], v58
	s_waitcnt vmcnt(0) lgkmcnt(0)
	v_mul_f64 v[56:57], v[56:57], v[66:67]
	s_cbranch_execz .LBB26_200
	s_branch .LBB26_201
.LBB26_199:
                                        ; implicit-def: $vgpr56_vgpr57
.LBB26_200:
	ds_read_b64 v[56:57], v58
.LBB26_201:
	s_and_saveexec_b64 s[12:13], s[6:7]
	s_cbranch_execz .LBB26_205
; %bb.202:
	v_add_u32_e32 v66, -6, v0
	s_movk_i32 s14, 0x110
	s_mov_b64 s[6:7], 0
.LBB26_203:                             ; =>This Inner Loop Header: Depth=1
	buffer_load_dword v68, v65, s[0:3], 0 offen
	buffer_load_dword v69, v65, s[0:3], 0 offen offset:4
	v_mov_b32_e32 v67, s14
	ds_read_b64 v[70:71], v67
	v_add_u32_e32 v66, -1, v66
	s_add_i32 s14, s14, 8
	v_cmp_eq_u32_e32 vcc, 0, v66
	v_add_u32_e32 v65, 8, v65
	s_or_b64 s[6:7], vcc, s[6:7]
	s_waitcnt vmcnt(0) lgkmcnt(0)
	v_fmac_f64_e32 v[56:57], v[68:69], v[70:71]
	s_andn2_b64 exec, exec, s[6:7]
	s_cbranch_execnz .LBB26_203
; %bb.204:
	s_or_b64 exec, exec, s[6:7]
.LBB26_205:
	s_or_b64 exec, exec, s[12:13]
	v_mov_b32_e32 v65, 0
	ds_read_b64 v[66:67], v65 offset:40
	s_waitcnt lgkmcnt(0)
	v_mul_f64 v[56:57], v[56:57], v[66:67]
	buffer_store_dword v57, off, s[0:3], 0 offset:44
	buffer_store_dword v56, off, s[0:3], 0 offset:40
.LBB26_206:
	s_or_b64 exec, exec, s[10:11]
	buffer_load_dword v56, off, s[0:3], 0 offset:32
	buffer_load_dword v57, off, s[0:3], 0 offset:36
	v_cmp_lt_u32_e64 s[6:7], 4, v0
	s_waitcnt vmcnt(0)
	ds_write_b64 v58, v[56:57]
	s_waitcnt lgkmcnt(0)
	; wave barrier
	s_waitcnt lgkmcnt(0)
	s_and_saveexec_b64 s[10:11], s[6:7]
	s_cbranch_execz .LBB26_216
; %bb.207:
	s_andn2_b64 vcc, exec, s[8:9]
	s_cbranch_vccnz .LBB26_209
; %bb.208:
	buffer_load_dword v56, v59, s[0:3], 0 offen
	buffer_load_dword v57, v59, s[0:3], 0 offen offset:4
	ds_read_b64 v[66:67], v58
	s_waitcnt vmcnt(0) lgkmcnt(0)
	v_mul_f64 v[56:57], v[56:57], v[66:67]
	s_cbranch_execz .LBB26_210
	s_branch .LBB26_211
.LBB26_209:
                                        ; implicit-def: $vgpr56_vgpr57
.LBB26_210:
	ds_read_b64 v[56:57], v58
.LBB26_211:
	s_and_saveexec_b64 s[12:13], s[4:5]
	s_cbranch_execz .LBB26_215
; %bb.212:
	v_add_u32_e32 v65, -5, v0
	s_movk_i32 s14, 0x108
	s_mov_b64 s[4:5], 0
.LBB26_213:                             ; =>This Inner Loop Header: Depth=1
	buffer_load_dword v66, v64, s[0:3], 0 offen
	buffer_load_dword v67, v64, s[0:3], 0 offen offset:4
	v_mov_b32_e32 v68, s14
	ds_read_b64 v[68:69], v68
	v_add_u32_e32 v65, -1, v65
	s_add_i32 s14, s14, 8
	v_cmp_eq_u32_e32 vcc, 0, v65
	v_add_u32_e32 v64, 8, v64
	s_or_b64 s[4:5], vcc, s[4:5]
	s_waitcnt vmcnt(0) lgkmcnt(0)
	v_fmac_f64_e32 v[56:57], v[66:67], v[68:69]
	s_andn2_b64 exec, exec, s[4:5]
	s_cbranch_execnz .LBB26_213
; %bb.214:
	s_or_b64 exec, exec, s[4:5]
.LBB26_215:
	s_or_b64 exec, exec, s[12:13]
	v_mov_b32_e32 v64, 0
	ds_read_b64 v[64:65], v64 offset:32
	s_waitcnt lgkmcnt(0)
	v_mul_f64 v[56:57], v[56:57], v[64:65]
	buffer_store_dword v57, off, s[0:3], 0 offset:36
	buffer_store_dword v56, off, s[0:3], 0 offset:32
.LBB26_216:
	s_or_b64 exec, exec, s[10:11]
	buffer_load_dword v56, off, s[0:3], 0 offset:24
	buffer_load_dword v57, off, s[0:3], 0 offset:28
	v_cmp_lt_u32_e64 s[4:5], 3, v0
	s_waitcnt vmcnt(0)
	ds_write_b64 v58, v[56:57]
	s_waitcnt lgkmcnt(0)
	; wave barrier
	s_waitcnt lgkmcnt(0)
	s_and_saveexec_b64 s[10:11], s[4:5]
	s_cbranch_execz .LBB26_226
; %bb.217:
	s_andn2_b64 vcc, exec, s[8:9]
	s_cbranch_vccnz .LBB26_219
; %bb.218:
	buffer_load_dword v56, v59, s[0:3], 0 offen
	buffer_load_dword v57, v59, s[0:3], 0 offen offset:4
	ds_read_b64 v[64:65], v58
	s_waitcnt vmcnt(0) lgkmcnt(0)
	v_mul_f64 v[56:57], v[56:57], v[64:65]
	s_cbranch_execz .LBB26_220
	s_branch .LBB26_221
.LBB26_219:
                                        ; implicit-def: $vgpr56_vgpr57
.LBB26_220:
	ds_read_b64 v[56:57], v58
.LBB26_221:
	s_and_saveexec_b64 s[12:13], s[6:7]
	s_cbranch_execz .LBB26_225
; %bb.222:
	v_add_u32_e32 v64, -4, v0
	s_movk_i32 s14, 0x100
	s_mov_b64 s[6:7], 0
.LBB26_223:                             ; =>This Inner Loop Header: Depth=1
	buffer_load_dword v66, v63, s[0:3], 0 offen
	buffer_load_dword v67, v63, s[0:3], 0 offen offset:4
	v_mov_b32_e32 v65, s14
	ds_read_b64 v[68:69], v65
	v_add_u32_e32 v64, -1, v64
	s_add_i32 s14, s14, 8
	v_cmp_eq_u32_e32 vcc, 0, v64
	v_add_u32_e32 v63, 8, v63
	s_or_b64 s[6:7], vcc, s[6:7]
	s_waitcnt vmcnt(0) lgkmcnt(0)
	v_fmac_f64_e32 v[56:57], v[66:67], v[68:69]
	s_andn2_b64 exec, exec, s[6:7]
	s_cbranch_execnz .LBB26_223
; %bb.224:
	s_or_b64 exec, exec, s[6:7]
.LBB26_225:
	s_or_b64 exec, exec, s[12:13]
	v_mov_b32_e32 v63, 0
	ds_read_b64 v[64:65], v63 offset:24
	s_waitcnt lgkmcnt(0)
	v_mul_f64 v[56:57], v[56:57], v[64:65]
	buffer_store_dword v57, off, s[0:3], 0 offset:28
	buffer_store_dword v56, off, s[0:3], 0 offset:24
.LBB26_226:
	s_or_b64 exec, exec, s[10:11]
	buffer_load_dword v56, off, s[0:3], 0 offset:16
	buffer_load_dword v57, off, s[0:3], 0 offset:20
	v_cmp_lt_u32_e64 s[6:7], 2, v0
	s_waitcnt vmcnt(0)
	ds_write_b64 v58, v[56:57]
	s_waitcnt lgkmcnt(0)
	; wave barrier
	s_waitcnt lgkmcnt(0)
	s_and_saveexec_b64 s[10:11], s[6:7]
	s_cbranch_execz .LBB26_236
; %bb.227:
	s_andn2_b64 vcc, exec, s[8:9]
	s_cbranch_vccnz .LBB26_229
; %bb.228:
	buffer_load_dword v56, v59, s[0:3], 0 offen
	buffer_load_dword v57, v59, s[0:3], 0 offen offset:4
	ds_read_b64 v[64:65], v58
	s_waitcnt vmcnt(0) lgkmcnt(0)
	v_mul_f64 v[56:57], v[56:57], v[64:65]
	s_cbranch_execz .LBB26_230
	s_branch .LBB26_231
.LBB26_229:
                                        ; implicit-def: $vgpr56_vgpr57
.LBB26_230:
	ds_read_b64 v[56:57], v58
.LBB26_231:
	s_and_saveexec_b64 s[12:13], s[4:5]
	s_cbranch_execz .LBB26_235
; %bb.232:
	v_add_u32_e32 v63, -3, v0
	s_movk_i32 s14, 0xf8
	s_mov_b64 s[4:5], 0
.LBB26_233:                             ; =>This Inner Loop Header: Depth=1
	buffer_load_dword v64, v62, s[0:3], 0 offen
	buffer_load_dword v65, v62, s[0:3], 0 offen offset:4
	v_mov_b32_e32 v66, s14
	ds_read_b64 v[66:67], v66
	v_add_u32_e32 v63, -1, v63
	s_add_i32 s14, s14, 8
	v_cmp_eq_u32_e32 vcc, 0, v63
	v_add_u32_e32 v62, 8, v62
	s_or_b64 s[4:5], vcc, s[4:5]
	s_waitcnt vmcnt(0) lgkmcnt(0)
	v_fmac_f64_e32 v[56:57], v[64:65], v[66:67]
	s_andn2_b64 exec, exec, s[4:5]
	s_cbranch_execnz .LBB26_233
; %bb.234:
	s_or_b64 exec, exec, s[4:5]
.LBB26_235:
	s_or_b64 exec, exec, s[12:13]
	v_mov_b32_e32 v62, 0
	ds_read_b64 v[62:63], v62 offset:16
	s_waitcnt lgkmcnt(0)
	v_mul_f64 v[56:57], v[56:57], v[62:63]
	buffer_store_dword v57, off, s[0:3], 0 offset:20
	buffer_store_dword v56, off, s[0:3], 0 offset:16
.LBB26_236:
	s_or_b64 exec, exec, s[10:11]
	buffer_load_dword v56, off, s[0:3], 0 offset:8
	buffer_load_dword v57, off, s[0:3], 0 offset:12
	v_cmp_lt_u32_e64 s[4:5], 1, v0
	s_waitcnt vmcnt(0)
	ds_write_b64 v58, v[56:57]
	s_waitcnt lgkmcnt(0)
	; wave barrier
	s_waitcnt lgkmcnt(0)
	s_and_saveexec_b64 s[10:11], s[4:5]
	s_cbranch_execz .LBB26_246
; %bb.237:
	s_andn2_b64 vcc, exec, s[8:9]
	s_cbranch_vccnz .LBB26_239
; %bb.238:
	buffer_load_dword v56, v59, s[0:3], 0 offen
	buffer_load_dword v57, v59, s[0:3], 0 offen offset:4
	ds_read_b64 v[62:63], v58
	s_waitcnt vmcnt(0) lgkmcnt(0)
	v_mul_f64 v[56:57], v[56:57], v[62:63]
	s_cbranch_execz .LBB26_240
	s_branch .LBB26_241
.LBB26_239:
                                        ; implicit-def: $vgpr56_vgpr57
.LBB26_240:
	ds_read_b64 v[56:57], v58
.LBB26_241:
	s_and_saveexec_b64 s[12:13], s[6:7]
	s_cbranch_execz .LBB26_245
; %bb.242:
	v_add_u32_e32 v62, -2, v0
	s_movk_i32 s14, 0xf0
	s_mov_b64 s[6:7], 0
.LBB26_243:                             ; =>This Inner Loop Header: Depth=1
	buffer_load_dword v64, v61, s[0:3], 0 offen
	buffer_load_dword v65, v61, s[0:3], 0 offen offset:4
	v_mov_b32_e32 v63, s14
	ds_read_b64 v[66:67], v63
	v_add_u32_e32 v62, -1, v62
	s_add_i32 s14, s14, 8
	v_cmp_eq_u32_e32 vcc, 0, v62
	v_add_u32_e32 v61, 8, v61
	s_or_b64 s[6:7], vcc, s[6:7]
	s_waitcnt vmcnt(0) lgkmcnt(0)
	v_fmac_f64_e32 v[56:57], v[64:65], v[66:67]
	s_andn2_b64 exec, exec, s[6:7]
	s_cbranch_execnz .LBB26_243
; %bb.244:
	s_or_b64 exec, exec, s[6:7]
.LBB26_245:
	s_or_b64 exec, exec, s[12:13]
	v_mov_b32_e32 v61, 0
	ds_read_b64 v[62:63], v61 offset:8
	s_waitcnt lgkmcnt(0)
	v_mul_f64 v[56:57], v[56:57], v[62:63]
	buffer_store_dword v57, off, s[0:3], 0 offset:12
	buffer_store_dword v56, off, s[0:3], 0 offset:8
.LBB26_246:
	s_or_b64 exec, exec, s[10:11]
	buffer_load_dword v56, off, s[0:3], 0
	buffer_load_dword v57, off, s[0:3], 0 offset:4
	v_cmp_ne_u32_e32 vcc, 0, v0
	s_waitcnt vmcnt(0)
	ds_write_b64 v58, v[56:57]
	s_waitcnt lgkmcnt(0)
	; wave barrier
	s_waitcnt lgkmcnt(0)
	s_and_saveexec_b64 s[6:7], vcc
	s_cbranch_execz .LBB26_256
; %bb.247:
	s_andn2_b64 vcc, exec, s[8:9]
	s_cbranch_vccnz .LBB26_249
; %bb.248:
	buffer_load_dword v56, v59, s[0:3], 0 offen
	buffer_load_dword v57, v59, s[0:3], 0 offen offset:4
	ds_read_b64 v[62:63], v58
	s_waitcnt vmcnt(0) lgkmcnt(0)
	v_mul_f64 v[56:57], v[56:57], v[62:63]
	s_cbranch_execz .LBB26_250
	s_branch .LBB26_251
.LBB26_249:
                                        ; implicit-def: $vgpr56_vgpr57
.LBB26_250:
	ds_read_b64 v[56:57], v58
.LBB26_251:
	s_and_saveexec_b64 s[10:11], s[4:5]
	s_cbranch_execz .LBB26_255
; %bb.252:
	v_add_u32_e32 v61, -1, v0
	s_movk_i32 s12, 0xe8
	s_mov_b64 s[4:5], 0
.LBB26_253:                             ; =>This Inner Loop Header: Depth=1
	buffer_load_dword v62, v60, s[0:3], 0 offen
	buffer_load_dword v63, v60, s[0:3], 0 offen offset:4
	v_mov_b32_e32 v64, s12
	ds_read_b64 v[64:65], v64
	v_add_u32_e32 v61, -1, v61
	s_add_i32 s12, s12, 8
	v_cmp_eq_u32_e32 vcc, 0, v61
	v_add_u32_e32 v60, 8, v60
	s_or_b64 s[4:5], vcc, s[4:5]
	s_waitcnt vmcnt(0) lgkmcnt(0)
	v_fmac_f64_e32 v[56:57], v[62:63], v[64:65]
	s_andn2_b64 exec, exec, s[4:5]
	s_cbranch_execnz .LBB26_253
; %bb.254:
	s_or_b64 exec, exec, s[4:5]
.LBB26_255:
	s_or_b64 exec, exec, s[10:11]
	v_mov_b32_e32 v60, 0
	ds_read_b64 v[60:61], v60
	s_waitcnt lgkmcnt(0)
	v_mul_f64 v[56:57], v[56:57], v[60:61]
	buffer_store_dword v57, off, s[0:3], 0 offset:4
	buffer_store_dword v56, off, s[0:3], 0
.LBB26_256:
	s_or_b64 exec, exec, s[6:7]
	s_mov_b64 s[4:5], 0
.LBB26_257:
	s_and_b64 vcc, exec, s[4:5]
	s_cbranch_vccz .LBB26_511
; %bb.258:
	buffer_load_dword v56, off, s[0:3], 0 offset:8
	buffer_load_dword v57, off, s[0:3], 0 offset:12
	v_cmp_eq_u32_e64 s[6:7], 0, v0
	s_waitcnt vmcnt(0)
	ds_write_b64 v58, v[56:57]
	s_waitcnt lgkmcnt(0)
	; wave barrier
	s_waitcnt lgkmcnt(0)
	s_and_saveexec_b64 s[4:5], s[6:7]
	s_cbranch_execz .LBB26_264
; %bb.259:
	s_and_b64 vcc, exec, s[8:9]
	s_cbranch_vccz .LBB26_261
; %bb.260:
	buffer_load_dword v56, v59, s[0:3], 0 offen
	buffer_load_dword v57, v59, s[0:3], 0 offen offset:4
	ds_read_b64 v[60:61], v58
	s_waitcnt vmcnt(0) lgkmcnt(0)
	v_mul_f64 v[56:57], v[56:57], v[60:61]
	s_cbranch_execz .LBB26_262
	s_branch .LBB26_263
.LBB26_261:
                                        ; implicit-def: $vgpr56_vgpr57
.LBB26_262:
	ds_read_b64 v[56:57], v58
.LBB26_263:
	v_mov_b32_e32 v60, 0
	ds_read_b64 v[60:61], v60 offset:8
	s_waitcnt lgkmcnt(0)
	v_mul_f64 v[56:57], v[56:57], v[60:61]
	buffer_store_dword v57, off, s[0:3], 0 offset:12
	buffer_store_dword v56, off, s[0:3], 0 offset:8
.LBB26_264:
	s_or_b64 exec, exec, s[4:5]
	buffer_load_dword v56, off, s[0:3], 0 offset:16
	buffer_load_dword v57, off, s[0:3], 0 offset:20
	v_cndmask_b32_e64 v60, 0, 1, s[8:9]
	v_cmp_gt_u32_e32 vcc, 2, v0
	v_cmp_ne_u32_e64 s[4:5], 1, v60
	s_waitcnt vmcnt(0)
	ds_write_b64 v58, v[56:57]
	s_waitcnt lgkmcnt(0)
	; wave barrier
	s_waitcnt lgkmcnt(0)
	s_and_saveexec_b64 s[8:9], vcc
	s_cbranch_execz .LBB26_272
; %bb.265:
	s_and_b64 vcc, exec, s[4:5]
	s_cbranch_vccnz .LBB26_267
; %bb.266:
	buffer_load_dword v56, v59, s[0:3], 0 offen
	buffer_load_dword v57, v59, s[0:3], 0 offen offset:4
	ds_read_b64 v[60:61], v58
	s_waitcnt vmcnt(0) lgkmcnt(0)
	v_mul_f64 v[56:57], v[56:57], v[60:61]
	s_cbranch_execz .LBB26_268
	s_branch .LBB26_269
.LBB26_267:
                                        ; implicit-def: $vgpr56_vgpr57
.LBB26_268:
	ds_read_b64 v[56:57], v58
.LBB26_269:
	s_and_saveexec_b64 s[10:11], s[6:7]
	s_cbranch_execz .LBB26_271
; %bb.270:
	buffer_load_dword v60, v59, s[0:3], 0 offen offset:8
	buffer_load_dword v61, v59, s[0:3], 0 offen offset:12
	ds_read_b64 v[62:63], v58 offset:8
	s_waitcnt vmcnt(0) lgkmcnt(0)
	v_fmac_f64_e32 v[56:57], v[60:61], v[62:63]
.LBB26_271:
	s_or_b64 exec, exec, s[10:11]
	v_mov_b32_e32 v60, 0
	ds_read_b64 v[60:61], v60 offset:16
	s_waitcnt lgkmcnt(0)
	v_mul_f64 v[56:57], v[56:57], v[60:61]
	buffer_store_dword v57, off, s[0:3], 0 offset:20
	buffer_store_dword v56, off, s[0:3], 0 offset:16
.LBB26_272:
	s_or_b64 exec, exec, s[8:9]
	buffer_load_dword v56, off, s[0:3], 0 offset:24
	buffer_load_dword v57, off, s[0:3], 0 offset:28
	v_cmp_gt_u32_e32 vcc, 3, v0
	s_waitcnt vmcnt(0)
	ds_write_b64 v58, v[56:57]
	s_waitcnt lgkmcnt(0)
	; wave barrier
	s_waitcnt lgkmcnt(0)
	s_and_saveexec_b64 s[8:9], vcc
	s_cbranch_execz .LBB26_280
; %bb.273:
	s_and_b64 vcc, exec, s[4:5]
	s_cbranch_vccnz .LBB26_275
; %bb.274:
	buffer_load_dword v56, v59, s[0:3], 0 offen
	buffer_load_dword v57, v59, s[0:3], 0 offen offset:4
	ds_read_b64 v[60:61], v58
	s_waitcnt vmcnt(0) lgkmcnt(0)
	v_mul_f64 v[56:57], v[56:57], v[60:61]
	s_cbranch_execz .LBB26_276
	s_branch .LBB26_277
.LBB26_275:
                                        ; implicit-def: $vgpr56_vgpr57
.LBB26_276:
	ds_read_b64 v[56:57], v58
.LBB26_277:
	v_cmp_ne_u32_e32 vcc, 2, v0
	s_and_saveexec_b64 s[10:11], vcc
	s_cbranch_execz .LBB26_279
; %bb.278:
	buffer_load_dword v61, v59, s[0:3], 0 offen offset:12
	buffer_load_dword v62, off, s[0:3], 0 offset:16
	buffer_load_dword v60, v59, s[0:3], 0 offen offset:8
	buffer_load_dword v63, off, s[0:3], 0 offset:20
	v_mov_b32_e32 v66, 0
	ds_read_b64 v[64:65], v58 offset:8
	ds_read_b64 v[66:67], v66 offset:240
	s_waitcnt vmcnt(1) lgkmcnt(1)
	v_fmac_f64_e32 v[56:57], v[60:61], v[64:65]
	s_waitcnt vmcnt(0) lgkmcnt(0)
	v_fma_f64 v[60:61], v[62:63], v[66:67], v[56:57]
	v_cndmask_b32_e64 v57, v57, v61, s[6:7]
	v_cndmask_b32_e64 v56, v56, v60, s[6:7]
.LBB26_279:
	s_or_b64 exec, exec, s[10:11]
	v_mov_b32_e32 v60, 0
	ds_read_b64 v[60:61], v60 offset:24
	s_waitcnt lgkmcnt(0)
	v_mul_f64 v[56:57], v[56:57], v[60:61]
	buffer_store_dword v57, off, s[0:3], 0 offset:28
	buffer_store_dword v56, off, s[0:3], 0 offset:24
.LBB26_280:
	s_or_b64 exec, exec, s[8:9]
	buffer_load_dword v56, off, s[0:3], 0 offset:32
	buffer_load_dword v57, off, s[0:3], 0 offset:36
	v_cmp_gt_u32_e32 vcc, 4, v0
	s_waitcnt vmcnt(0)
	ds_write_b64 v58, v[56:57]
	s_waitcnt lgkmcnt(0)
	; wave barrier
	s_waitcnt lgkmcnt(0)
	s_and_saveexec_b64 s[6:7], vcc
	s_cbranch_execz .LBB26_290
; %bb.281:
	s_and_b64 vcc, exec, s[4:5]
	s_cbranch_vccnz .LBB26_283
; %bb.282:
	buffer_load_dword v56, v59, s[0:3], 0 offen
	buffer_load_dword v57, v59, s[0:3], 0 offen offset:4
	ds_read_b64 v[60:61], v58
	s_waitcnt vmcnt(0) lgkmcnt(0)
	v_mul_f64 v[56:57], v[56:57], v[60:61]
	s_cbranch_execz .LBB26_284
	s_branch .LBB26_285
.LBB26_283:
                                        ; implicit-def: $vgpr56_vgpr57
.LBB26_284:
	ds_read_b64 v[56:57], v58
.LBB26_285:
	v_cmp_ne_u32_e32 vcc, 3, v0
	s_and_saveexec_b64 s[8:9], vcc
	s_cbranch_execz .LBB26_289
; %bb.286:
	v_mov_b32_e32 v61, 0
	v_add_u32_e32 v60, 0xe8, v1
	v_add3_u32 v61, v1, v61, 8
	s_mov_b64 s[10:11], 0
	v_mov_b32_e32 v62, v0
.LBB26_287:                             ; =>This Inner Loop Header: Depth=1
	buffer_load_dword v64, v61, s[0:3], 0 offen
	buffer_load_dword v65, v61, s[0:3], 0 offen offset:4
	ds_read_b64 v[66:67], v60
	v_add_u32_e32 v62, 1, v62
	v_cmp_lt_u32_e32 vcc, 2, v62
	v_add_u32_e32 v60, 8, v60
	v_add_u32_e32 v61, 8, v61
	s_or_b64 s[10:11], vcc, s[10:11]
	s_waitcnt vmcnt(0) lgkmcnt(0)
	v_fmac_f64_e32 v[56:57], v[64:65], v[66:67]
	s_andn2_b64 exec, exec, s[10:11]
	s_cbranch_execnz .LBB26_287
; %bb.288:
	s_or_b64 exec, exec, s[10:11]
.LBB26_289:
	s_or_b64 exec, exec, s[8:9]
	v_mov_b32_e32 v60, 0
	ds_read_b64 v[60:61], v60 offset:32
	s_waitcnt lgkmcnt(0)
	v_mul_f64 v[56:57], v[56:57], v[60:61]
	buffer_store_dword v57, off, s[0:3], 0 offset:36
	buffer_store_dword v56, off, s[0:3], 0 offset:32
.LBB26_290:
	s_or_b64 exec, exec, s[6:7]
	buffer_load_dword v56, off, s[0:3], 0 offset:40
	buffer_load_dword v57, off, s[0:3], 0 offset:44
	v_cmp_gt_u32_e32 vcc, 5, v0
	s_waitcnt vmcnt(0)
	ds_write_b64 v58, v[56:57]
	s_waitcnt lgkmcnt(0)
	; wave barrier
	s_waitcnt lgkmcnt(0)
	s_and_saveexec_b64 s[6:7], vcc
	s_cbranch_execz .LBB26_300
; %bb.291:
	s_and_b64 vcc, exec, s[4:5]
	s_cbranch_vccnz .LBB26_293
; %bb.292:
	buffer_load_dword v56, v59, s[0:3], 0 offen
	buffer_load_dword v57, v59, s[0:3], 0 offen offset:4
	ds_read_b64 v[60:61], v58
	s_waitcnt vmcnt(0) lgkmcnt(0)
	v_mul_f64 v[56:57], v[56:57], v[60:61]
	s_cbranch_execz .LBB26_294
	s_branch .LBB26_295
.LBB26_293:
                                        ; implicit-def: $vgpr56_vgpr57
.LBB26_294:
	ds_read_b64 v[56:57], v58
.LBB26_295:
	v_cmp_ne_u32_e32 vcc, 4, v0
	s_and_saveexec_b64 s[8:9], vcc
	s_cbranch_execz .LBB26_299
; %bb.296:
	v_mov_b32_e32 v61, 0
	v_add_u32_e32 v60, 0xe8, v1
	v_add3_u32 v61, v1, v61, 8
	s_mov_b64 s[10:11], 0
	v_mov_b32_e32 v62, v0
.LBB26_297:                             ; =>This Inner Loop Header: Depth=1
	buffer_load_dword v64, v61, s[0:3], 0 offen
	buffer_load_dword v65, v61, s[0:3], 0 offen offset:4
	ds_read_b64 v[66:67], v60
	v_add_u32_e32 v62, 1, v62
	v_cmp_lt_u32_e32 vcc, 3, v62
	v_add_u32_e32 v60, 8, v60
	v_add_u32_e32 v61, 8, v61
	s_or_b64 s[10:11], vcc, s[10:11]
	s_waitcnt vmcnt(0) lgkmcnt(0)
	v_fmac_f64_e32 v[56:57], v[64:65], v[66:67]
	s_andn2_b64 exec, exec, s[10:11]
	s_cbranch_execnz .LBB26_297
; %bb.298:
	s_or_b64 exec, exec, s[10:11]
.LBB26_299:
	s_or_b64 exec, exec, s[8:9]
	v_mov_b32_e32 v60, 0
	ds_read_b64 v[60:61], v60 offset:40
	s_waitcnt lgkmcnt(0)
	v_mul_f64 v[56:57], v[56:57], v[60:61]
	buffer_store_dword v57, off, s[0:3], 0 offset:44
	buffer_store_dword v56, off, s[0:3], 0 offset:40
.LBB26_300:
	;; [unrolled: 60-line block ×21, first 2 shown]
	s_or_b64 exec, exec, s[6:7]
	buffer_load_dword v56, off, s[0:3], 0 offset:200
	buffer_load_dword v57, off, s[0:3], 0 offset:204
	v_cmp_gt_u32_e64 s[6:7], 25, v0
	s_waitcnt vmcnt(0)
	ds_write_b64 v58, v[56:57]
	s_waitcnt lgkmcnt(0)
	; wave barrier
	s_waitcnt lgkmcnt(0)
	s_and_saveexec_b64 s[8:9], s[6:7]
	s_cbranch_execz .LBB26_500
; %bb.491:
	s_and_b64 vcc, exec, s[4:5]
	s_cbranch_vccnz .LBB26_493
; %bb.492:
	buffer_load_dword v56, v59, s[0:3], 0 offen
	buffer_load_dword v57, v59, s[0:3], 0 offen offset:4
	ds_read_b64 v[60:61], v58
	s_waitcnt vmcnt(0) lgkmcnt(0)
	v_mul_f64 v[56:57], v[56:57], v[60:61]
	s_cbranch_execz .LBB26_494
	s_branch .LBB26_495
.LBB26_493:
                                        ; implicit-def: $vgpr56_vgpr57
.LBB26_494:
	ds_read_b64 v[56:57], v58
.LBB26_495:
	v_cmp_ne_u32_e32 vcc, 24, v0
	s_and_saveexec_b64 s[10:11], vcc
	s_cbranch_execz .LBB26_499
; %bb.496:
	v_mov_b32_e32 v61, 0
	v_add_u32_e32 v60, 0xe8, v1
	v_add3_u32 v61, v1, v61, 8
	s_mov_b64 s[12:13], 0
	v_mov_b32_e32 v62, v0
.LBB26_497:                             ; =>This Inner Loop Header: Depth=1
	buffer_load_dword v64, v61, s[0:3], 0 offen
	buffer_load_dword v65, v61, s[0:3], 0 offen offset:4
	ds_read_b64 v[66:67], v60
	v_add_u32_e32 v62, 1, v62
	v_cmp_lt_u32_e32 vcc, 23, v62
	v_add_u32_e32 v60, 8, v60
	v_add_u32_e32 v61, 8, v61
	s_or_b64 s[12:13], vcc, s[12:13]
	s_waitcnt vmcnt(0) lgkmcnt(0)
	v_fmac_f64_e32 v[56:57], v[64:65], v[66:67]
	s_andn2_b64 exec, exec, s[12:13]
	s_cbranch_execnz .LBB26_497
; %bb.498:
	s_or_b64 exec, exec, s[12:13]
.LBB26_499:
	s_or_b64 exec, exec, s[10:11]
	v_mov_b32_e32 v60, 0
	ds_read_b64 v[60:61], v60 offset:200
	s_waitcnt lgkmcnt(0)
	v_mul_f64 v[56:57], v[56:57], v[60:61]
	buffer_store_dword v57, off, s[0:3], 0 offset:204
	buffer_store_dword v56, off, s[0:3], 0 offset:200
.LBB26_500:
	s_or_b64 exec, exec, s[8:9]
	buffer_load_dword v56, off, s[0:3], 0 offset:208
	buffer_load_dword v57, off, s[0:3], 0 offset:212
	v_cmp_ne_u32_e32 vcc, 26, v0
	s_waitcnt vmcnt(0)
	ds_write_b64 v58, v[56:57]
	s_waitcnt lgkmcnt(0)
	; wave barrier
	s_waitcnt lgkmcnt(0)
	s_and_saveexec_b64 s[8:9], vcc
	s_cbranch_execz .LBB26_510
; %bb.501:
	s_and_b64 vcc, exec, s[4:5]
	s_cbranch_vccnz .LBB26_503
; %bb.502:
	buffer_load_dword v56, v59, s[0:3], 0 offen
	buffer_load_dword v57, v59, s[0:3], 0 offen offset:4
	ds_read_b64 v[60:61], v58
	s_waitcnt vmcnt(0) lgkmcnt(0)
	v_mul_f64 v[56:57], v[56:57], v[60:61]
	s_cbranch_execz .LBB26_504
	s_branch .LBB26_505
.LBB26_503:
                                        ; implicit-def: $vgpr56_vgpr57
.LBB26_504:
	ds_read_b64 v[56:57], v58
.LBB26_505:
	s_and_saveexec_b64 s[4:5], s[6:7]
	s_cbranch_execz .LBB26_509
; %bb.506:
	v_mov_b32_e32 v59, 0
	v_add_u32_e32 v58, 0xe8, v1
	v_add3_u32 v1, v1, v59, 8
	s_mov_b64 s[6:7], 0
.LBB26_507:                             ; =>This Inner Loop Header: Depth=1
	buffer_load_dword v60, v1, s[0:3], 0 offen
	buffer_load_dword v61, v1, s[0:3], 0 offen offset:4
	ds_read_b64 v[62:63], v58
	v_add_u32_e32 v0, 1, v0
	v_cmp_lt_u32_e32 vcc, 24, v0
	v_add_u32_e32 v58, 8, v58
	v_add_u32_e32 v1, 8, v1
	s_or_b64 s[6:7], vcc, s[6:7]
	s_waitcnt vmcnt(0) lgkmcnt(0)
	v_fmac_f64_e32 v[56:57], v[60:61], v[62:63]
	s_andn2_b64 exec, exec, s[6:7]
	s_cbranch_execnz .LBB26_507
; %bb.508:
	s_or_b64 exec, exec, s[6:7]
.LBB26_509:
	s_or_b64 exec, exec, s[4:5]
	v_mov_b32_e32 v0, 0
	ds_read_b64 v[0:1], v0 offset:208
	s_waitcnt lgkmcnt(0)
	v_mul_f64 v[0:1], v[56:57], v[0:1]
	buffer_store_dword v1, off, s[0:3], 0 offset:212
	buffer_store_dword v0, off, s[0:3], 0 offset:208
.LBB26_510:
	s_or_b64 exec, exec, s[8:9]
.LBB26_511:
	buffer_load_dword v0, off, s[0:3], 0
	buffer_load_dword v1, off, s[0:3], 0 offset:4
	buffer_load_dword v56, off, s[0:3], 0 offset:8
	;; [unrolled: 1-line block ×15, first 2 shown]
	s_waitcnt vmcnt(14)
	global_store_dwordx2 v[2:3], v[0:1], off
	s_waitcnt vmcnt(13)
	global_store_dwordx2 v[4:5], v[56:57], off
	s_waitcnt vmcnt(12)
	global_store_dwordx2 v[6:7], v[58:59], off
	s_waitcnt vmcnt(11)
	global_store_dwordx2 v[8:9], v[60:61], off
	s_waitcnt vmcnt(10)
	global_store_dwordx2 v[10:11], v[62:63], off
	s_waitcnt vmcnt(9)
	global_store_dwordx2 v[12:13], v[64:65], off
	s_waitcnt vmcnt(8)
	global_store_dwordx2 v[14:15], v[66:67], off
	s_waitcnt vmcnt(7)
	global_store_dwordx2 v[16:17], v[68:69], off
	buffer_load_dword v1, off, s[0:3], 0 offset:68
	buffer_load_dword v0, off, s[0:3], 0 offset:64
	s_waitcnt vmcnt(0)
	global_store_dwordx2 v[54:55], v[0:1], off
	buffer_load_dword v0, off, s[0:3], 0 offset:72
	s_nop 0
	buffer_load_dword v1, off, s[0:3], 0 offset:76
	s_waitcnt vmcnt(0)
	global_store_dwordx2 v[52:53], v[0:1], off
	buffer_load_dword v0, off, s[0:3], 0 offset:80
	s_nop 0
	;; [unrolled: 5-line block ×18, first 2 shown]
	buffer_load_dword v1, off, s[0:3], 0 offset:212
	s_waitcnt vmcnt(0)
	global_store_dwordx2 v[18:19], v[0:1], off
.LBB26_512:
	s_endpgm
	.section	.rodata,"a",@progbits
	.p2align	6, 0x0
	.amdhsa_kernel _ZN9rocsolver6v33100L18trti2_kernel_smallILi27EdPdEEv13rocblas_fill_17rocblas_diagonal_T1_iil
		.amdhsa_group_segment_fixed_size 440
		.amdhsa_private_segment_fixed_size 224
		.amdhsa_kernarg_size 32
		.amdhsa_user_sgpr_count 8
		.amdhsa_user_sgpr_private_segment_buffer 1
		.amdhsa_user_sgpr_dispatch_ptr 0
		.amdhsa_user_sgpr_queue_ptr 0
		.amdhsa_user_sgpr_kernarg_segment_ptr 1
		.amdhsa_user_sgpr_dispatch_id 0
		.amdhsa_user_sgpr_flat_scratch_init 1
		.amdhsa_user_sgpr_kernarg_preload_length 0
		.amdhsa_user_sgpr_kernarg_preload_offset 0
		.amdhsa_user_sgpr_private_segment_size 0
		.amdhsa_uses_dynamic_stack 0
		.amdhsa_system_sgpr_private_segment_wavefront_offset 1
		.amdhsa_system_sgpr_workgroup_id_x 1
		.amdhsa_system_sgpr_workgroup_id_y 0
		.amdhsa_system_sgpr_workgroup_id_z 0
		.amdhsa_system_sgpr_workgroup_info 0
		.amdhsa_system_vgpr_workitem_id 0
		.amdhsa_next_free_vgpr 94
		.amdhsa_next_free_sgpr 20
		.amdhsa_accum_offset 96
		.amdhsa_reserve_vcc 1
		.amdhsa_reserve_flat_scratch 0
		.amdhsa_float_round_mode_32 0
		.amdhsa_float_round_mode_16_64 0
		.amdhsa_float_denorm_mode_32 3
		.amdhsa_float_denorm_mode_16_64 3
		.amdhsa_dx10_clamp 1
		.amdhsa_ieee_mode 1
		.amdhsa_fp16_overflow 0
		.amdhsa_tg_split 0
		.amdhsa_exception_fp_ieee_invalid_op 0
		.amdhsa_exception_fp_denorm_src 0
		.amdhsa_exception_fp_ieee_div_zero 0
		.amdhsa_exception_fp_ieee_overflow 0
		.amdhsa_exception_fp_ieee_underflow 0
		.amdhsa_exception_fp_ieee_inexact 0
		.amdhsa_exception_int_div_zero 0
	.end_amdhsa_kernel
	.section	.text._ZN9rocsolver6v33100L18trti2_kernel_smallILi27EdPdEEv13rocblas_fill_17rocblas_diagonal_T1_iil,"axG",@progbits,_ZN9rocsolver6v33100L18trti2_kernel_smallILi27EdPdEEv13rocblas_fill_17rocblas_diagonal_T1_iil,comdat
.Lfunc_end26:
	.size	_ZN9rocsolver6v33100L18trti2_kernel_smallILi27EdPdEEv13rocblas_fill_17rocblas_diagonal_T1_iil, .Lfunc_end26-_ZN9rocsolver6v33100L18trti2_kernel_smallILi27EdPdEEv13rocblas_fill_17rocblas_diagonal_T1_iil
                                        ; -- End function
	.section	.AMDGPU.csdata,"",@progbits
; Kernel info:
; codeLenInByte = 15652
; NumSgprs: 24
; NumVgprs: 94
; NumAgprs: 0
; TotalNumVgprs: 94
; ScratchSize: 224
; MemoryBound: 0
; FloatMode: 240
; IeeeMode: 1
; LDSByteSize: 440 bytes/workgroup (compile time only)
; SGPRBlocks: 2
; VGPRBlocks: 11
; NumSGPRsForWavesPerEU: 24
; NumVGPRsForWavesPerEU: 94
; AccumOffset: 96
; Occupancy: 5
; WaveLimiterHint : 0
; COMPUTE_PGM_RSRC2:SCRATCH_EN: 1
; COMPUTE_PGM_RSRC2:USER_SGPR: 8
; COMPUTE_PGM_RSRC2:TRAP_HANDLER: 0
; COMPUTE_PGM_RSRC2:TGID_X_EN: 1
; COMPUTE_PGM_RSRC2:TGID_Y_EN: 0
; COMPUTE_PGM_RSRC2:TGID_Z_EN: 0
; COMPUTE_PGM_RSRC2:TIDIG_COMP_CNT: 0
; COMPUTE_PGM_RSRC3_GFX90A:ACCUM_OFFSET: 23
; COMPUTE_PGM_RSRC3_GFX90A:TG_SPLIT: 0
	.section	.text._ZN9rocsolver6v33100L18trti2_kernel_smallILi28EdPdEEv13rocblas_fill_17rocblas_diagonal_T1_iil,"axG",@progbits,_ZN9rocsolver6v33100L18trti2_kernel_smallILi28EdPdEEv13rocblas_fill_17rocblas_diagonal_T1_iil,comdat
	.globl	_ZN9rocsolver6v33100L18trti2_kernel_smallILi28EdPdEEv13rocblas_fill_17rocblas_diagonal_T1_iil ; -- Begin function _ZN9rocsolver6v33100L18trti2_kernel_smallILi28EdPdEEv13rocblas_fill_17rocblas_diagonal_T1_iil
	.p2align	8
	.type	_ZN9rocsolver6v33100L18trti2_kernel_smallILi28EdPdEEv13rocblas_fill_17rocblas_diagonal_T1_iil,@function
_ZN9rocsolver6v33100L18trti2_kernel_smallILi28EdPdEEv13rocblas_fill_17rocblas_diagonal_T1_iil: ; @_ZN9rocsolver6v33100L18trti2_kernel_smallILi28EdPdEEv13rocblas_fill_17rocblas_diagonal_T1_iil
; %bb.0:
	s_add_u32 s0, s0, s9
	s_addc_u32 s1, s1, 0
	v_cmp_gt_u32_e32 vcc, 28, v0
	s_and_saveexec_b64 s[6:7], vcc
	s_cbranch_execz .LBB27_532
; %bb.1:
	s_load_dwordx8 s[12:19], s[4:5], 0x0
	s_ashr_i32 s6, s8, 31
	v_lshlrev_b32_e32 v1, 3, v0
	v_mov_b32_e32 v86, 0
	s_waitcnt lgkmcnt(0)
	s_mul_i32 s7, s8, s19
	s_mul_hi_u32 s9, s8, s18
	s_add_i32 s7, s9, s7
	s_mul_i32 s6, s6, s18
	s_add_i32 s7, s7, s6
	s_mul_i32 s6, s8, s18
	s_ashr_i32 s5, s16, 31
	s_lshl_b64 s[6:7], s[6:7], 3
	s_mov_b32 s4, s16
	s_add_u32 s6, s14, s6
	s_addc_u32 s7, s15, s7
	s_lshl_b64 s[4:5], s[4:5], 3
	s_add_u32 s4, s6, s4
	s_addc_u32 s5, s7, s5
	v_mov_b32_e32 v3, s5
	v_add_co_u32_e32 v2, vcc, s4, v1
	s_ashr_i32 s7, s17, 31
	s_mov_b32 s6, s17
	v_addc_co_u32_e32 v3, vcc, 0, v3, vcc
	s_lshl_b64 s[6:7], s[6:7], 3
	v_add_co_u32_e32 v4, vcc, s6, v2
	s_add_i32 s6, s17, s17
	v_add_u32_e32 v8, s6, v0
	v_mov_b32_e32 v5, s7
	v_ashrrev_i32_e32 v9, 31, v8
	v_addc_co_u32_e32 v5, vcc, v3, v5, vcc
	v_lshlrev_b64 v[6:7], 3, v[8:9]
	v_add_u32_e32 v10, s17, v8
	v_mov_b32_e32 v9, s5
	v_add_co_u32_e32 v6, vcc, s4, v6
	v_ashrrev_i32_e32 v11, 31, v10
	v_addc_co_u32_e32 v7, vcc, v9, v7, vcc
	v_lshlrev_b64 v[8:9], 3, v[10:11]
	v_add_u32_e32 v12, s17, v10
	v_mov_b32_e32 v11, s5
	v_add_co_u32_e32 v8, vcc, s4, v8
	;; [unrolled: 6-line block ×5, first 2 shown]
	v_ashrrev_i32_e32 v19, 31, v18
	v_addc_co_u32_e32 v15, vcc, v17, v15, vcc
	v_lshlrev_b64 v[16:17], 3, v[18:19]
	v_add_u32_e32 v18, s17, v18
	v_add_u32_e32 v22, s17, v18
	;; [unrolled: 1-line block ×14, first 2 shown]
	v_mov_b32_e32 v19, s5
	v_add_co_u32_e32 v16, vcc, s4, v16
	v_add_u32_e32 v70, s17, v68
	global_load_dwordx2 v[24:25], v1, s[4:5]
	global_load_dwordx2 v[32:33], v[4:5], off
	global_load_dwordx2 v[30:31], v[6:7], off
	;; [unrolled: 1-line block ×4, first 2 shown]
	v_addc_co_u32_e32 v17, vcc, v19, v17, vcc
	global_load_dwordx2 v[38:39], v[12:13], off
	global_load_dwordx2 v[36:37], v[14:15], off
	;; [unrolled: 1-line block ×3, first 2 shown]
	v_ashrrev_i32_e32 v19, 31, v18
	v_add_u32_e32 v72, s17, v70
	v_lshlrev_b64 v[20:21], 3, v[18:19]
	v_add_u32_e32 v74, s17, v72
	v_mov_b32_e32 v19, s5
	v_add_co_u32_e32 v20, vcc, s4, v20
	v_ashrrev_i32_e32 v23, 31, v22
	v_add_u32_e32 v76, s17, v74
	v_addc_co_u32_e32 v21, vcc, v19, v21, vcc
	v_lshlrev_b64 v[18:19], 3, v[22:23]
	v_add_u32_e32 v78, s17, v76
	v_mov_b32_e32 v23, s5
	v_add_co_u32_e32 v18, vcc, s4, v18
	v_add_u32_e32 v22, s17, v78
	v_addc_co_u32_e32 v19, vcc, v23, v19, vcc
	v_ashrrev_i32_e32 v23, 31, v22
	v_lshlrev_b64 v[22:23], 3, v[22:23]
	v_mov_b32_e32 v45, s5
	v_add_co_u32_e32 v22, vcc, s4, v22
	v_addc_co_u32_e32 v23, vcc, v45, v23, vcc
	global_load_dwordx2 v[42:43], v[20:21], off
	global_load_dwordx2 v[80:81], v[22:23], off
	;; [unrolled: 1-line block ×3, first 2 shown]
	v_ashrrev_i32_e32 v45, 31, v44
	s_waitcnt vmcnt(10)
	buffer_store_dword v25, off, s[0:3], 0 offset:4
	buffer_store_dword v24, off, s[0:3], 0
	s_waitcnt vmcnt(11)
	buffer_store_dword v33, off, s[0:3], 0 offset:12
	buffer_store_dword v32, off, s[0:3], 0 offset:8
	s_waitcnt vmcnt(12)
	buffer_store_dword v31, off, s[0:3], 0 offset:20
	buffer_store_dword v30, off, s[0:3], 0 offset:16
	;; [unrolled: 3-line block ×8, first 2 shown]
	v_lshlrev_b64 v[24:25], 3, v[44:45]
	v_mov_b32_e32 v26, s5
	v_add_co_u32_e32 v48, vcc, s4, v24
	v_ashrrev_i32_e32 v47, 31, v46
	v_addc_co_u32_e32 v49, vcc, v26, v25, vcc
	v_lshlrev_b64 v[24:25], 3, v[46:47]
	v_add_co_u32_e32 v38, vcc, s4, v24
	v_ashrrev_i32_e32 v51, 31, v50
	v_addc_co_u32_e32 v39, vcc, v26, v25, vcc
	v_lshlrev_b64 v[24:25], 3, v[50:51]
	;; [unrolled: 4-line block ×3, first 2 shown]
	v_mov_b32_e32 v28, s5
	v_add_co_u32_e32 v50, vcc, s4, v26
	v_ashrrev_i32_e32 v55, 31, v54
	v_addc_co_u32_e32 v51, vcc, v28, v27, vcc
	v_lshlrev_b64 v[26:27], 3, v[54:55]
	global_load_dwordx2 v[82:83], v[48:49], off
	global_load_dwordx2 v[84:85], v[38:39], off
	;; [unrolled: 1-line block ×3, first 2 shown]
	s_waitcnt vmcnt(21)
	buffer_store_dword v40, off, s[0:3], 0 offset:72
	buffer_store_dword v41, off, s[0:3], 0 offset:76
	v_add_co_u32_e32 v40, vcc, s4, v26
	v_ashrrev_i32_e32 v57, 31, v56
	v_addc_co_u32_e32 v41, vcc, v28, v27, vcc
	v_lshlrev_b64 v[26:27], 3, v[56:57]
	v_add_co_u32_e32 v30, vcc, s4, v26
	v_ashrrev_i32_e32 v59, 31, v58
	v_addc_co_u32_e32 v31, vcc, v28, v27, vcc
	v_lshlrev_b64 v[26:27], 3, v[58:59]
	v_add_co_u32_e32 v26, vcc, s4, v26
	v_ashrrev_i32_e32 v61, 31, v60
	v_addc_co_u32_e32 v27, vcc, v28, v27, vcc
	v_lshlrev_b64 v[28:29], 3, v[60:61]
	v_mov_b32_e32 v32, s5
	v_add_co_u32_e32 v52, vcc, s4, v28
	v_ashrrev_i32_e32 v63, 31, v62
	v_addc_co_u32_e32 v53, vcc, v32, v29, vcc
	v_lshlrev_b64 v[28:29], 3, v[62:63]
	v_add_co_u32_e32 v42, vcc, s4, v28
	v_ashrrev_i32_e32 v65, 31, v64
	v_addc_co_u32_e32 v43, vcc, v32, v29, vcc
	v_lshlrev_b64 v[28:29], 3, v[64:65]
	v_mov_b32_e32 v33, s5
	v_add_co_u32_e32 v32, vcc, s4, v28
	v_ashrrev_i32_e32 v67, 31, v66
	v_addc_co_u32_e32 v33, vcc, v33, v29, vcc
	v_lshlrev_b64 v[28:29], 3, v[66:67]
	v_mov_b32_e32 v34, s5
	;; [unrolled: 5-line block ×3, first 2 shown]
	v_add_co_u32_e32 v54, vcc, s4, v34
	v_ashrrev_i32_e32 v71, 31, v70
	v_addc_co_u32_e32 v55, vcc, v36, v35, vcc
	v_lshlrev_b64 v[34:35], 3, v[70:71]
	v_add_co_u32_e32 v44, vcc, s4, v34
	v_ashrrev_i32_e32 v73, 31, v72
	v_addc_co_u32_e32 v45, vcc, v36, v35, vcc
	v_lshlrev_b64 v[34:35], 3, v[72:73]
	v_add_co_u32_e32 v34, vcc, s4, v34
	global_load_dwordx2 v[58:59], v[50:51], off
	global_load_dwordx2 v[90:91], v[40:41], off
	;; [unrolled: 1-line block ×8, first 2 shown]
	v_addc_co_u32_e32 v35, vcc, v36, v35, vcc
	global_load_dwordx2 v[68:69], v[54:55], off
	global_load_dwordx2 v[70:71], v[44:45], off
	;; [unrolled: 1-line block ×3, first 2 shown]
	v_ashrrev_i32_e32 v75, 31, v74
	v_lshlrev_b64 v[36:37], 3, v[74:75]
	v_mov_b32_e32 v46, s5
	v_add_co_u32_e32 v56, vcc, s4, v36
	v_ashrrev_i32_e32 v77, 31, v76
	v_addc_co_u32_e32 v57, vcc, v46, v37, vcc
	v_lshlrev_b64 v[36:37], 3, v[76:77]
	v_mov_b32_e32 v47, s5
	v_add_co_u32_e32 v46, vcc, s4, v36
	v_ashrrev_i32_e32 v79, 31, v78
	v_addc_co_u32_e32 v47, vcc, v47, v37, vcc
	v_lshlrev_b64 v[36:37], 3, v[78:79]
	v_mov_b32_e32 v74, s5
	v_add_co_u32_e32 v36, vcc, s4, v36
	v_addc_co_u32_e32 v37, vcc, v74, v37, vcc
	global_load_dwordx2 v[74:75], v[56:57], off
	global_load_dwordx2 v[76:77], v[46:47], off
	;; [unrolled: 1-line block ×3, first 2 shown]
	s_cmpk_lg_i32 s13, 0x84
	s_waitcnt vmcnt(18)
	buffer_store_dword v82, off, s[0:3], 0 offset:80
	buffer_store_dword v83, off, s[0:3], 0 offset:84
	s_waitcnt vmcnt(19)
	buffer_store_dword v84, off, s[0:3], 0 offset:88
	buffer_store_dword v85, off, s[0:3], 0 offset:92
	;; [unrolled: 3-line block ×17, first 2 shown]
	buffer_store_dword v80, off, s[0:3], 0 offset:216
	buffer_store_dword v81, off, s[0:3], 0 offset:220
	v_mov_b32_e32 v58, 0
	s_cselect_b64 s[8:9], -1, 0
	s_cmpk_eq_i32 s13, 0x84
	v_mov_b32_e32 v59, 0xbff00000
	s_cbranch_scc1 .LBB27_3
; %bb.2:
	v_lshl_add_u32 v68, v0, 3, v86
	buffer_load_dword v58, v68, s[0:3], 0 offen
	buffer_load_dword v59, v68, s[0:3], 0 offen offset:4
	s_waitcnt vmcnt(0)
	v_div_scale_f64 v[60:61], s[4:5], v[58:59], v[58:59], 1.0
	v_rcp_f64_e32 v[62:63], v[60:61]
	v_div_scale_f64 v[64:65], vcc, 1.0, v[58:59], 1.0
	v_fma_f64 v[66:67], -v[60:61], v[62:63], 1.0
	v_fmac_f64_e32 v[62:63], v[62:63], v[66:67]
	v_fma_f64 v[66:67], -v[60:61], v[62:63], 1.0
	v_fmac_f64_e32 v[62:63], v[62:63], v[66:67]
	v_mul_f64 v[66:67], v[64:65], v[62:63]
	v_fma_f64 v[60:61], -v[60:61], v[66:67], v[64:65]
	v_div_fmas_f64 v[60:61], v[60:61], v[62:63], v[66:67]
	v_div_fixup_f64 v[58:59], v[60:61], v[58:59], 1.0
	buffer_store_dword v58, v68, s[0:3], 0 offen
	buffer_store_dword v59, v68, s[0:3], 0 offen offset:4
	v_xor_b32_e32 v59, 0x80000000, v59
.LBB27_3:
	s_cmpk_eq_i32 s12, 0x79
	v_add_u32_e32 v60, 0xe0, v1
	v_add_u32_e32 v61, 0, v1
	s_mov_b64 s[4:5], -1
	ds_write_b64 v1, v[58:59]
	s_cbranch_scc1 .LBB27_267
; %bb.4:
	buffer_load_dword v58, off, s[0:3], 0 offset:208
	buffer_load_dword v59, off, s[0:3], 0 offset:212
	v_cmp_eq_u32_e64 s[4:5], 27, v0
	s_waitcnt vmcnt(0)
	ds_write_b64 v60, v[58:59]
	s_waitcnt lgkmcnt(0)
	; wave barrier
	s_waitcnt lgkmcnt(0)
	s_and_saveexec_b64 s[6:7], s[4:5]
	s_cbranch_execz .LBB27_10
; %bb.5:
	s_and_b64 vcc, exec, s[8:9]
	s_cbranch_vccz .LBB27_7
; %bb.6:
	buffer_load_dword v58, v61, s[0:3], 0 offen
	buffer_load_dword v59, v61, s[0:3], 0 offen offset:4
	ds_read_b64 v[62:63], v60
	s_waitcnt vmcnt(0) lgkmcnt(0)
	v_mul_f64 v[58:59], v[58:59], v[62:63]
	s_cbranch_execz .LBB27_8
	s_branch .LBB27_9
.LBB27_7:
                                        ; implicit-def: $vgpr58_vgpr59
.LBB27_8:
	ds_read_b64 v[58:59], v60
.LBB27_9:
	v_mov_b32_e32 v62, 0
	ds_read_b64 v[62:63], v62 offset:208
	s_waitcnt lgkmcnt(0)
	v_mul_f64 v[58:59], v[58:59], v[62:63]
	buffer_store_dword v59, off, s[0:3], 0 offset:212
	buffer_store_dword v58, off, s[0:3], 0 offset:208
.LBB27_10:
	s_or_b64 exec, exec, s[6:7]
	buffer_load_dword v58, off, s[0:3], 0 offset:200
	buffer_load_dword v59, off, s[0:3], 0 offset:204
	v_or_b32_e32 v62, 8, v86
	v_add_u32_e32 v63, 16, v86
	v_add_u32_e32 v64, 24, v86
	v_add_u32_e32 v65, 32, v86
	v_add_u32_e32 v66, 40, v86
	v_add_u32_e32 v67, 48, v86
	v_add_u32_e32 v68, 56, v86
	v_add_u32_e32 v69, 64, v86
	v_add_u32_e32 v70, 0x48, v86
	v_add_u32_e32 v71, 0x50, v86
	v_add_u32_e32 v72, 0x58, v86
	v_add_u32_e32 v73, 0x60, v86
	v_add_u32_e32 v74, 0x68, v86
	v_add_u32_e32 v75, 0x70, v86
	v_add_u32_e32 v76, 0x78, v86
	v_add_u32_e32 v77, 0x80, v86
	v_add_u32_e32 v78, 0x88, v86
	v_add_u32_e32 v79, 0x90, v86
	v_add_u32_e32 v80, 0x98, v86
	v_add_u32_e32 v81, 0xa0, v86
	v_add_u32_e32 v82, 0xa8, v86
	v_add_u32_e32 v83, 0xb0, v86
	v_add_u32_e32 v84, 0xb8, v86
	v_add_u32_e32 v85, 0xc0, v86
	v_add_u32_e32 v86, 0xc8, v86
	v_cmp_lt_u32_e64 s[6:7], 25, v0
	s_waitcnt vmcnt(0)
	ds_write_b64 v60, v[58:59]
	s_waitcnt lgkmcnt(0)
	; wave barrier
	s_waitcnt lgkmcnt(0)
	s_and_saveexec_b64 s[10:11], s[6:7]
	s_cbranch_execz .LBB27_16
; %bb.11:
	s_andn2_b64 vcc, exec, s[8:9]
	s_cbranch_vccnz .LBB27_13
; %bb.12:
	buffer_load_dword v58, v61, s[0:3], 0 offen
	buffer_load_dword v59, v61, s[0:3], 0 offen offset:4
	ds_read_b64 v[88:89], v60
	s_waitcnt vmcnt(0) lgkmcnt(0)
	v_mul_f64 v[58:59], v[58:59], v[88:89]
	s_cbranch_execz .LBB27_14
	s_branch .LBB27_15
.LBB27_13:
                                        ; implicit-def: $vgpr58_vgpr59
.LBB27_14:
	ds_read_b64 v[58:59], v60
.LBB27_15:
	buffer_load_dword v92, off, s[0:3], 0 offset:208
	buffer_load_dword v93, off, s[0:3], 0 offset:212
	v_mov_b32_e32 v87, 0
	ds_read2_b64 v[88:91], v87 offset0:25 offset1:54
	s_waitcnt vmcnt(0) lgkmcnt(0)
	v_fma_f64 v[90:91], v[92:93], v[90:91], v[58:59]
	v_cndmask_b32_e64 v59, v59, v91, s[4:5]
	v_cndmask_b32_e64 v58, v58, v90, s[4:5]
	v_mul_f64 v[58:59], v[58:59], v[88:89]
	buffer_store_dword v59, off, s[0:3], 0 offset:204
	buffer_store_dword v58, off, s[0:3], 0 offset:200
.LBB27_16:
	s_or_b64 exec, exec, s[10:11]
	buffer_load_dword v58, off, s[0:3], 0 offset:192
	buffer_load_dword v59, off, s[0:3], 0 offset:196
	v_cmp_lt_u32_e64 s[4:5], 24, v0
	s_waitcnt vmcnt(0)
	ds_write_b64 v60, v[58:59]
	s_waitcnt lgkmcnt(0)
	; wave barrier
	s_waitcnt lgkmcnt(0)
	s_and_saveexec_b64 s[10:11], s[4:5]
	s_cbranch_execz .LBB27_26
; %bb.17:
	s_andn2_b64 vcc, exec, s[8:9]
	s_cbranch_vccnz .LBB27_19
; %bb.18:
	buffer_load_dword v58, v61, s[0:3], 0 offen
	buffer_load_dword v59, v61, s[0:3], 0 offen offset:4
	ds_read_b64 v[88:89], v60
	s_waitcnt vmcnt(0) lgkmcnt(0)
	v_mul_f64 v[58:59], v[58:59], v[88:89]
	s_cbranch_execz .LBB27_20
	s_branch .LBB27_21
.LBB27_19:
                                        ; implicit-def: $vgpr58_vgpr59
.LBB27_20:
	ds_read_b64 v[58:59], v60
.LBB27_21:
	s_and_saveexec_b64 s[12:13], s[6:7]
	s_cbranch_execz .LBB27_25
; %bb.22:
	v_subrev_u32_e32 v87, 25, v0
	s_movk_i32 s14, 0x1a8
	s_mov_b64 s[6:7], 0
.LBB27_23:                              ; =>This Inner Loop Header: Depth=1
	buffer_load_dword v88, v86, s[0:3], 0 offen
	buffer_load_dword v89, v86, s[0:3], 0 offen offset:4
	v_mov_b32_e32 v90, s14
	ds_read_b64 v[90:91], v90
	v_add_u32_e32 v87, -1, v87
	s_add_i32 s14, s14, 8
	v_cmp_eq_u32_e32 vcc, 0, v87
	v_add_u32_e32 v86, 8, v86
	s_or_b64 s[6:7], vcc, s[6:7]
	s_waitcnt vmcnt(0) lgkmcnt(0)
	v_fmac_f64_e32 v[58:59], v[88:89], v[90:91]
	s_andn2_b64 exec, exec, s[6:7]
	s_cbranch_execnz .LBB27_23
; %bb.24:
	s_or_b64 exec, exec, s[6:7]
.LBB27_25:
	s_or_b64 exec, exec, s[12:13]
	v_mov_b32_e32 v86, 0
	ds_read_b64 v[86:87], v86 offset:192
	s_waitcnt lgkmcnt(0)
	v_mul_f64 v[58:59], v[58:59], v[86:87]
	buffer_store_dword v59, off, s[0:3], 0 offset:196
	buffer_store_dword v58, off, s[0:3], 0 offset:192
.LBB27_26:
	s_or_b64 exec, exec, s[10:11]
	buffer_load_dword v58, off, s[0:3], 0 offset:184
	buffer_load_dword v59, off, s[0:3], 0 offset:188
	v_cmp_lt_u32_e64 s[6:7], 23, v0
	s_waitcnt vmcnt(0)
	ds_write_b64 v60, v[58:59]
	s_waitcnt lgkmcnt(0)
	; wave barrier
	s_waitcnt lgkmcnt(0)
	s_and_saveexec_b64 s[10:11], s[6:7]
	s_cbranch_execz .LBB27_36
; %bb.27:
	s_andn2_b64 vcc, exec, s[8:9]
	s_cbranch_vccnz .LBB27_29
; %bb.28:
	buffer_load_dword v58, v61, s[0:3], 0 offen
	buffer_load_dword v59, v61, s[0:3], 0 offen offset:4
	ds_read_b64 v[86:87], v60
	s_waitcnt vmcnt(0) lgkmcnt(0)
	v_mul_f64 v[58:59], v[58:59], v[86:87]
	s_cbranch_execz .LBB27_30
	s_branch .LBB27_31
.LBB27_29:
                                        ; implicit-def: $vgpr58_vgpr59
.LBB27_30:
	ds_read_b64 v[58:59], v60
.LBB27_31:
	s_and_saveexec_b64 s[12:13], s[4:5]
	s_cbranch_execz .LBB27_35
; %bb.32:
	v_subrev_u32_e32 v86, 24, v0
	s_movk_i32 s14, 0x1a0
	s_mov_b64 s[4:5], 0
.LBB27_33:                              ; =>This Inner Loop Header: Depth=1
	buffer_load_dword v88, v85, s[0:3], 0 offen
	buffer_load_dword v89, v85, s[0:3], 0 offen offset:4
	v_mov_b32_e32 v87, s14
	ds_read_b64 v[90:91], v87
	v_add_u32_e32 v86, -1, v86
	s_add_i32 s14, s14, 8
	v_cmp_eq_u32_e32 vcc, 0, v86
	v_add_u32_e32 v85, 8, v85
	s_or_b64 s[4:5], vcc, s[4:5]
	s_waitcnt vmcnt(0) lgkmcnt(0)
	v_fmac_f64_e32 v[58:59], v[88:89], v[90:91]
	s_andn2_b64 exec, exec, s[4:5]
	s_cbranch_execnz .LBB27_33
; %bb.34:
	s_or_b64 exec, exec, s[4:5]
.LBB27_35:
	s_or_b64 exec, exec, s[12:13]
	v_mov_b32_e32 v85, 0
	ds_read_b64 v[86:87], v85 offset:184
	s_waitcnt lgkmcnt(0)
	v_mul_f64 v[58:59], v[58:59], v[86:87]
	buffer_store_dword v59, off, s[0:3], 0 offset:188
	buffer_store_dword v58, off, s[0:3], 0 offset:184
.LBB27_36:
	;; [unrolled: 58-line block ×8, first 2 shown]
	s_or_b64 exec, exec, s[10:11]
	buffer_load_dword v58, off, s[0:3], 0 offset:128
	buffer_load_dword v59, off, s[0:3], 0 offset:132
	v_cmp_lt_u32_e64 s[4:5], 16, v0
	s_waitcnt vmcnt(0)
	ds_write_b64 v60, v[58:59]
	s_waitcnt lgkmcnt(0)
	; wave barrier
	s_waitcnt lgkmcnt(0)
	s_and_saveexec_b64 s[10:11], s[4:5]
	s_cbranch_execz .LBB27_106
; %bb.97:
	s_andn2_b64 vcc, exec, s[8:9]
	s_cbranch_vccnz .LBB27_99
; %bb.98:
	buffer_load_dword v58, v61, s[0:3], 0 offen
	buffer_load_dword v59, v61, s[0:3], 0 offen offset:4
	ds_read_b64 v[80:81], v60
	s_waitcnt vmcnt(0) lgkmcnt(0)
	v_mul_f64 v[58:59], v[58:59], v[80:81]
	s_cbranch_execz .LBB27_100
	s_branch .LBB27_101
.LBB27_99:
                                        ; implicit-def: $vgpr58_vgpr59
.LBB27_100:
	ds_read_b64 v[58:59], v60
.LBB27_101:
	s_and_saveexec_b64 s[12:13], s[6:7]
	s_cbranch_execz .LBB27_105
; %bb.102:
	v_subrev_u32_e32 v79, 17, v0
	s_movk_i32 s14, 0x168
	s_mov_b64 s[6:7], 0
.LBB27_103:                             ; =>This Inner Loop Header: Depth=1
	buffer_load_dword v80, v78, s[0:3], 0 offen
	buffer_load_dword v81, v78, s[0:3], 0 offen offset:4
	v_mov_b32_e32 v82, s14
	ds_read_b64 v[82:83], v82
	v_add_u32_e32 v79, -1, v79
	s_add_i32 s14, s14, 8
	v_cmp_eq_u32_e32 vcc, 0, v79
	v_add_u32_e32 v78, 8, v78
	s_or_b64 s[6:7], vcc, s[6:7]
	s_waitcnt vmcnt(0) lgkmcnt(0)
	v_fmac_f64_e32 v[58:59], v[80:81], v[82:83]
	s_andn2_b64 exec, exec, s[6:7]
	s_cbranch_execnz .LBB27_103
; %bb.104:
	s_or_b64 exec, exec, s[6:7]
.LBB27_105:
	s_or_b64 exec, exec, s[12:13]
	v_mov_b32_e32 v78, 0
	ds_read_b64 v[78:79], v78 offset:128
	s_waitcnt lgkmcnt(0)
	v_mul_f64 v[58:59], v[58:59], v[78:79]
	buffer_store_dword v59, off, s[0:3], 0 offset:132
	buffer_store_dword v58, off, s[0:3], 0 offset:128
.LBB27_106:
	s_or_b64 exec, exec, s[10:11]
	buffer_load_dword v58, off, s[0:3], 0 offset:120
	buffer_load_dword v59, off, s[0:3], 0 offset:124
	v_cmp_lt_u32_e64 s[6:7], 15, v0
	s_waitcnt vmcnt(0)
	ds_write_b64 v60, v[58:59]
	s_waitcnt lgkmcnt(0)
	; wave barrier
	s_waitcnt lgkmcnt(0)
	s_and_saveexec_b64 s[10:11], s[6:7]
	s_cbranch_execz .LBB27_116
; %bb.107:
	s_andn2_b64 vcc, exec, s[8:9]
	s_cbranch_vccnz .LBB27_109
; %bb.108:
	buffer_load_dword v58, v61, s[0:3], 0 offen
	buffer_load_dword v59, v61, s[0:3], 0 offen offset:4
	ds_read_b64 v[78:79], v60
	s_waitcnt vmcnt(0) lgkmcnt(0)
	v_mul_f64 v[58:59], v[58:59], v[78:79]
	s_cbranch_execz .LBB27_110
	s_branch .LBB27_111
.LBB27_109:
                                        ; implicit-def: $vgpr58_vgpr59
.LBB27_110:
	ds_read_b64 v[58:59], v60
.LBB27_111:
	s_and_saveexec_b64 s[12:13], s[4:5]
	s_cbranch_execz .LBB27_115
; %bb.112:
	v_add_u32_e32 v78, -16, v0
	s_movk_i32 s14, 0x160
	s_mov_b64 s[4:5], 0
.LBB27_113:                             ; =>This Inner Loop Header: Depth=1
	buffer_load_dword v80, v77, s[0:3], 0 offen
	buffer_load_dword v81, v77, s[0:3], 0 offen offset:4
	v_mov_b32_e32 v79, s14
	ds_read_b64 v[82:83], v79
	v_add_u32_e32 v78, -1, v78
	s_add_i32 s14, s14, 8
	v_cmp_eq_u32_e32 vcc, 0, v78
	v_add_u32_e32 v77, 8, v77
	s_or_b64 s[4:5], vcc, s[4:5]
	s_waitcnt vmcnt(0) lgkmcnt(0)
	v_fmac_f64_e32 v[58:59], v[80:81], v[82:83]
	s_andn2_b64 exec, exec, s[4:5]
	s_cbranch_execnz .LBB27_113
; %bb.114:
	s_or_b64 exec, exec, s[4:5]
.LBB27_115:
	s_or_b64 exec, exec, s[12:13]
	v_mov_b32_e32 v77, 0
	ds_read_b64 v[78:79], v77 offset:120
	s_waitcnt lgkmcnt(0)
	v_mul_f64 v[58:59], v[58:59], v[78:79]
	buffer_store_dword v59, off, s[0:3], 0 offset:124
	buffer_store_dword v58, off, s[0:3], 0 offset:120
.LBB27_116:
	s_or_b64 exec, exec, s[10:11]
	buffer_load_dword v58, off, s[0:3], 0 offset:112
	buffer_load_dword v59, off, s[0:3], 0 offset:116
	v_cmp_lt_u32_e64 s[4:5], 14, v0
	s_waitcnt vmcnt(0)
	ds_write_b64 v60, v[58:59]
	s_waitcnt lgkmcnt(0)
	; wave barrier
	s_waitcnt lgkmcnt(0)
	s_and_saveexec_b64 s[10:11], s[4:5]
	s_cbranch_execz .LBB27_126
; %bb.117:
	s_andn2_b64 vcc, exec, s[8:9]
	s_cbranch_vccnz .LBB27_119
; %bb.118:
	buffer_load_dword v58, v61, s[0:3], 0 offen
	buffer_load_dword v59, v61, s[0:3], 0 offen offset:4
	ds_read_b64 v[78:79], v60
	s_waitcnt vmcnt(0) lgkmcnt(0)
	v_mul_f64 v[58:59], v[58:59], v[78:79]
	s_cbranch_execz .LBB27_120
	s_branch .LBB27_121
.LBB27_119:
                                        ; implicit-def: $vgpr58_vgpr59
.LBB27_120:
	ds_read_b64 v[58:59], v60
.LBB27_121:
	s_and_saveexec_b64 s[12:13], s[6:7]
	s_cbranch_execz .LBB27_125
; %bb.122:
	v_add_u32_e32 v77, -15, v0
	s_movk_i32 s14, 0x158
	s_mov_b64 s[6:7], 0
.LBB27_123:                             ; =>This Inner Loop Header: Depth=1
	buffer_load_dword v78, v76, s[0:3], 0 offen
	buffer_load_dword v79, v76, s[0:3], 0 offen offset:4
	v_mov_b32_e32 v80, s14
	ds_read_b64 v[80:81], v80
	v_add_u32_e32 v77, -1, v77
	s_add_i32 s14, s14, 8
	v_cmp_eq_u32_e32 vcc, 0, v77
	v_add_u32_e32 v76, 8, v76
	s_or_b64 s[6:7], vcc, s[6:7]
	s_waitcnt vmcnt(0) lgkmcnt(0)
	v_fmac_f64_e32 v[58:59], v[78:79], v[80:81]
	s_andn2_b64 exec, exec, s[6:7]
	s_cbranch_execnz .LBB27_123
; %bb.124:
	s_or_b64 exec, exec, s[6:7]
.LBB27_125:
	s_or_b64 exec, exec, s[12:13]
	v_mov_b32_e32 v76, 0
	ds_read_b64 v[76:77], v76 offset:112
	s_waitcnt lgkmcnt(0)
	v_mul_f64 v[58:59], v[58:59], v[76:77]
	buffer_store_dword v59, off, s[0:3], 0 offset:116
	buffer_store_dword v58, off, s[0:3], 0 offset:112
.LBB27_126:
	;; [unrolled: 58-line block ×15, first 2 shown]
	s_or_b64 exec, exec, s[10:11]
	buffer_load_dword v58, off, s[0:3], 0
	buffer_load_dword v59, off, s[0:3], 0 offset:4
	v_cmp_ne_u32_e32 vcc, 0, v0
	s_waitcnt vmcnt(0)
	ds_write_b64 v60, v[58:59]
	s_waitcnt lgkmcnt(0)
	; wave barrier
	s_waitcnt lgkmcnt(0)
	s_and_saveexec_b64 s[4:5], vcc
	s_cbranch_execz .LBB27_266
; %bb.257:
	s_andn2_b64 vcc, exec, s[8:9]
	s_cbranch_vccnz .LBB27_259
; %bb.258:
	buffer_load_dword v58, v61, s[0:3], 0 offen
	buffer_load_dword v59, v61, s[0:3], 0 offen offset:4
	ds_read_b64 v[64:65], v60
	s_waitcnt vmcnt(0) lgkmcnt(0)
	v_mul_f64 v[58:59], v[58:59], v[64:65]
	s_cbranch_execz .LBB27_260
	s_branch .LBB27_261
.LBB27_259:
                                        ; implicit-def: $vgpr58_vgpr59
.LBB27_260:
	ds_read_b64 v[58:59], v60
.LBB27_261:
	s_and_saveexec_b64 s[10:11], s[6:7]
	s_cbranch_execz .LBB27_265
; %bb.262:
	v_add_u32_e32 v63, -1, v0
	s_movk_i32 s12, 0xe8
	s_mov_b64 s[6:7], 0
.LBB27_263:                             ; =>This Inner Loop Header: Depth=1
	buffer_load_dword v64, v62, s[0:3], 0 offen
	buffer_load_dword v65, v62, s[0:3], 0 offen offset:4
	v_mov_b32_e32 v66, s12
	ds_read_b64 v[66:67], v66
	v_add_u32_e32 v63, -1, v63
	s_add_i32 s12, s12, 8
	v_cmp_eq_u32_e32 vcc, 0, v63
	v_add_u32_e32 v62, 8, v62
	s_or_b64 s[6:7], vcc, s[6:7]
	s_waitcnt vmcnt(0) lgkmcnt(0)
	v_fmac_f64_e32 v[58:59], v[64:65], v[66:67]
	s_andn2_b64 exec, exec, s[6:7]
	s_cbranch_execnz .LBB27_263
; %bb.264:
	s_or_b64 exec, exec, s[6:7]
.LBB27_265:
	s_or_b64 exec, exec, s[10:11]
	v_mov_b32_e32 v62, 0
	ds_read_b64 v[62:63], v62
	s_waitcnt lgkmcnt(0)
	v_mul_f64 v[58:59], v[58:59], v[62:63]
	buffer_store_dword v59, off, s[0:3], 0 offset:4
	buffer_store_dword v58, off, s[0:3], 0
.LBB27_266:
	s_or_b64 exec, exec, s[4:5]
	s_mov_b64 s[4:5], 0
.LBB27_267:
	s_and_b64 vcc, exec, s[4:5]
	s_cbranch_vccz .LBB27_531
; %bb.268:
	buffer_load_dword v58, off, s[0:3], 0 offset:8
	buffer_load_dword v59, off, s[0:3], 0 offset:12
	v_cmp_eq_u32_e64 s[6:7], 0, v0
	s_waitcnt vmcnt(0)
	ds_write_b64 v60, v[58:59]
	s_waitcnt lgkmcnt(0)
	; wave barrier
	s_waitcnt lgkmcnt(0)
	s_and_saveexec_b64 s[4:5], s[6:7]
	s_cbranch_execz .LBB27_274
; %bb.269:
	s_and_b64 vcc, exec, s[8:9]
	s_cbranch_vccz .LBB27_271
; %bb.270:
	buffer_load_dword v58, v61, s[0:3], 0 offen
	buffer_load_dword v59, v61, s[0:3], 0 offen offset:4
	ds_read_b64 v[62:63], v60
	s_waitcnt vmcnt(0) lgkmcnt(0)
	v_mul_f64 v[58:59], v[58:59], v[62:63]
	s_cbranch_execz .LBB27_272
	s_branch .LBB27_273
.LBB27_271:
                                        ; implicit-def: $vgpr58_vgpr59
.LBB27_272:
	ds_read_b64 v[58:59], v60
.LBB27_273:
	v_mov_b32_e32 v62, 0
	ds_read_b64 v[62:63], v62 offset:8
	s_waitcnt lgkmcnt(0)
	v_mul_f64 v[58:59], v[58:59], v[62:63]
	buffer_store_dword v59, off, s[0:3], 0 offset:12
	buffer_store_dword v58, off, s[0:3], 0 offset:8
.LBB27_274:
	s_or_b64 exec, exec, s[4:5]
	buffer_load_dword v58, off, s[0:3], 0 offset:16
	buffer_load_dword v59, off, s[0:3], 0 offset:20
	v_cndmask_b32_e64 v62, 0, 1, s[8:9]
	v_cmp_gt_u32_e32 vcc, 2, v0
	v_cmp_ne_u32_e64 s[4:5], 1, v62
	s_waitcnt vmcnt(0)
	ds_write_b64 v60, v[58:59]
	s_waitcnt lgkmcnt(0)
	; wave barrier
	s_waitcnt lgkmcnt(0)
	s_and_saveexec_b64 s[8:9], vcc
	s_cbranch_execz .LBB27_282
; %bb.275:
	s_and_b64 vcc, exec, s[4:5]
	s_cbranch_vccnz .LBB27_277
; %bb.276:
	buffer_load_dword v58, v61, s[0:3], 0 offen
	buffer_load_dword v59, v61, s[0:3], 0 offen offset:4
	ds_read_b64 v[62:63], v60
	s_waitcnt vmcnt(0) lgkmcnt(0)
	v_mul_f64 v[58:59], v[58:59], v[62:63]
	s_cbranch_execz .LBB27_278
	s_branch .LBB27_279
.LBB27_277:
                                        ; implicit-def: $vgpr58_vgpr59
.LBB27_278:
	ds_read_b64 v[58:59], v60
.LBB27_279:
	s_and_saveexec_b64 s[10:11], s[6:7]
	s_cbranch_execz .LBB27_281
; %bb.280:
	buffer_load_dword v62, v61, s[0:3], 0 offen offset:8
	buffer_load_dword v63, v61, s[0:3], 0 offen offset:12
	ds_read_b64 v[64:65], v60 offset:8
	s_waitcnt vmcnt(0) lgkmcnt(0)
	v_fmac_f64_e32 v[58:59], v[62:63], v[64:65]
.LBB27_281:
	s_or_b64 exec, exec, s[10:11]
	v_mov_b32_e32 v62, 0
	ds_read_b64 v[62:63], v62 offset:16
	s_waitcnt lgkmcnt(0)
	v_mul_f64 v[58:59], v[58:59], v[62:63]
	buffer_store_dword v59, off, s[0:3], 0 offset:20
	buffer_store_dword v58, off, s[0:3], 0 offset:16
.LBB27_282:
	s_or_b64 exec, exec, s[8:9]
	buffer_load_dword v58, off, s[0:3], 0 offset:24
	buffer_load_dword v59, off, s[0:3], 0 offset:28
	v_cmp_gt_u32_e32 vcc, 3, v0
	s_waitcnt vmcnt(0)
	ds_write_b64 v60, v[58:59]
	s_waitcnt lgkmcnt(0)
	; wave barrier
	s_waitcnt lgkmcnt(0)
	s_and_saveexec_b64 s[8:9], vcc
	s_cbranch_execz .LBB27_290
; %bb.283:
	s_and_b64 vcc, exec, s[4:5]
	s_cbranch_vccnz .LBB27_285
; %bb.284:
	buffer_load_dword v58, v61, s[0:3], 0 offen
	buffer_load_dword v59, v61, s[0:3], 0 offen offset:4
	ds_read_b64 v[62:63], v60
	s_waitcnt vmcnt(0) lgkmcnt(0)
	v_mul_f64 v[58:59], v[58:59], v[62:63]
	s_cbranch_execz .LBB27_286
	s_branch .LBB27_287
.LBB27_285:
                                        ; implicit-def: $vgpr58_vgpr59
.LBB27_286:
	ds_read_b64 v[58:59], v60
.LBB27_287:
	v_cmp_ne_u32_e32 vcc, 2, v0
	s_and_saveexec_b64 s[10:11], vcc
	s_cbranch_execz .LBB27_289
; %bb.288:
	buffer_load_dword v63, v61, s[0:3], 0 offen offset:12
	buffer_load_dword v64, off, s[0:3], 0 offset:16
	buffer_load_dword v62, v61, s[0:3], 0 offen offset:8
	buffer_load_dword v65, off, s[0:3], 0 offset:20
	v_mov_b32_e32 v68, 0
	ds_read_b64 v[66:67], v60 offset:8
	ds_read_b64 v[68:69], v68 offset:240
	s_waitcnt vmcnt(1) lgkmcnt(1)
	v_fmac_f64_e32 v[58:59], v[62:63], v[66:67]
	s_waitcnt vmcnt(0) lgkmcnt(0)
	v_fma_f64 v[62:63], v[64:65], v[68:69], v[58:59]
	v_cndmask_b32_e64 v59, v59, v63, s[6:7]
	v_cndmask_b32_e64 v58, v58, v62, s[6:7]
.LBB27_289:
	s_or_b64 exec, exec, s[10:11]
	v_mov_b32_e32 v62, 0
	ds_read_b64 v[62:63], v62 offset:24
	s_waitcnt lgkmcnt(0)
	v_mul_f64 v[58:59], v[58:59], v[62:63]
	buffer_store_dword v59, off, s[0:3], 0 offset:28
	buffer_store_dword v58, off, s[0:3], 0 offset:24
.LBB27_290:
	s_or_b64 exec, exec, s[8:9]
	buffer_load_dword v58, off, s[0:3], 0 offset:32
	buffer_load_dword v59, off, s[0:3], 0 offset:36
	v_cmp_gt_u32_e32 vcc, 4, v0
	s_waitcnt vmcnt(0)
	ds_write_b64 v60, v[58:59]
	s_waitcnt lgkmcnt(0)
	; wave barrier
	s_waitcnt lgkmcnt(0)
	s_and_saveexec_b64 s[6:7], vcc
	s_cbranch_execz .LBB27_300
; %bb.291:
	s_and_b64 vcc, exec, s[4:5]
	s_cbranch_vccnz .LBB27_293
; %bb.292:
	buffer_load_dword v58, v61, s[0:3], 0 offen
	buffer_load_dword v59, v61, s[0:3], 0 offen offset:4
	ds_read_b64 v[62:63], v60
	s_waitcnt vmcnt(0) lgkmcnt(0)
	v_mul_f64 v[58:59], v[58:59], v[62:63]
	s_cbranch_execz .LBB27_294
	s_branch .LBB27_295
.LBB27_293:
                                        ; implicit-def: $vgpr58_vgpr59
.LBB27_294:
	ds_read_b64 v[58:59], v60
.LBB27_295:
	v_cmp_ne_u32_e32 vcc, 3, v0
	s_and_saveexec_b64 s[8:9], vcc
	s_cbranch_execz .LBB27_299
; %bb.296:
	v_mov_b32_e32 v63, 0
	v_add_u32_e32 v62, 0xe8, v1
	v_add3_u32 v63, v1, v63, 8
	s_mov_b64 s[10:11], 0
	v_mov_b32_e32 v64, v0
.LBB27_297:                             ; =>This Inner Loop Header: Depth=1
	buffer_load_dword v66, v63, s[0:3], 0 offen
	buffer_load_dword v67, v63, s[0:3], 0 offen offset:4
	ds_read_b64 v[68:69], v62
	v_add_u32_e32 v64, 1, v64
	v_cmp_lt_u32_e32 vcc, 2, v64
	v_add_u32_e32 v62, 8, v62
	v_add_u32_e32 v63, 8, v63
	s_or_b64 s[10:11], vcc, s[10:11]
	s_waitcnt vmcnt(0) lgkmcnt(0)
	v_fmac_f64_e32 v[58:59], v[66:67], v[68:69]
	s_andn2_b64 exec, exec, s[10:11]
	s_cbranch_execnz .LBB27_297
; %bb.298:
	s_or_b64 exec, exec, s[10:11]
.LBB27_299:
	s_or_b64 exec, exec, s[8:9]
	v_mov_b32_e32 v62, 0
	ds_read_b64 v[62:63], v62 offset:32
	s_waitcnt lgkmcnt(0)
	v_mul_f64 v[58:59], v[58:59], v[62:63]
	buffer_store_dword v59, off, s[0:3], 0 offset:36
	buffer_store_dword v58, off, s[0:3], 0 offset:32
.LBB27_300:
	s_or_b64 exec, exec, s[6:7]
	buffer_load_dword v58, off, s[0:3], 0 offset:40
	buffer_load_dword v59, off, s[0:3], 0 offset:44
	v_cmp_gt_u32_e32 vcc, 5, v0
	s_waitcnt vmcnt(0)
	ds_write_b64 v60, v[58:59]
	s_waitcnt lgkmcnt(0)
	; wave barrier
	s_waitcnt lgkmcnt(0)
	s_and_saveexec_b64 s[6:7], vcc
	s_cbranch_execz .LBB27_310
; %bb.301:
	s_and_b64 vcc, exec, s[4:5]
	s_cbranch_vccnz .LBB27_303
; %bb.302:
	buffer_load_dword v58, v61, s[0:3], 0 offen
	buffer_load_dword v59, v61, s[0:3], 0 offen offset:4
	ds_read_b64 v[62:63], v60
	s_waitcnt vmcnt(0) lgkmcnt(0)
	v_mul_f64 v[58:59], v[58:59], v[62:63]
	s_cbranch_execz .LBB27_304
	s_branch .LBB27_305
.LBB27_303:
                                        ; implicit-def: $vgpr58_vgpr59
.LBB27_304:
	ds_read_b64 v[58:59], v60
.LBB27_305:
	v_cmp_ne_u32_e32 vcc, 4, v0
	s_and_saveexec_b64 s[8:9], vcc
	s_cbranch_execz .LBB27_309
; %bb.306:
	v_mov_b32_e32 v63, 0
	v_add_u32_e32 v62, 0xe8, v1
	v_add3_u32 v63, v1, v63, 8
	s_mov_b64 s[10:11], 0
	v_mov_b32_e32 v64, v0
.LBB27_307:                             ; =>This Inner Loop Header: Depth=1
	buffer_load_dword v66, v63, s[0:3], 0 offen
	buffer_load_dword v67, v63, s[0:3], 0 offen offset:4
	ds_read_b64 v[68:69], v62
	v_add_u32_e32 v64, 1, v64
	v_cmp_lt_u32_e32 vcc, 3, v64
	v_add_u32_e32 v62, 8, v62
	v_add_u32_e32 v63, 8, v63
	s_or_b64 s[10:11], vcc, s[10:11]
	s_waitcnt vmcnt(0) lgkmcnt(0)
	v_fmac_f64_e32 v[58:59], v[66:67], v[68:69]
	s_andn2_b64 exec, exec, s[10:11]
	s_cbranch_execnz .LBB27_307
; %bb.308:
	s_or_b64 exec, exec, s[10:11]
.LBB27_309:
	s_or_b64 exec, exec, s[8:9]
	v_mov_b32_e32 v62, 0
	ds_read_b64 v[62:63], v62 offset:40
	s_waitcnt lgkmcnt(0)
	v_mul_f64 v[58:59], v[58:59], v[62:63]
	buffer_store_dword v59, off, s[0:3], 0 offset:44
	buffer_store_dword v58, off, s[0:3], 0 offset:40
.LBB27_310:
	;; [unrolled: 60-line block ×22, first 2 shown]
	s_or_b64 exec, exec, s[6:7]
	buffer_load_dword v58, off, s[0:3], 0 offset:208
	buffer_load_dword v59, off, s[0:3], 0 offset:212
	v_cmp_gt_u32_e64 s[6:7], 26, v0
	s_waitcnt vmcnt(0)
	ds_write_b64 v60, v[58:59]
	s_waitcnt lgkmcnt(0)
	; wave barrier
	s_waitcnt lgkmcnt(0)
	s_and_saveexec_b64 s[8:9], s[6:7]
	s_cbranch_execz .LBB27_520
; %bb.511:
	s_and_b64 vcc, exec, s[4:5]
	s_cbranch_vccnz .LBB27_513
; %bb.512:
	buffer_load_dword v58, v61, s[0:3], 0 offen
	buffer_load_dword v59, v61, s[0:3], 0 offen offset:4
	ds_read_b64 v[62:63], v60
	s_waitcnt vmcnt(0) lgkmcnt(0)
	v_mul_f64 v[58:59], v[58:59], v[62:63]
	s_cbranch_execz .LBB27_514
	s_branch .LBB27_515
.LBB27_513:
                                        ; implicit-def: $vgpr58_vgpr59
.LBB27_514:
	ds_read_b64 v[58:59], v60
.LBB27_515:
	v_cmp_ne_u32_e32 vcc, 25, v0
	s_and_saveexec_b64 s[10:11], vcc
	s_cbranch_execz .LBB27_519
; %bb.516:
	v_mov_b32_e32 v63, 0
	v_add_u32_e32 v62, 0xe8, v1
	v_add3_u32 v63, v1, v63, 8
	s_mov_b64 s[12:13], 0
	v_mov_b32_e32 v64, v0
.LBB27_517:                             ; =>This Inner Loop Header: Depth=1
	buffer_load_dword v66, v63, s[0:3], 0 offen
	buffer_load_dword v67, v63, s[0:3], 0 offen offset:4
	ds_read_b64 v[68:69], v62
	v_add_u32_e32 v64, 1, v64
	v_cmp_lt_u32_e32 vcc, 24, v64
	v_add_u32_e32 v62, 8, v62
	v_add_u32_e32 v63, 8, v63
	s_or_b64 s[12:13], vcc, s[12:13]
	s_waitcnt vmcnt(0) lgkmcnt(0)
	v_fmac_f64_e32 v[58:59], v[66:67], v[68:69]
	s_andn2_b64 exec, exec, s[12:13]
	s_cbranch_execnz .LBB27_517
; %bb.518:
	s_or_b64 exec, exec, s[12:13]
.LBB27_519:
	s_or_b64 exec, exec, s[10:11]
	v_mov_b32_e32 v62, 0
	ds_read_b64 v[62:63], v62 offset:208
	s_waitcnt lgkmcnt(0)
	v_mul_f64 v[58:59], v[58:59], v[62:63]
	buffer_store_dword v59, off, s[0:3], 0 offset:212
	buffer_store_dword v58, off, s[0:3], 0 offset:208
.LBB27_520:
	s_or_b64 exec, exec, s[8:9]
	buffer_load_dword v58, off, s[0:3], 0 offset:216
	buffer_load_dword v59, off, s[0:3], 0 offset:220
	v_cmp_ne_u32_e32 vcc, 27, v0
	s_waitcnt vmcnt(0)
	ds_write_b64 v60, v[58:59]
	s_waitcnt lgkmcnt(0)
	; wave barrier
	s_waitcnt lgkmcnt(0)
	s_and_saveexec_b64 s[8:9], vcc
	s_cbranch_execz .LBB27_530
; %bb.521:
	s_and_b64 vcc, exec, s[4:5]
	s_cbranch_vccnz .LBB27_523
; %bb.522:
	buffer_load_dword v58, v61, s[0:3], 0 offen
	buffer_load_dword v59, v61, s[0:3], 0 offen offset:4
	ds_read_b64 v[62:63], v60
	s_waitcnt vmcnt(0) lgkmcnt(0)
	v_mul_f64 v[58:59], v[58:59], v[62:63]
	s_cbranch_execz .LBB27_524
	s_branch .LBB27_525
.LBB27_523:
                                        ; implicit-def: $vgpr58_vgpr59
.LBB27_524:
	ds_read_b64 v[58:59], v60
.LBB27_525:
	s_and_saveexec_b64 s[4:5], s[6:7]
	s_cbranch_execz .LBB27_529
; %bb.526:
	v_mov_b32_e32 v61, 0
	v_add_u32_e32 v60, 0xe8, v1
	v_add3_u32 v1, v1, v61, 8
	s_mov_b64 s[6:7], 0
.LBB27_527:                             ; =>This Inner Loop Header: Depth=1
	buffer_load_dword v62, v1, s[0:3], 0 offen
	buffer_load_dword v63, v1, s[0:3], 0 offen offset:4
	ds_read_b64 v[64:65], v60
	v_add_u32_e32 v0, 1, v0
	v_cmp_lt_u32_e32 vcc, 25, v0
	v_add_u32_e32 v60, 8, v60
	v_add_u32_e32 v1, 8, v1
	s_or_b64 s[6:7], vcc, s[6:7]
	s_waitcnt vmcnt(0) lgkmcnt(0)
	v_fmac_f64_e32 v[58:59], v[62:63], v[64:65]
	s_andn2_b64 exec, exec, s[6:7]
	s_cbranch_execnz .LBB27_527
; %bb.528:
	s_or_b64 exec, exec, s[6:7]
.LBB27_529:
	s_or_b64 exec, exec, s[4:5]
	v_mov_b32_e32 v0, 0
	ds_read_b64 v[0:1], v0 offset:216
	s_waitcnt lgkmcnt(0)
	v_mul_f64 v[0:1], v[58:59], v[0:1]
	buffer_store_dword v1, off, s[0:3], 0 offset:220
	buffer_store_dword v0, off, s[0:3], 0 offset:216
.LBB27_530:
	s_or_b64 exec, exec, s[8:9]
.LBB27_531:
	buffer_load_dword v0, off, s[0:3], 0
	buffer_load_dword v1, off, s[0:3], 0 offset:4
	buffer_load_dword v58, off, s[0:3], 0 offset:8
	buffer_load_dword v59, off, s[0:3], 0 offset:12
	buffer_load_dword v60, off, s[0:3], 0 offset:16
	buffer_load_dword v61, off, s[0:3], 0 offset:20
	buffer_load_dword v62, off, s[0:3], 0 offset:24
	buffer_load_dword v63, off, s[0:3], 0 offset:28
	buffer_load_dword v64, off, s[0:3], 0 offset:32
	buffer_load_dword v65, off, s[0:3], 0 offset:36
	buffer_load_dword v66, off, s[0:3], 0 offset:40
	buffer_load_dword v67, off, s[0:3], 0 offset:44
	buffer_load_dword v68, off, s[0:3], 0 offset:48
	buffer_load_dword v69, off, s[0:3], 0 offset:52
	buffer_load_dword v70, off, s[0:3], 0 offset:56
	buffer_load_dword v71, off, s[0:3], 0 offset:60
	s_waitcnt vmcnt(14)
	global_store_dwordx2 v[2:3], v[0:1], off
	s_waitcnt vmcnt(13)
	global_store_dwordx2 v[4:5], v[58:59], off
	s_waitcnt vmcnt(12)
	global_store_dwordx2 v[6:7], v[60:61], off
	s_waitcnt vmcnt(11)
	global_store_dwordx2 v[8:9], v[62:63], off
	s_waitcnt vmcnt(10)
	global_store_dwordx2 v[10:11], v[64:65], off
	s_waitcnt vmcnt(9)
	global_store_dwordx2 v[12:13], v[66:67], off
	s_waitcnt vmcnt(8)
	global_store_dwordx2 v[14:15], v[68:69], off
	s_waitcnt vmcnt(7)
	global_store_dwordx2 v[16:17], v[70:71], off
	buffer_load_dword v1, off, s[0:3], 0 offset:68
	buffer_load_dword v0, off, s[0:3], 0 offset:64
	s_waitcnt vmcnt(0)
	global_store_dwordx2 v[20:21], v[0:1], off
	buffer_load_dword v0, off, s[0:3], 0 offset:72
	s_nop 0
	buffer_load_dword v1, off, s[0:3], 0 offset:76
	s_waitcnt vmcnt(0)
	global_store_dwordx2 v[18:19], v[0:1], off
	buffer_load_dword v0, off, s[0:3], 0 offset:80
	s_nop 0
	;; [unrolled: 5-line block ×19, first 2 shown]
	buffer_load_dword v1, off, s[0:3], 0 offset:220
	s_waitcnt vmcnt(0)
	global_store_dwordx2 v[22:23], v[0:1], off
.LBB27_532:
	s_endpgm
	.section	.rodata,"a",@progbits
	.p2align	6, 0x0
	.amdhsa_kernel _ZN9rocsolver6v33100L18trti2_kernel_smallILi28EdPdEEv13rocblas_fill_17rocblas_diagonal_T1_iil
		.amdhsa_group_segment_fixed_size 448
		.amdhsa_private_segment_fixed_size 240
		.amdhsa_kernarg_size 32
		.amdhsa_user_sgpr_count 8
		.amdhsa_user_sgpr_private_segment_buffer 1
		.amdhsa_user_sgpr_dispatch_ptr 0
		.amdhsa_user_sgpr_queue_ptr 0
		.amdhsa_user_sgpr_kernarg_segment_ptr 1
		.amdhsa_user_sgpr_dispatch_id 0
		.amdhsa_user_sgpr_flat_scratch_init 1
		.amdhsa_user_sgpr_kernarg_preload_length 0
		.amdhsa_user_sgpr_kernarg_preload_offset 0
		.amdhsa_user_sgpr_private_segment_size 0
		.amdhsa_uses_dynamic_stack 0
		.amdhsa_system_sgpr_private_segment_wavefront_offset 1
		.amdhsa_system_sgpr_workgroup_id_x 1
		.amdhsa_system_sgpr_workgroup_id_y 0
		.amdhsa_system_sgpr_workgroup_id_z 0
		.amdhsa_system_sgpr_workgroup_info 0
		.amdhsa_system_vgpr_workitem_id 0
		.amdhsa_next_free_vgpr 96
		.amdhsa_next_free_sgpr 20
		.amdhsa_accum_offset 96
		.amdhsa_reserve_vcc 1
		.amdhsa_reserve_flat_scratch 0
		.amdhsa_float_round_mode_32 0
		.amdhsa_float_round_mode_16_64 0
		.amdhsa_float_denorm_mode_32 3
		.amdhsa_float_denorm_mode_16_64 3
		.amdhsa_dx10_clamp 1
		.amdhsa_ieee_mode 1
		.amdhsa_fp16_overflow 0
		.amdhsa_tg_split 0
		.amdhsa_exception_fp_ieee_invalid_op 0
		.amdhsa_exception_fp_denorm_src 0
		.amdhsa_exception_fp_ieee_div_zero 0
		.amdhsa_exception_fp_ieee_overflow 0
		.amdhsa_exception_fp_ieee_underflow 0
		.amdhsa_exception_fp_ieee_inexact 0
		.amdhsa_exception_int_div_zero 0
	.end_amdhsa_kernel
	.section	.text._ZN9rocsolver6v33100L18trti2_kernel_smallILi28EdPdEEv13rocblas_fill_17rocblas_diagonal_T1_iil,"axG",@progbits,_ZN9rocsolver6v33100L18trti2_kernel_smallILi28EdPdEEv13rocblas_fill_17rocblas_diagonal_T1_iil,comdat
.Lfunc_end27:
	.size	_ZN9rocsolver6v33100L18trti2_kernel_smallILi28EdPdEEv13rocblas_fill_17rocblas_diagonal_T1_iil, .Lfunc_end27-_ZN9rocsolver6v33100L18trti2_kernel_smallILi28EdPdEEv13rocblas_fill_17rocblas_diagonal_T1_iil
                                        ; -- End function
	.section	.AMDGPU.csdata,"",@progbits
; Kernel info:
; codeLenInByte = 16256
; NumSgprs: 24
; NumVgprs: 96
; NumAgprs: 0
; TotalNumVgprs: 96
; ScratchSize: 240
; MemoryBound: 0
; FloatMode: 240
; IeeeMode: 1
; LDSByteSize: 448 bytes/workgroup (compile time only)
; SGPRBlocks: 2
; VGPRBlocks: 11
; NumSGPRsForWavesPerEU: 24
; NumVGPRsForWavesPerEU: 96
; AccumOffset: 96
; Occupancy: 5
; WaveLimiterHint : 0
; COMPUTE_PGM_RSRC2:SCRATCH_EN: 1
; COMPUTE_PGM_RSRC2:USER_SGPR: 8
; COMPUTE_PGM_RSRC2:TRAP_HANDLER: 0
; COMPUTE_PGM_RSRC2:TGID_X_EN: 1
; COMPUTE_PGM_RSRC2:TGID_Y_EN: 0
; COMPUTE_PGM_RSRC2:TGID_Z_EN: 0
; COMPUTE_PGM_RSRC2:TIDIG_COMP_CNT: 0
; COMPUTE_PGM_RSRC3_GFX90A:ACCUM_OFFSET: 23
; COMPUTE_PGM_RSRC3_GFX90A:TG_SPLIT: 0
	.section	.text._ZN9rocsolver6v33100L18trti2_kernel_smallILi29EdPdEEv13rocblas_fill_17rocblas_diagonal_T1_iil,"axG",@progbits,_ZN9rocsolver6v33100L18trti2_kernel_smallILi29EdPdEEv13rocblas_fill_17rocblas_diagonal_T1_iil,comdat
	.globl	_ZN9rocsolver6v33100L18trti2_kernel_smallILi29EdPdEEv13rocblas_fill_17rocblas_diagonal_T1_iil ; -- Begin function _ZN9rocsolver6v33100L18trti2_kernel_smallILi29EdPdEEv13rocblas_fill_17rocblas_diagonal_T1_iil
	.p2align	8
	.type	_ZN9rocsolver6v33100L18trti2_kernel_smallILi29EdPdEEv13rocblas_fill_17rocblas_diagonal_T1_iil,@function
_ZN9rocsolver6v33100L18trti2_kernel_smallILi29EdPdEEv13rocblas_fill_17rocblas_diagonal_T1_iil: ; @_ZN9rocsolver6v33100L18trti2_kernel_smallILi29EdPdEEv13rocblas_fill_17rocblas_diagonal_T1_iil
; %bb.0:
	s_add_u32 s0, s0, s9
	s_addc_u32 s1, s1, 0
	v_cmp_gt_u32_e32 vcc, 29, v0
	s_and_saveexec_b64 s[6:7], vcc
	s_cbranch_execz .LBB28_552
; %bb.1:
	s_load_dwordx8 s[12:19], s[4:5], 0x0
	s_ashr_i32 s6, s8, 31
	v_lshlrev_b32_e32 v1, 3, v0
	s_waitcnt lgkmcnt(0)
	s_mul_i32 s7, s8, s19
	s_mul_hi_u32 s9, s8, s18
	s_add_i32 s7, s9, s7
	s_mul_i32 s6, s6, s18
	s_add_i32 s7, s7, s6
	s_mul_i32 s6, s8, s18
	s_ashr_i32 s5, s16, 31
	s_lshl_b64 s[6:7], s[6:7], 3
	s_mov_b32 s4, s16
	s_add_u32 s6, s14, s6
	s_addc_u32 s7, s15, s7
	s_lshl_b64 s[4:5], s[4:5], 3
	s_add_u32 s4, s6, s4
	s_addc_u32 s5, s7, s5
	v_mov_b32_e32 v3, s5
	v_add_co_u32_e32 v2, vcc, s4, v1
	s_ashr_i32 s7, s17, 31
	s_mov_b32 s6, s17
	v_addc_co_u32_e32 v3, vcc, 0, v3, vcc
	s_lshl_b64 s[6:7], s[6:7], 3
	v_add_co_u32_e32 v4, vcc, s6, v2
	s_add_i32 s6, s17, s17
	v_add_u32_e32 v8, s6, v0
	v_mov_b32_e32 v5, s7
	v_ashrrev_i32_e32 v9, 31, v8
	v_addc_co_u32_e32 v5, vcc, v3, v5, vcc
	v_lshlrev_b64 v[6:7], 3, v[8:9]
	v_add_u32_e32 v10, s17, v8
	v_mov_b32_e32 v9, s5
	v_add_co_u32_e32 v6, vcc, s4, v6
	v_ashrrev_i32_e32 v11, 31, v10
	v_addc_co_u32_e32 v7, vcc, v9, v7, vcc
	v_lshlrev_b64 v[8:9], 3, v[10:11]
	v_add_u32_e32 v12, s17, v10
	v_mov_b32_e32 v11, s5
	v_add_co_u32_e32 v8, vcc, s4, v8
	;; [unrolled: 6-line block ×25, first 2 shown]
	v_ashrrev_i32_e32 v59, 31, v58
	global_load_dwordx2 v[60:61], v1, s[4:5]
	v_addc_co_u32_e32 v55, vcc, v57, v55, vcc
	v_lshlrev_b64 v[56:57], 3, v[58:59]
	v_mov_b32_e32 v59, s5
	v_add_co_u32_e32 v56, vcc, s4, v56
	global_load_dwordx2 v[68:69], v[4:5], off
	global_load_dwordx2 v[66:67], v[6:7], off
	;; [unrolled: 1-line block ×24, first 2 shown]
	v_addc_co_u32_e32 v57, vcc, v59, v57, vcc
	global_load_dwordx2 v[112:113], v[52:53], off
	global_load_dwordx2 v[114:115], v[54:55], off
	;; [unrolled: 1-line block ×3, first 2 shown]
	v_add_u32_e32 v58, s17, v58
	v_ashrrev_i32_e32 v59, 31, v58
	v_lshlrev_b64 v[58:59], 3, v[58:59]
	v_mov_b32_e32 v102, s5
	v_add_co_u32_e32 v58, vcc, s4, v58
	v_addc_co_u32_e32 v59, vcc, v102, v59, vcc
	global_load_dwordx2 v[118:119], v[58:59], off
	s_waitcnt vmcnt(28)
	buffer_store_dword v61, off, s[0:3], 0 offset:4
	buffer_store_dword v60, off, s[0:3], 0
	s_cmpk_lg_i32 s13, 0x84
	v_mov_b32_e32 v60, 0
	v_mov_b32_e32 v102, 0
	s_cselect_b64 s[8:9], -1, 0
	s_cmpk_eq_i32 s13, 0x84
	v_mov_b32_e32 v61, 0xbff00000
	s_waitcnt vmcnt(29)
	buffer_store_dword v69, off, s[0:3], 0 offset:12
	buffer_store_dword v68, off, s[0:3], 0 offset:8
	s_waitcnt vmcnt(30)
	buffer_store_dword v67, off, s[0:3], 0 offset:20
	buffer_store_dword v66, off, s[0:3], 0 offset:16
	;; [unrolled: 3-line block ×28, first 2 shown]
	s_cbranch_scc1 .LBB28_3
; %bb.2:
	v_lshl_add_u32 v70, v0, 3, v102
	buffer_load_dword v60, v70, s[0:3], 0 offen
	buffer_load_dword v61, v70, s[0:3], 0 offen offset:4
	s_waitcnt vmcnt(0)
	v_div_scale_f64 v[62:63], s[4:5], v[60:61], v[60:61], 1.0
	v_rcp_f64_e32 v[64:65], v[62:63]
	v_div_scale_f64 v[66:67], vcc, 1.0, v[60:61], 1.0
	v_fma_f64 v[68:69], -v[62:63], v[64:65], 1.0
	v_fmac_f64_e32 v[64:65], v[64:65], v[68:69]
	v_fma_f64 v[68:69], -v[62:63], v[64:65], 1.0
	v_fmac_f64_e32 v[64:65], v[64:65], v[68:69]
	v_mul_f64 v[68:69], v[66:67], v[64:65]
	v_fma_f64 v[62:63], -v[62:63], v[68:69], v[66:67]
	v_div_fmas_f64 v[62:63], v[62:63], v[64:65], v[68:69]
	v_div_fixup_f64 v[60:61], v[62:63], v[60:61], 1.0
	buffer_store_dword v60, v70, s[0:3], 0 offen
	buffer_store_dword v61, v70, s[0:3], 0 offen offset:4
	v_xor_b32_e32 v61, 0x80000000, v61
.LBB28_3:
	s_cmpk_eq_i32 s12, 0x79
	v_add_u32_e32 v62, 0xf0, v1
	v_add_u32_e32 v63, 0, v1
	s_mov_b64 s[4:5], -1
	ds_write_b64 v1, v[60:61]
	s_cbranch_scc1 .LBB28_277
; %bb.4:
	buffer_load_dword v60, off, s[0:3], 0 offset:216
	buffer_load_dword v61, off, s[0:3], 0 offset:220
	v_cmp_eq_u32_e64 s[4:5], 28, v0
	s_waitcnt vmcnt(0)
	ds_write_b64 v62, v[60:61]
	s_waitcnt lgkmcnt(0)
	; wave barrier
	s_waitcnt lgkmcnt(0)
	s_and_saveexec_b64 s[6:7], s[4:5]
	s_cbranch_execz .LBB28_10
; %bb.5:
	s_and_b64 vcc, exec, s[8:9]
	s_cbranch_vccz .LBB28_7
; %bb.6:
	buffer_load_dword v60, v63, s[0:3], 0 offen
	buffer_load_dword v61, v63, s[0:3], 0 offen offset:4
	ds_read_b64 v[64:65], v62
	s_waitcnt vmcnt(0) lgkmcnt(0)
	v_mul_f64 v[60:61], v[60:61], v[64:65]
	s_cbranch_execz .LBB28_8
	s_branch .LBB28_9
.LBB28_7:
                                        ; implicit-def: $vgpr60_vgpr61
.LBB28_8:
	ds_read_b64 v[60:61], v62
.LBB28_9:
	v_mov_b32_e32 v64, 0
	ds_read_b64 v[64:65], v64 offset:216
	s_waitcnt lgkmcnt(0)
	v_mul_f64 v[60:61], v[60:61], v[64:65]
	buffer_store_dword v61, off, s[0:3], 0 offset:220
	buffer_store_dword v60, off, s[0:3], 0 offset:216
.LBB28_10:
	s_or_b64 exec, exec, s[6:7]
	buffer_load_dword v60, off, s[0:3], 0 offset:208
	buffer_load_dword v61, off, s[0:3], 0 offset:212
	v_or_b32_e32 v64, 8, v102
	v_add_u32_e32 v65, 16, v102
	v_add_u32_e32 v66, 24, v102
	;; [unrolled: 1-line block ×25, first 2 shown]
	v_cmp_lt_u32_e64 s[6:7], 26, v0
	s_waitcnt vmcnt(0)
	ds_write_b64 v62, v[60:61]
	s_waitcnt lgkmcnt(0)
	; wave barrier
	s_waitcnt lgkmcnt(0)
	s_and_saveexec_b64 s[10:11], s[6:7]
	s_cbranch_execz .LBB28_16
; %bb.11:
	s_andn2_b64 vcc, exec, s[8:9]
	s_cbranch_vccnz .LBB28_13
; %bb.12:
	buffer_load_dword v60, v63, s[0:3], 0 offen
	buffer_load_dword v61, v63, s[0:3], 0 offen offset:4
	ds_read_b64 v[90:91], v62
	s_waitcnt vmcnt(0) lgkmcnt(0)
	v_mul_f64 v[60:61], v[60:61], v[90:91]
	s_cbranch_execz .LBB28_14
	s_branch .LBB28_15
.LBB28_13:
                                        ; implicit-def: $vgpr60_vgpr61
.LBB28_14:
	ds_read_b64 v[60:61], v62
.LBB28_15:
	buffer_load_dword v94, off, s[0:3], 0 offset:216
	buffer_load_dword v95, off, s[0:3], 0 offset:220
	v_mov_b32_e32 v90, 0
	ds_read2_b64 v[90:93], v90 offset0:26 offset1:57
	s_waitcnt vmcnt(0) lgkmcnt(0)
	v_fma_f64 v[92:93], v[94:95], v[92:93], v[60:61]
	v_cndmask_b32_e64 v61, v61, v93, s[4:5]
	v_cndmask_b32_e64 v60, v60, v92, s[4:5]
	v_mul_f64 v[60:61], v[60:61], v[90:91]
	buffer_store_dword v61, off, s[0:3], 0 offset:212
	buffer_store_dword v60, off, s[0:3], 0 offset:208
.LBB28_16:
	s_or_b64 exec, exec, s[10:11]
	buffer_load_dword v60, off, s[0:3], 0 offset:200
	buffer_load_dword v61, off, s[0:3], 0 offset:204
	v_cmp_lt_u32_e64 s[4:5], 25, v0
	s_waitcnt vmcnt(0)
	ds_write_b64 v62, v[60:61]
	s_waitcnt lgkmcnt(0)
	; wave barrier
	s_waitcnt lgkmcnt(0)
	s_and_saveexec_b64 s[10:11], s[4:5]
	s_cbranch_execz .LBB28_26
; %bb.17:
	s_andn2_b64 vcc, exec, s[8:9]
	s_cbranch_vccnz .LBB28_19
; %bb.18:
	buffer_load_dword v60, v63, s[0:3], 0 offen
	buffer_load_dword v61, v63, s[0:3], 0 offen offset:4
	ds_read_b64 v[90:91], v62
	s_waitcnt vmcnt(0) lgkmcnt(0)
	v_mul_f64 v[60:61], v[60:61], v[90:91]
	s_cbranch_execz .LBB28_20
	s_branch .LBB28_21
.LBB28_19:
                                        ; implicit-def: $vgpr60_vgpr61
.LBB28_20:
	ds_read_b64 v[60:61], v62
.LBB28_21:
	s_and_saveexec_b64 s[12:13], s[6:7]
	s_cbranch_execz .LBB28_25
; %bb.22:
	v_subrev_u32_e32 v90, 26, v0
	s_movk_i32 s14, 0x1c0
	s_mov_b64 s[6:7], 0
.LBB28_23:                              ; =>This Inner Loop Header: Depth=1
	buffer_load_dword v92, v89, s[0:3], 0 offen
	buffer_load_dword v93, v89, s[0:3], 0 offen offset:4
	v_mov_b32_e32 v91, s14
	ds_read_b64 v[94:95], v91
	v_add_u32_e32 v90, -1, v90
	s_add_i32 s14, s14, 8
	v_cmp_eq_u32_e32 vcc, 0, v90
	v_add_u32_e32 v89, 8, v89
	s_or_b64 s[6:7], vcc, s[6:7]
	s_waitcnt vmcnt(0) lgkmcnt(0)
	v_fmac_f64_e32 v[60:61], v[92:93], v[94:95]
	s_andn2_b64 exec, exec, s[6:7]
	s_cbranch_execnz .LBB28_23
; %bb.24:
	s_or_b64 exec, exec, s[6:7]
.LBB28_25:
	s_or_b64 exec, exec, s[12:13]
	v_mov_b32_e32 v89, 0
	ds_read_b64 v[90:91], v89 offset:200
	s_waitcnt lgkmcnt(0)
	v_mul_f64 v[60:61], v[60:61], v[90:91]
	buffer_store_dword v61, off, s[0:3], 0 offset:204
	buffer_store_dword v60, off, s[0:3], 0 offset:200
.LBB28_26:
	s_or_b64 exec, exec, s[10:11]
	buffer_load_dword v60, off, s[0:3], 0 offset:192
	buffer_load_dword v61, off, s[0:3], 0 offset:196
	v_cmp_lt_u32_e64 s[6:7], 24, v0
	s_waitcnt vmcnt(0)
	ds_write_b64 v62, v[60:61]
	s_waitcnt lgkmcnt(0)
	; wave barrier
	s_waitcnt lgkmcnt(0)
	s_and_saveexec_b64 s[10:11], s[6:7]
	s_cbranch_execz .LBB28_36
; %bb.27:
	s_andn2_b64 vcc, exec, s[8:9]
	s_cbranch_vccnz .LBB28_29
; %bb.28:
	buffer_load_dword v60, v63, s[0:3], 0 offen
	buffer_load_dword v61, v63, s[0:3], 0 offen offset:4
	ds_read_b64 v[90:91], v62
	s_waitcnt vmcnt(0) lgkmcnt(0)
	v_mul_f64 v[60:61], v[60:61], v[90:91]
	s_cbranch_execz .LBB28_30
	s_branch .LBB28_31
.LBB28_29:
                                        ; implicit-def: $vgpr60_vgpr61
.LBB28_30:
	ds_read_b64 v[60:61], v62
.LBB28_31:
	s_and_saveexec_b64 s[12:13], s[4:5]
	s_cbranch_execz .LBB28_35
; %bb.32:
	v_subrev_u32_e32 v89, 25, v0
	s_movk_i32 s14, 0x1b8
	s_mov_b64 s[4:5], 0
.LBB28_33:                              ; =>This Inner Loop Header: Depth=1
	buffer_load_dword v90, v88, s[0:3], 0 offen
	buffer_load_dword v91, v88, s[0:3], 0 offen offset:4
	v_mov_b32_e32 v92, s14
	ds_read_b64 v[92:93], v92
	v_add_u32_e32 v89, -1, v89
	s_add_i32 s14, s14, 8
	v_cmp_eq_u32_e32 vcc, 0, v89
	v_add_u32_e32 v88, 8, v88
	s_or_b64 s[4:5], vcc, s[4:5]
	s_waitcnt vmcnt(0) lgkmcnt(0)
	v_fmac_f64_e32 v[60:61], v[90:91], v[92:93]
	s_andn2_b64 exec, exec, s[4:5]
	s_cbranch_execnz .LBB28_33
; %bb.34:
	s_or_b64 exec, exec, s[4:5]
.LBB28_35:
	s_or_b64 exec, exec, s[12:13]
	v_mov_b32_e32 v88, 0
	ds_read_b64 v[88:89], v88 offset:192
	s_waitcnt lgkmcnt(0)
	v_mul_f64 v[60:61], v[60:61], v[88:89]
	buffer_store_dword v61, off, s[0:3], 0 offset:196
	buffer_store_dword v60, off, s[0:3], 0 offset:192
.LBB28_36:
	;; [unrolled: 58-line block ×8, first 2 shown]
	s_or_b64 exec, exec, s[10:11]
	buffer_load_dword v60, off, s[0:3], 0 offset:136
	buffer_load_dword v61, off, s[0:3], 0 offset:140
	v_cmp_lt_u32_e64 s[4:5], 17, v0
	s_waitcnt vmcnt(0)
	ds_write_b64 v62, v[60:61]
	s_waitcnt lgkmcnt(0)
	; wave barrier
	s_waitcnt lgkmcnt(0)
	s_and_saveexec_b64 s[10:11], s[4:5]
	s_cbranch_execz .LBB28_106
; %bb.97:
	s_andn2_b64 vcc, exec, s[8:9]
	s_cbranch_vccnz .LBB28_99
; %bb.98:
	buffer_load_dword v60, v63, s[0:3], 0 offen
	buffer_load_dword v61, v63, s[0:3], 0 offen offset:4
	ds_read_b64 v[82:83], v62
	s_waitcnt vmcnt(0) lgkmcnt(0)
	v_mul_f64 v[60:61], v[60:61], v[82:83]
	s_cbranch_execz .LBB28_100
	s_branch .LBB28_101
.LBB28_99:
                                        ; implicit-def: $vgpr60_vgpr61
.LBB28_100:
	ds_read_b64 v[60:61], v62
.LBB28_101:
	s_and_saveexec_b64 s[12:13], s[6:7]
	s_cbranch_execz .LBB28_105
; %bb.102:
	v_subrev_u32_e32 v82, 18, v0
	s_movk_i32 s14, 0x180
	s_mov_b64 s[6:7], 0
.LBB28_103:                             ; =>This Inner Loop Header: Depth=1
	buffer_load_dword v84, v81, s[0:3], 0 offen
	buffer_load_dword v85, v81, s[0:3], 0 offen offset:4
	v_mov_b32_e32 v83, s14
	ds_read_b64 v[86:87], v83
	v_add_u32_e32 v82, -1, v82
	s_add_i32 s14, s14, 8
	v_cmp_eq_u32_e32 vcc, 0, v82
	v_add_u32_e32 v81, 8, v81
	s_or_b64 s[6:7], vcc, s[6:7]
	s_waitcnt vmcnt(0) lgkmcnt(0)
	v_fmac_f64_e32 v[60:61], v[84:85], v[86:87]
	s_andn2_b64 exec, exec, s[6:7]
	s_cbranch_execnz .LBB28_103
; %bb.104:
	s_or_b64 exec, exec, s[6:7]
.LBB28_105:
	s_or_b64 exec, exec, s[12:13]
	v_mov_b32_e32 v81, 0
	ds_read_b64 v[82:83], v81 offset:136
	s_waitcnt lgkmcnt(0)
	v_mul_f64 v[60:61], v[60:61], v[82:83]
	buffer_store_dword v61, off, s[0:3], 0 offset:140
	buffer_store_dword v60, off, s[0:3], 0 offset:136
.LBB28_106:
	s_or_b64 exec, exec, s[10:11]
	buffer_load_dword v60, off, s[0:3], 0 offset:128
	buffer_load_dword v61, off, s[0:3], 0 offset:132
	v_cmp_lt_u32_e64 s[6:7], 16, v0
	s_waitcnt vmcnt(0)
	ds_write_b64 v62, v[60:61]
	s_waitcnt lgkmcnt(0)
	; wave barrier
	s_waitcnt lgkmcnt(0)
	s_and_saveexec_b64 s[10:11], s[6:7]
	s_cbranch_execz .LBB28_116
; %bb.107:
	s_andn2_b64 vcc, exec, s[8:9]
	s_cbranch_vccnz .LBB28_109
; %bb.108:
	buffer_load_dword v60, v63, s[0:3], 0 offen
	buffer_load_dword v61, v63, s[0:3], 0 offen offset:4
	ds_read_b64 v[82:83], v62
	s_waitcnt vmcnt(0) lgkmcnt(0)
	v_mul_f64 v[60:61], v[60:61], v[82:83]
	s_cbranch_execz .LBB28_110
	s_branch .LBB28_111
.LBB28_109:
                                        ; implicit-def: $vgpr60_vgpr61
.LBB28_110:
	ds_read_b64 v[60:61], v62
.LBB28_111:
	s_and_saveexec_b64 s[12:13], s[4:5]
	s_cbranch_execz .LBB28_115
; %bb.112:
	v_subrev_u32_e32 v81, 17, v0
	s_movk_i32 s14, 0x178
	s_mov_b64 s[4:5], 0
.LBB28_113:                             ; =>This Inner Loop Header: Depth=1
	buffer_load_dword v82, v80, s[0:3], 0 offen
	buffer_load_dword v83, v80, s[0:3], 0 offen offset:4
	v_mov_b32_e32 v84, s14
	ds_read_b64 v[84:85], v84
	v_add_u32_e32 v81, -1, v81
	s_add_i32 s14, s14, 8
	v_cmp_eq_u32_e32 vcc, 0, v81
	v_add_u32_e32 v80, 8, v80
	s_or_b64 s[4:5], vcc, s[4:5]
	s_waitcnt vmcnt(0) lgkmcnt(0)
	v_fmac_f64_e32 v[60:61], v[82:83], v[84:85]
	s_andn2_b64 exec, exec, s[4:5]
	s_cbranch_execnz .LBB28_113
; %bb.114:
	s_or_b64 exec, exec, s[4:5]
.LBB28_115:
	s_or_b64 exec, exec, s[12:13]
	v_mov_b32_e32 v80, 0
	ds_read_b64 v[80:81], v80 offset:128
	s_waitcnt lgkmcnt(0)
	v_mul_f64 v[60:61], v[60:61], v[80:81]
	buffer_store_dword v61, off, s[0:3], 0 offset:132
	buffer_store_dword v60, off, s[0:3], 0 offset:128
.LBB28_116:
	s_or_b64 exec, exec, s[10:11]
	buffer_load_dword v60, off, s[0:3], 0 offset:120
	buffer_load_dword v61, off, s[0:3], 0 offset:124
	v_cmp_lt_u32_e64 s[4:5], 15, v0
	s_waitcnt vmcnt(0)
	ds_write_b64 v62, v[60:61]
	s_waitcnt lgkmcnt(0)
	; wave barrier
	s_waitcnt lgkmcnt(0)
	s_and_saveexec_b64 s[10:11], s[4:5]
	s_cbranch_execz .LBB28_126
; %bb.117:
	s_andn2_b64 vcc, exec, s[8:9]
	s_cbranch_vccnz .LBB28_119
; %bb.118:
	buffer_load_dword v60, v63, s[0:3], 0 offen
	buffer_load_dword v61, v63, s[0:3], 0 offen offset:4
	ds_read_b64 v[80:81], v62
	s_waitcnt vmcnt(0) lgkmcnt(0)
	v_mul_f64 v[60:61], v[60:61], v[80:81]
	s_cbranch_execz .LBB28_120
	s_branch .LBB28_121
.LBB28_119:
                                        ; implicit-def: $vgpr60_vgpr61
.LBB28_120:
	ds_read_b64 v[60:61], v62
.LBB28_121:
	s_and_saveexec_b64 s[12:13], s[6:7]
	s_cbranch_execz .LBB28_125
; %bb.122:
	v_add_u32_e32 v80, -16, v0
	s_movk_i32 s14, 0x170
	s_mov_b64 s[6:7], 0
.LBB28_123:                             ; =>This Inner Loop Header: Depth=1
	buffer_load_dword v82, v79, s[0:3], 0 offen
	buffer_load_dword v83, v79, s[0:3], 0 offen offset:4
	v_mov_b32_e32 v81, s14
	ds_read_b64 v[84:85], v81
	v_add_u32_e32 v80, -1, v80
	s_add_i32 s14, s14, 8
	v_cmp_eq_u32_e32 vcc, 0, v80
	v_add_u32_e32 v79, 8, v79
	s_or_b64 s[6:7], vcc, s[6:7]
	s_waitcnt vmcnt(0) lgkmcnt(0)
	v_fmac_f64_e32 v[60:61], v[82:83], v[84:85]
	s_andn2_b64 exec, exec, s[6:7]
	s_cbranch_execnz .LBB28_123
; %bb.124:
	s_or_b64 exec, exec, s[6:7]
.LBB28_125:
	s_or_b64 exec, exec, s[12:13]
	v_mov_b32_e32 v79, 0
	ds_read_b64 v[80:81], v79 offset:120
	s_waitcnt lgkmcnt(0)
	v_mul_f64 v[60:61], v[60:61], v[80:81]
	buffer_store_dword v61, off, s[0:3], 0 offset:124
	buffer_store_dword v60, off, s[0:3], 0 offset:120
.LBB28_126:
	s_or_b64 exec, exec, s[10:11]
	buffer_load_dword v60, off, s[0:3], 0 offset:112
	buffer_load_dword v61, off, s[0:3], 0 offset:116
	v_cmp_lt_u32_e64 s[6:7], 14, v0
	s_waitcnt vmcnt(0)
	ds_write_b64 v62, v[60:61]
	s_waitcnt lgkmcnt(0)
	; wave barrier
	s_waitcnt lgkmcnt(0)
	s_and_saveexec_b64 s[10:11], s[6:7]
	s_cbranch_execz .LBB28_136
; %bb.127:
	s_andn2_b64 vcc, exec, s[8:9]
	s_cbranch_vccnz .LBB28_129
; %bb.128:
	buffer_load_dword v60, v63, s[0:3], 0 offen
	buffer_load_dword v61, v63, s[0:3], 0 offen offset:4
	ds_read_b64 v[80:81], v62
	s_waitcnt vmcnt(0) lgkmcnt(0)
	v_mul_f64 v[60:61], v[60:61], v[80:81]
	s_cbranch_execz .LBB28_130
	s_branch .LBB28_131
.LBB28_129:
                                        ; implicit-def: $vgpr60_vgpr61
.LBB28_130:
	ds_read_b64 v[60:61], v62
.LBB28_131:
	s_and_saveexec_b64 s[12:13], s[4:5]
	s_cbranch_execz .LBB28_135
; %bb.132:
	v_add_u32_e32 v79, -15, v0
	s_movk_i32 s14, 0x168
	s_mov_b64 s[4:5], 0
.LBB28_133:                             ; =>This Inner Loop Header: Depth=1
	buffer_load_dword v80, v78, s[0:3], 0 offen
	buffer_load_dword v81, v78, s[0:3], 0 offen offset:4
	v_mov_b32_e32 v82, s14
	ds_read_b64 v[82:83], v82
	v_add_u32_e32 v79, -1, v79
	s_add_i32 s14, s14, 8
	v_cmp_eq_u32_e32 vcc, 0, v79
	v_add_u32_e32 v78, 8, v78
	s_or_b64 s[4:5], vcc, s[4:5]
	s_waitcnt vmcnt(0) lgkmcnt(0)
	v_fmac_f64_e32 v[60:61], v[80:81], v[82:83]
	s_andn2_b64 exec, exec, s[4:5]
	s_cbranch_execnz .LBB28_133
; %bb.134:
	s_or_b64 exec, exec, s[4:5]
.LBB28_135:
	s_or_b64 exec, exec, s[12:13]
	v_mov_b32_e32 v78, 0
	ds_read_b64 v[78:79], v78 offset:112
	s_waitcnt lgkmcnt(0)
	v_mul_f64 v[60:61], v[60:61], v[78:79]
	buffer_store_dword v61, off, s[0:3], 0 offset:116
	buffer_store_dword v60, off, s[0:3], 0 offset:112
.LBB28_136:
	s_or_b64 exec, exec, s[10:11]
	buffer_load_dword v60, off, s[0:3], 0 offset:104
	buffer_load_dword v61, off, s[0:3], 0 offset:108
	v_cmp_lt_u32_e64 s[4:5], 13, v0
	s_waitcnt vmcnt(0)
	ds_write_b64 v62, v[60:61]
	s_waitcnt lgkmcnt(0)
	; wave barrier
	s_waitcnt lgkmcnt(0)
	s_and_saveexec_b64 s[10:11], s[4:5]
	s_cbranch_execz .LBB28_146
; %bb.137:
	s_andn2_b64 vcc, exec, s[8:9]
	s_cbranch_vccnz .LBB28_139
; %bb.138:
	buffer_load_dword v60, v63, s[0:3], 0 offen
	buffer_load_dword v61, v63, s[0:3], 0 offen offset:4
	ds_read_b64 v[78:79], v62
	s_waitcnt vmcnt(0) lgkmcnt(0)
	v_mul_f64 v[60:61], v[60:61], v[78:79]
	s_cbranch_execz .LBB28_140
	s_branch .LBB28_141
.LBB28_139:
                                        ; implicit-def: $vgpr60_vgpr61
.LBB28_140:
	ds_read_b64 v[60:61], v62
.LBB28_141:
	s_and_saveexec_b64 s[12:13], s[6:7]
	s_cbranch_execz .LBB28_145
; %bb.142:
	v_add_u32_e32 v78, -14, v0
	s_movk_i32 s14, 0x160
	s_mov_b64 s[6:7], 0
.LBB28_143:                             ; =>This Inner Loop Header: Depth=1
	buffer_load_dword v80, v77, s[0:3], 0 offen
	buffer_load_dword v81, v77, s[0:3], 0 offen offset:4
	v_mov_b32_e32 v79, s14
	ds_read_b64 v[82:83], v79
	v_add_u32_e32 v78, -1, v78
	s_add_i32 s14, s14, 8
	v_cmp_eq_u32_e32 vcc, 0, v78
	v_add_u32_e32 v77, 8, v77
	s_or_b64 s[6:7], vcc, s[6:7]
	s_waitcnt vmcnt(0) lgkmcnt(0)
	v_fmac_f64_e32 v[60:61], v[80:81], v[82:83]
	s_andn2_b64 exec, exec, s[6:7]
	s_cbranch_execnz .LBB28_143
; %bb.144:
	s_or_b64 exec, exec, s[6:7]
.LBB28_145:
	s_or_b64 exec, exec, s[12:13]
	v_mov_b32_e32 v77, 0
	ds_read_b64 v[78:79], v77 offset:104
	s_waitcnt lgkmcnt(0)
	v_mul_f64 v[60:61], v[60:61], v[78:79]
	buffer_store_dword v61, off, s[0:3], 0 offset:108
	buffer_store_dword v60, off, s[0:3], 0 offset:104
.LBB28_146:
	s_or_b64 exec, exec, s[10:11]
	buffer_load_dword v60, off, s[0:3], 0 offset:96
	buffer_load_dword v61, off, s[0:3], 0 offset:100
	v_cmp_lt_u32_e64 s[6:7], 12, v0
	s_waitcnt vmcnt(0)
	ds_write_b64 v62, v[60:61]
	s_waitcnt lgkmcnt(0)
	; wave barrier
	s_waitcnt lgkmcnt(0)
	s_and_saveexec_b64 s[10:11], s[6:7]
	s_cbranch_execz .LBB28_156
; %bb.147:
	s_andn2_b64 vcc, exec, s[8:9]
	s_cbranch_vccnz .LBB28_149
; %bb.148:
	buffer_load_dword v60, v63, s[0:3], 0 offen
	buffer_load_dword v61, v63, s[0:3], 0 offen offset:4
	ds_read_b64 v[78:79], v62
	s_waitcnt vmcnt(0) lgkmcnt(0)
	v_mul_f64 v[60:61], v[60:61], v[78:79]
	s_cbranch_execz .LBB28_150
	s_branch .LBB28_151
.LBB28_149:
                                        ; implicit-def: $vgpr60_vgpr61
.LBB28_150:
	ds_read_b64 v[60:61], v62
.LBB28_151:
	s_and_saveexec_b64 s[12:13], s[4:5]
	s_cbranch_execz .LBB28_155
; %bb.152:
	v_add_u32_e32 v77, -13, v0
	s_movk_i32 s14, 0x158
	s_mov_b64 s[4:5], 0
.LBB28_153:                             ; =>This Inner Loop Header: Depth=1
	buffer_load_dword v78, v76, s[0:3], 0 offen
	buffer_load_dword v79, v76, s[0:3], 0 offen offset:4
	v_mov_b32_e32 v80, s14
	ds_read_b64 v[80:81], v80
	v_add_u32_e32 v77, -1, v77
	s_add_i32 s14, s14, 8
	v_cmp_eq_u32_e32 vcc, 0, v77
	v_add_u32_e32 v76, 8, v76
	s_or_b64 s[4:5], vcc, s[4:5]
	s_waitcnt vmcnt(0) lgkmcnt(0)
	v_fmac_f64_e32 v[60:61], v[78:79], v[80:81]
	s_andn2_b64 exec, exec, s[4:5]
	s_cbranch_execnz .LBB28_153
; %bb.154:
	s_or_b64 exec, exec, s[4:5]
.LBB28_155:
	s_or_b64 exec, exec, s[12:13]
	v_mov_b32_e32 v76, 0
	ds_read_b64 v[76:77], v76 offset:96
	s_waitcnt lgkmcnt(0)
	v_mul_f64 v[60:61], v[60:61], v[76:77]
	buffer_store_dword v61, off, s[0:3], 0 offset:100
	buffer_store_dword v60, off, s[0:3], 0 offset:96
.LBB28_156:
	s_or_b64 exec, exec, s[10:11]
	buffer_load_dword v60, off, s[0:3], 0 offset:88
	buffer_load_dword v61, off, s[0:3], 0 offset:92
	v_cmp_lt_u32_e64 s[4:5], 11, v0
	s_waitcnt vmcnt(0)
	ds_write_b64 v62, v[60:61]
	s_waitcnt lgkmcnt(0)
	; wave barrier
	s_waitcnt lgkmcnt(0)
	s_and_saveexec_b64 s[10:11], s[4:5]
	s_cbranch_execz .LBB28_166
; %bb.157:
	s_andn2_b64 vcc, exec, s[8:9]
	s_cbranch_vccnz .LBB28_159
; %bb.158:
	buffer_load_dword v60, v63, s[0:3], 0 offen
	buffer_load_dword v61, v63, s[0:3], 0 offen offset:4
	ds_read_b64 v[76:77], v62
	s_waitcnt vmcnt(0) lgkmcnt(0)
	v_mul_f64 v[60:61], v[60:61], v[76:77]
	s_cbranch_execz .LBB28_160
	s_branch .LBB28_161
.LBB28_159:
                                        ; implicit-def: $vgpr60_vgpr61
.LBB28_160:
	ds_read_b64 v[60:61], v62
.LBB28_161:
	s_and_saveexec_b64 s[12:13], s[6:7]
	s_cbranch_execz .LBB28_165
; %bb.162:
	v_add_u32_e32 v76, -12, v0
	s_movk_i32 s14, 0x150
	s_mov_b64 s[6:7], 0
.LBB28_163:                             ; =>This Inner Loop Header: Depth=1
	buffer_load_dword v78, v75, s[0:3], 0 offen
	buffer_load_dword v79, v75, s[0:3], 0 offen offset:4
	v_mov_b32_e32 v77, s14
	ds_read_b64 v[80:81], v77
	v_add_u32_e32 v76, -1, v76
	s_add_i32 s14, s14, 8
	v_cmp_eq_u32_e32 vcc, 0, v76
	v_add_u32_e32 v75, 8, v75
	s_or_b64 s[6:7], vcc, s[6:7]
	s_waitcnt vmcnt(0) lgkmcnt(0)
	v_fmac_f64_e32 v[60:61], v[78:79], v[80:81]
	s_andn2_b64 exec, exec, s[6:7]
	s_cbranch_execnz .LBB28_163
; %bb.164:
	s_or_b64 exec, exec, s[6:7]
.LBB28_165:
	s_or_b64 exec, exec, s[12:13]
	v_mov_b32_e32 v75, 0
	ds_read_b64 v[76:77], v75 offset:88
	s_waitcnt lgkmcnt(0)
	v_mul_f64 v[60:61], v[60:61], v[76:77]
	buffer_store_dword v61, off, s[0:3], 0 offset:92
	buffer_store_dword v60, off, s[0:3], 0 offset:88
.LBB28_166:
	s_or_b64 exec, exec, s[10:11]
	buffer_load_dword v60, off, s[0:3], 0 offset:80
	buffer_load_dword v61, off, s[0:3], 0 offset:84
	v_cmp_lt_u32_e64 s[6:7], 10, v0
	s_waitcnt vmcnt(0)
	ds_write_b64 v62, v[60:61]
	s_waitcnt lgkmcnt(0)
	; wave barrier
	s_waitcnt lgkmcnt(0)
	s_and_saveexec_b64 s[10:11], s[6:7]
	s_cbranch_execz .LBB28_176
; %bb.167:
	s_andn2_b64 vcc, exec, s[8:9]
	s_cbranch_vccnz .LBB28_169
; %bb.168:
	buffer_load_dword v60, v63, s[0:3], 0 offen
	buffer_load_dword v61, v63, s[0:3], 0 offen offset:4
	ds_read_b64 v[76:77], v62
	s_waitcnt vmcnt(0) lgkmcnt(0)
	v_mul_f64 v[60:61], v[60:61], v[76:77]
	s_cbranch_execz .LBB28_170
	s_branch .LBB28_171
.LBB28_169:
                                        ; implicit-def: $vgpr60_vgpr61
.LBB28_170:
	ds_read_b64 v[60:61], v62
.LBB28_171:
	s_and_saveexec_b64 s[12:13], s[4:5]
	s_cbranch_execz .LBB28_175
; %bb.172:
	v_add_u32_e32 v75, -11, v0
	s_movk_i32 s14, 0x148
	s_mov_b64 s[4:5], 0
.LBB28_173:                             ; =>This Inner Loop Header: Depth=1
	buffer_load_dword v76, v74, s[0:3], 0 offen
	buffer_load_dword v77, v74, s[0:3], 0 offen offset:4
	v_mov_b32_e32 v78, s14
	ds_read_b64 v[78:79], v78
	v_add_u32_e32 v75, -1, v75
	s_add_i32 s14, s14, 8
	v_cmp_eq_u32_e32 vcc, 0, v75
	v_add_u32_e32 v74, 8, v74
	s_or_b64 s[4:5], vcc, s[4:5]
	s_waitcnt vmcnt(0) lgkmcnt(0)
	v_fmac_f64_e32 v[60:61], v[76:77], v[78:79]
	s_andn2_b64 exec, exec, s[4:5]
	s_cbranch_execnz .LBB28_173
; %bb.174:
	s_or_b64 exec, exec, s[4:5]
.LBB28_175:
	s_or_b64 exec, exec, s[12:13]
	v_mov_b32_e32 v74, 0
	ds_read_b64 v[74:75], v74 offset:80
	s_waitcnt lgkmcnt(0)
	v_mul_f64 v[60:61], v[60:61], v[74:75]
	buffer_store_dword v61, off, s[0:3], 0 offset:84
	buffer_store_dword v60, off, s[0:3], 0 offset:80
.LBB28_176:
	s_or_b64 exec, exec, s[10:11]
	buffer_load_dword v60, off, s[0:3], 0 offset:72
	buffer_load_dword v61, off, s[0:3], 0 offset:76
	v_cmp_lt_u32_e64 s[4:5], 9, v0
	s_waitcnt vmcnt(0)
	ds_write_b64 v62, v[60:61]
	s_waitcnt lgkmcnt(0)
	; wave barrier
	s_waitcnt lgkmcnt(0)
	s_and_saveexec_b64 s[10:11], s[4:5]
	s_cbranch_execz .LBB28_186
; %bb.177:
	s_andn2_b64 vcc, exec, s[8:9]
	s_cbranch_vccnz .LBB28_179
; %bb.178:
	buffer_load_dword v60, v63, s[0:3], 0 offen
	buffer_load_dword v61, v63, s[0:3], 0 offen offset:4
	ds_read_b64 v[74:75], v62
	s_waitcnt vmcnt(0) lgkmcnt(0)
	v_mul_f64 v[60:61], v[60:61], v[74:75]
	s_cbranch_execz .LBB28_180
	s_branch .LBB28_181
.LBB28_179:
                                        ; implicit-def: $vgpr60_vgpr61
.LBB28_180:
	ds_read_b64 v[60:61], v62
.LBB28_181:
	s_and_saveexec_b64 s[12:13], s[6:7]
	s_cbranch_execz .LBB28_185
; %bb.182:
	v_add_u32_e32 v74, -10, v0
	s_movk_i32 s14, 0x140
	s_mov_b64 s[6:7], 0
.LBB28_183:                             ; =>This Inner Loop Header: Depth=1
	buffer_load_dword v76, v73, s[0:3], 0 offen
	buffer_load_dword v77, v73, s[0:3], 0 offen offset:4
	v_mov_b32_e32 v75, s14
	ds_read_b64 v[78:79], v75
	v_add_u32_e32 v74, -1, v74
	s_add_i32 s14, s14, 8
	v_cmp_eq_u32_e32 vcc, 0, v74
	v_add_u32_e32 v73, 8, v73
	s_or_b64 s[6:7], vcc, s[6:7]
	s_waitcnt vmcnt(0) lgkmcnt(0)
	v_fmac_f64_e32 v[60:61], v[76:77], v[78:79]
	s_andn2_b64 exec, exec, s[6:7]
	s_cbranch_execnz .LBB28_183
; %bb.184:
	s_or_b64 exec, exec, s[6:7]
.LBB28_185:
	s_or_b64 exec, exec, s[12:13]
	v_mov_b32_e32 v73, 0
	ds_read_b64 v[74:75], v73 offset:72
	s_waitcnt lgkmcnt(0)
	v_mul_f64 v[60:61], v[60:61], v[74:75]
	buffer_store_dword v61, off, s[0:3], 0 offset:76
	buffer_store_dword v60, off, s[0:3], 0 offset:72
.LBB28_186:
	s_or_b64 exec, exec, s[10:11]
	buffer_load_dword v60, off, s[0:3], 0 offset:64
	buffer_load_dword v61, off, s[0:3], 0 offset:68
	v_cmp_lt_u32_e64 s[6:7], 8, v0
	s_waitcnt vmcnt(0)
	ds_write_b64 v62, v[60:61]
	s_waitcnt lgkmcnt(0)
	; wave barrier
	s_waitcnt lgkmcnt(0)
	s_and_saveexec_b64 s[10:11], s[6:7]
	s_cbranch_execz .LBB28_196
; %bb.187:
	s_andn2_b64 vcc, exec, s[8:9]
	s_cbranch_vccnz .LBB28_189
; %bb.188:
	buffer_load_dword v60, v63, s[0:3], 0 offen
	buffer_load_dword v61, v63, s[0:3], 0 offen offset:4
	ds_read_b64 v[74:75], v62
	s_waitcnt vmcnt(0) lgkmcnt(0)
	v_mul_f64 v[60:61], v[60:61], v[74:75]
	s_cbranch_execz .LBB28_190
	s_branch .LBB28_191
.LBB28_189:
                                        ; implicit-def: $vgpr60_vgpr61
.LBB28_190:
	ds_read_b64 v[60:61], v62
.LBB28_191:
	s_and_saveexec_b64 s[12:13], s[4:5]
	s_cbranch_execz .LBB28_195
; %bb.192:
	v_add_u32_e32 v73, -9, v0
	s_movk_i32 s14, 0x138
	s_mov_b64 s[4:5], 0
.LBB28_193:                             ; =>This Inner Loop Header: Depth=1
	buffer_load_dword v74, v72, s[0:3], 0 offen
	buffer_load_dword v75, v72, s[0:3], 0 offen offset:4
	v_mov_b32_e32 v76, s14
	ds_read_b64 v[76:77], v76
	v_add_u32_e32 v73, -1, v73
	s_add_i32 s14, s14, 8
	v_cmp_eq_u32_e32 vcc, 0, v73
	v_add_u32_e32 v72, 8, v72
	s_or_b64 s[4:5], vcc, s[4:5]
	s_waitcnt vmcnt(0) lgkmcnt(0)
	v_fmac_f64_e32 v[60:61], v[74:75], v[76:77]
	s_andn2_b64 exec, exec, s[4:5]
	s_cbranch_execnz .LBB28_193
; %bb.194:
	s_or_b64 exec, exec, s[4:5]
.LBB28_195:
	s_or_b64 exec, exec, s[12:13]
	v_mov_b32_e32 v72, 0
	ds_read_b64 v[72:73], v72 offset:64
	s_waitcnt lgkmcnt(0)
	v_mul_f64 v[60:61], v[60:61], v[72:73]
	buffer_store_dword v61, off, s[0:3], 0 offset:68
	buffer_store_dword v60, off, s[0:3], 0 offset:64
.LBB28_196:
	s_or_b64 exec, exec, s[10:11]
	buffer_load_dword v60, off, s[0:3], 0 offset:56
	buffer_load_dword v61, off, s[0:3], 0 offset:60
	v_cmp_lt_u32_e64 s[4:5], 7, v0
	s_waitcnt vmcnt(0)
	ds_write_b64 v62, v[60:61]
	s_waitcnt lgkmcnt(0)
	; wave barrier
	s_waitcnt lgkmcnt(0)
	s_and_saveexec_b64 s[10:11], s[4:5]
	s_cbranch_execz .LBB28_206
; %bb.197:
	s_andn2_b64 vcc, exec, s[8:9]
	s_cbranch_vccnz .LBB28_199
; %bb.198:
	buffer_load_dword v60, v63, s[0:3], 0 offen
	buffer_load_dword v61, v63, s[0:3], 0 offen offset:4
	ds_read_b64 v[72:73], v62
	s_waitcnt vmcnt(0) lgkmcnt(0)
	v_mul_f64 v[60:61], v[60:61], v[72:73]
	s_cbranch_execz .LBB28_200
	s_branch .LBB28_201
.LBB28_199:
                                        ; implicit-def: $vgpr60_vgpr61
.LBB28_200:
	ds_read_b64 v[60:61], v62
.LBB28_201:
	s_and_saveexec_b64 s[12:13], s[6:7]
	s_cbranch_execz .LBB28_205
; %bb.202:
	v_add_u32_e32 v72, -8, v0
	s_movk_i32 s14, 0x130
	s_mov_b64 s[6:7], 0
.LBB28_203:                             ; =>This Inner Loop Header: Depth=1
	buffer_load_dword v74, v71, s[0:3], 0 offen
	buffer_load_dword v75, v71, s[0:3], 0 offen offset:4
	v_mov_b32_e32 v73, s14
	ds_read_b64 v[76:77], v73
	v_add_u32_e32 v72, -1, v72
	s_add_i32 s14, s14, 8
	v_cmp_eq_u32_e32 vcc, 0, v72
	v_add_u32_e32 v71, 8, v71
	s_or_b64 s[6:7], vcc, s[6:7]
	s_waitcnt vmcnt(0) lgkmcnt(0)
	v_fmac_f64_e32 v[60:61], v[74:75], v[76:77]
	s_andn2_b64 exec, exec, s[6:7]
	s_cbranch_execnz .LBB28_203
; %bb.204:
	s_or_b64 exec, exec, s[6:7]
.LBB28_205:
	s_or_b64 exec, exec, s[12:13]
	v_mov_b32_e32 v71, 0
	ds_read_b64 v[72:73], v71 offset:56
	s_waitcnt lgkmcnt(0)
	v_mul_f64 v[60:61], v[60:61], v[72:73]
	buffer_store_dword v61, off, s[0:3], 0 offset:60
	buffer_store_dword v60, off, s[0:3], 0 offset:56
.LBB28_206:
	s_or_b64 exec, exec, s[10:11]
	buffer_load_dword v60, off, s[0:3], 0 offset:48
	buffer_load_dword v61, off, s[0:3], 0 offset:52
	v_cmp_lt_u32_e64 s[6:7], 6, v0
	s_waitcnt vmcnt(0)
	ds_write_b64 v62, v[60:61]
	s_waitcnt lgkmcnt(0)
	; wave barrier
	s_waitcnt lgkmcnt(0)
	s_and_saveexec_b64 s[10:11], s[6:7]
	s_cbranch_execz .LBB28_216
; %bb.207:
	s_andn2_b64 vcc, exec, s[8:9]
	s_cbranch_vccnz .LBB28_209
; %bb.208:
	buffer_load_dword v60, v63, s[0:3], 0 offen
	buffer_load_dword v61, v63, s[0:3], 0 offen offset:4
	ds_read_b64 v[72:73], v62
	s_waitcnt vmcnt(0) lgkmcnt(0)
	v_mul_f64 v[60:61], v[60:61], v[72:73]
	s_cbranch_execz .LBB28_210
	s_branch .LBB28_211
.LBB28_209:
                                        ; implicit-def: $vgpr60_vgpr61
.LBB28_210:
	ds_read_b64 v[60:61], v62
.LBB28_211:
	s_and_saveexec_b64 s[12:13], s[4:5]
	s_cbranch_execz .LBB28_215
; %bb.212:
	v_add_u32_e32 v71, -7, v0
	s_movk_i32 s14, 0x128
	s_mov_b64 s[4:5], 0
.LBB28_213:                             ; =>This Inner Loop Header: Depth=1
	buffer_load_dword v72, v70, s[0:3], 0 offen
	buffer_load_dword v73, v70, s[0:3], 0 offen offset:4
	v_mov_b32_e32 v74, s14
	ds_read_b64 v[74:75], v74
	v_add_u32_e32 v71, -1, v71
	s_add_i32 s14, s14, 8
	v_cmp_eq_u32_e32 vcc, 0, v71
	v_add_u32_e32 v70, 8, v70
	s_or_b64 s[4:5], vcc, s[4:5]
	s_waitcnt vmcnt(0) lgkmcnt(0)
	v_fmac_f64_e32 v[60:61], v[72:73], v[74:75]
	s_andn2_b64 exec, exec, s[4:5]
	s_cbranch_execnz .LBB28_213
; %bb.214:
	s_or_b64 exec, exec, s[4:5]
.LBB28_215:
	s_or_b64 exec, exec, s[12:13]
	v_mov_b32_e32 v70, 0
	ds_read_b64 v[70:71], v70 offset:48
	s_waitcnt lgkmcnt(0)
	v_mul_f64 v[60:61], v[60:61], v[70:71]
	buffer_store_dword v61, off, s[0:3], 0 offset:52
	buffer_store_dword v60, off, s[0:3], 0 offset:48
.LBB28_216:
	s_or_b64 exec, exec, s[10:11]
	buffer_load_dword v60, off, s[0:3], 0 offset:40
	buffer_load_dword v61, off, s[0:3], 0 offset:44
	v_cmp_lt_u32_e64 s[4:5], 5, v0
	s_waitcnt vmcnt(0)
	ds_write_b64 v62, v[60:61]
	s_waitcnt lgkmcnt(0)
	; wave barrier
	s_waitcnt lgkmcnt(0)
	s_and_saveexec_b64 s[10:11], s[4:5]
	s_cbranch_execz .LBB28_226
; %bb.217:
	s_andn2_b64 vcc, exec, s[8:9]
	s_cbranch_vccnz .LBB28_219
; %bb.218:
	buffer_load_dword v60, v63, s[0:3], 0 offen
	buffer_load_dword v61, v63, s[0:3], 0 offen offset:4
	ds_read_b64 v[70:71], v62
	s_waitcnt vmcnt(0) lgkmcnt(0)
	v_mul_f64 v[60:61], v[60:61], v[70:71]
	s_cbranch_execz .LBB28_220
	s_branch .LBB28_221
.LBB28_219:
                                        ; implicit-def: $vgpr60_vgpr61
.LBB28_220:
	ds_read_b64 v[60:61], v62
.LBB28_221:
	s_and_saveexec_b64 s[12:13], s[6:7]
	s_cbranch_execz .LBB28_225
; %bb.222:
	v_add_u32_e32 v70, -6, v0
	s_movk_i32 s14, 0x120
	s_mov_b64 s[6:7], 0
.LBB28_223:                             ; =>This Inner Loop Header: Depth=1
	buffer_load_dword v72, v69, s[0:3], 0 offen
	buffer_load_dword v73, v69, s[0:3], 0 offen offset:4
	v_mov_b32_e32 v71, s14
	ds_read_b64 v[74:75], v71
	v_add_u32_e32 v70, -1, v70
	s_add_i32 s14, s14, 8
	v_cmp_eq_u32_e32 vcc, 0, v70
	v_add_u32_e32 v69, 8, v69
	s_or_b64 s[6:7], vcc, s[6:7]
	s_waitcnt vmcnt(0) lgkmcnt(0)
	v_fmac_f64_e32 v[60:61], v[72:73], v[74:75]
	s_andn2_b64 exec, exec, s[6:7]
	s_cbranch_execnz .LBB28_223
; %bb.224:
	s_or_b64 exec, exec, s[6:7]
.LBB28_225:
	s_or_b64 exec, exec, s[12:13]
	v_mov_b32_e32 v69, 0
	ds_read_b64 v[70:71], v69 offset:40
	s_waitcnt lgkmcnt(0)
	v_mul_f64 v[60:61], v[60:61], v[70:71]
	buffer_store_dword v61, off, s[0:3], 0 offset:44
	buffer_store_dword v60, off, s[0:3], 0 offset:40
.LBB28_226:
	s_or_b64 exec, exec, s[10:11]
	buffer_load_dword v60, off, s[0:3], 0 offset:32
	buffer_load_dword v61, off, s[0:3], 0 offset:36
	v_cmp_lt_u32_e64 s[6:7], 4, v0
	s_waitcnt vmcnt(0)
	ds_write_b64 v62, v[60:61]
	s_waitcnt lgkmcnt(0)
	; wave barrier
	s_waitcnt lgkmcnt(0)
	s_and_saveexec_b64 s[10:11], s[6:7]
	s_cbranch_execz .LBB28_236
; %bb.227:
	s_andn2_b64 vcc, exec, s[8:9]
	s_cbranch_vccnz .LBB28_229
; %bb.228:
	buffer_load_dword v60, v63, s[0:3], 0 offen
	buffer_load_dword v61, v63, s[0:3], 0 offen offset:4
	ds_read_b64 v[70:71], v62
	s_waitcnt vmcnt(0) lgkmcnt(0)
	v_mul_f64 v[60:61], v[60:61], v[70:71]
	s_cbranch_execz .LBB28_230
	s_branch .LBB28_231
.LBB28_229:
                                        ; implicit-def: $vgpr60_vgpr61
.LBB28_230:
	ds_read_b64 v[60:61], v62
.LBB28_231:
	s_and_saveexec_b64 s[12:13], s[4:5]
	s_cbranch_execz .LBB28_235
; %bb.232:
	v_add_u32_e32 v69, -5, v0
	s_movk_i32 s14, 0x118
	s_mov_b64 s[4:5], 0
.LBB28_233:                             ; =>This Inner Loop Header: Depth=1
	buffer_load_dword v70, v68, s[0:3], 0 offen
	buffer_load_dword v71, v68, s[0:3], 0 offen offset:4
	v_mov_b32_e32 v72, s14
	ds_read_b64 v[72:73], v72
	v_add_u32_e32 v69, -1, v69
	s_add_i32 s14, s14, 8
	v_cmp_eq_u32_e32 vcc, 0, v69
	v_add_u32_e32 v68, 8, v68
	s_or_b64 s[4:5], vcc, s[4:5]
	s_waitcnt vmcnt(0) lgkmcnt(0)
	v_fmac_f64_e32 v[60:61], v[70:71], v[72:73]
	s_andn2_b64 exec, exec, s[4:5]
	s_cbranch_execnz .LBB28_233
; %bb.234:
	s_or_b64 exec, exec, s[4:5]
.LBB28_235:
	s_or_b64 exec, exec, s[12:13]
	v_mov_b32_e32 v68, 0
	ds_read_b64 v[68:69], v68 offset:32
	s_waitcnt lgkmcnt(0)
	v_mul_f64 v[60:61], v[60:61], v[68:69]
	buffer_store_dword v61, off, s[0:3], 0 offset:36
	buffer_store_dword v60, off, s[0:3], 0 offset:32
.LBB28_236:
	s_or_b64 exec, exec, s[10:11]
	buffer_load_dword v60, off, s[0:3], 0 offset:24
	buffer_load_dword v61, off, s[0:3], 0 offset:28
	v_cmp_lt_u32_e64 s[4:5], 3, v0
	s_waitcnt vmcnt(0)
	ds_write_b64 v62, v[60:61]
	s_waitcnt lgkmcnt(0)
	; wave barrier
	s_waitcnt lgkmcnt(0)
	s_and_saveexec_b64 s[10:11], s[4:5]
	s_cbranch_execz .LBB28_246
; %bb.237:
	s_andn2_b64 vcc, exec, s[8:9]
	s_cbranch_vccnz .LBB28_239
; %bb.238:
	buffer_load_dword v60, v63, s[0:3], 0 offen
	buffer_load_dword v61, v63, s[0:3], 0 offen offset:4
	ds_read_b64 v[68:69], v62
	s_waitcnt vmcnt(0) lgkmcnt(0)
	v_mul_f64 v[60:61], v[60:61], v[68:69]
	s_cbranch_execz .LBB28_240
	s_branch .LBB28_241
.LBB28_239:
                                        ; implicit-def: $vgpr60_vgpr61
.LBB28_240:
	ds_read_b64 v[60:61], v62
.LBB28_241:
	s_and_saveexec_b64 s[12:13], s[6:7]
	s_cbranch_execz .LBB28_245
; %bb.242:
	v_add_u32_e32 v68, -4, v0
	s_movk_i32 s14, 0x110
	s_mov_b64 s[6:7], 0
.LBB28_243:                             ; =>This Inner Loop Header: Depth=1
	buffer_load_dword v70, v67, s[0:3], 0 offen
	buffer_load_dword v71, v67, s[0:3], 0 offen offset:4
	v_mov_b32_e32 v69, s14
	ds_read_b64 v[72:73], v69
	v_add_u32_e32 v68, -1, v68
	s_add_i32 s14, s14, 8
	v_cmp_eq_u32_e32 vcc, 0, v68
	v_add_u32_e32 v67, 8, v67
	s_or_b64 s[6:7], vcc, s[6:7]
	s_waitcnt vmcnt(0) lgkmcnt(0)
	v_fmac_f64_e32 v[60:61], v[70:71], v[72:73]
	s_andn2_b64 exec, exec, s[6:7]
	s_cbranch_execnz .LBB28_243
; %bb.244:
	s_or_b64 exec, exec, s[6:7]
.LBB28_245:
	s_or_b64 exec, exec, s[12:13]
	v_mov_b32_e32 v67, 0
	ds_read_b64 v[68:69], v67 offset:24
	s_waitcnt lgkmcnt(0)
	v_mul_f64 v[60:61], v[60:61], v[68:69]
	buffer_store_dword v61, off, s[0:3], 0 offset:28
	buffer_store_dword v60, off, s[0:3], 0 offset:24
.LBB28_246:
	s_or_b64 exec, exec, s[10:11]
	buffer_load_dword v60, off, s[0:3], 0 offset:16
	buffer_load_dword v61, off, s[0:3], 0 offset:20
	v_cmp_lt_u32_e64 s[6:7], 2, v0
	s_waitcnt vmcnt(0)
	ds_write_b64 v62, v[60:61]
	s_waitcnt lgkmcnt(0)
	; wave barrier
	s_waitcnt lgkmcnt(0)
	s_and_saveexec_b64 s[10:11], s[6:7]
	s_cbranch_execz .LBB28_256
; %bb.247:
	s_andn2_b64 vcc, exec, s[8:9]
	s_cbranch_vccnz .LBB28_249
; %bb.248:
	buffer_load_dword v60, v63, s[0:3], 0 offen
	buffer_load_dword v61, v63, s[0:3], 0 offen offset:4
	ds_read_b64 v[68:69], v62
	s_waitcnt vmcnt(0) lgkmcnt(0)
	v_mul_f64 v[60:61], v[60:61], v[68:69]
	s_cbranch_execz .LBB28_250
	s_branch .LBB28_251
.LBB28_249:
                                        ; implicit-def: $vgpr60_vgpr61
.LBB28_250:
	ds_read_b64 v[60:61], v62
.LBB28_251:
	s_and_saveexec_b64 s[12:13], s[4:5]
	s_cbranch_execz .LBB28_255
; %bb.252:
	v_add_u32_e32 v67, -3, v0
	s_movk_i32 s14, 0x108
	s_mov_b64 s[4:5], 0
.LBB28_253:                             ; =>This Inner Loop Header: Depth=1
	buffer_load_dword v68, v66, s[0:3], 0 offen
	buffer_load_dword v69, v66, s[0:3], 0 offen offset:4
	v_mov_b32_e32 v70, s14
	ds_read_b64 v[70:71], v70
	v_add_u32_e32 v67, -1, v67
	s_add_i32 s14, s14, 8
	v_cmp_eq_u32_e32 vcc, 0, v67
	v_add_u32_e32 v66, 8, v66
	s_or_b64 s[4:5], vcc, s[4:5]
	s_waitcnt vmcnt(0) lgkmcnt(0)
	v_fmac_f64_e32 v[60:61], v[68:69], v[70:71]
	s_andn2_b64 exec, exec, s[4:5]
	s_cbranch_execnz .LBB28_253
; %bb.254:
	s_or_b64 exec, exec, s[4:5]
.LBB28_255:
	s_or_b64 exec, exec, s[12:13]
	v_mov_b32_e32 v66, 0
	ds_read_b64 v[66:67], v66 offset:16
	s_waitcnt lgkmcnt(0)
	v_mul_f64 v[60:61], v[60:61], v[66:67]
	buffer_store_dword v61, off, s[0:3], 0 offset:20
	buffer_store_dword v60, off, s[0:3], 0 offset:16
.LBB28_256:
	s_or_b64 exec, exec, s[10:11]
	buffer_load_dword v60, off, s[0:3], 0 offset:8
	buffer_load_dword v61, off, s[0:3], 0 offset:12
	v_cmp_lt_u32_e64 s[4:5], 1, v0
	s_waitcnt vmcnt(0)
	ds_write_b64 v62, v[60:61]
	s_waitcnt lgkmcnt(0)
	; wave barrier
	s_waitcnt lgkmcnt(0)
	s_and_saveexec_b64 s[10:11], s[4:5]
	s_cbranch_execz .LBB28_266
; %bb.257:
	s_andn2_b64 vcc, exec, s[8:9]
	s_cbranch_vccnz .LBB28_259
; %bb.258:
	buffer_load_dword v60, v63, s[0:3], 0 offen
	buffer_load_dword v61, v63, s[0:3], 0 offen offset:4
	ds_read_b64 v[66:67], v62
	s_waitcnt vmcnt(0) lgkmcnt(0)
	v_mul_f64 v[60:61], v[60:61], v[66:67]
	s_cbranch_execz .LBB28_260
	s_branch .LBB28_261
.LBB28_259:
                                        ; implicit-def: $vgpr60_vgpr61
.LBB28_260:
	ds_read_b64 v[60:61], v62
.LBB28_261:
	s_and_saveexec_b64 s[12:13], s[6:7]
	s_cbranch_execz .LBB28_265
; %bb.262:
	v_add_u32_e32 v66, -2, v0
	s_movk_i32 s14, 0x100
	s_mov_b64 s[6:7], 0
.LBB28_263:                             ; =>This Inner Loop Header: Depth=1
	buffer_load_dword v68, v65, s[0:3], 0 offen
	buffer_load_dword v69, v65, s[0:3], 0 offen offset:4
	v_mov_b32_e32 v67, s14
	ds_read_b64 v[70:71], v67
	v_add_u32_e32 v66, -1, v66
	s_add_i32 s14, s14, 8
	v_cmp_eq_u32_e32 vcc, 0, v66
	v_add_u32_e32 v65, 8, v65
	s_or_b64 s[6:7], vcc, s[6:7]
	s_waitcnt vmcnt(0) lgkmcnt(0)
	v_fmac_f64_e32 v[60:61], v[68:69], v[70:71]
	s_andn2_b64 exec, exec, s[6:7]
	s_cbranch_execnz .LBB28_263
; %bb.264:
	s_or_b64 exec, exec, s[6:7]
.LBB28_265:
	s_or_b64 exec, exec, s[12:13]
	v_mov_b32_e32 v65, 0
	ds_read_b64 v[66:67], v65 offset:8
	s_waitcnt lgkmcnt(0)
	v_mul_f64 v[60:61], v[60:61], v[66:67]
	buffer_store_dword v61, off, s[0:3], 0 offset:12
	buffer_store_dword v60, off, s[0:3], 0 offset:8
.LBB28_266:
	s_or_b64 exec, exec, s[10:11]
	buffer_load_dword v60, off, s[0:3], 0
	buffer_load_dword v61, off, s[0:3], 0 offset:4
	v_cmp_ne_u32_e32 vcc, 0, v0
	s_waitcnt vmcnt(0)
	ds_write_b64 v62, v[60:61]
	s_waitcnt lgkmcnt(0)
	; wave barrier
	s_waitcnt lgkmcnt(0)
	s_and_saveexec_b64 s[6:7], vcc
	s_cbranch_execz .LBB28_276
; %bb.267:
	s_andn2_b64 vcc, exec, s[8:9]
	s_cbranch_vccnz .LBB28_269
; %bb.268:
	buffer_load_dword v60, v63, s[0:3], 0 offen
	buffer_load_dword v61, v63, s[0:3], 0 offen offset:4
	ds_read_b64 v[66:67], v62
	s_waitcnt vmcnt(0) lgkmcnt(0)
	v_mul_f64 v[60:61], v[60:61], v[66:67]
	s_cbranch_execz .LBB28_270
	s_branch .LBB28_271
.LBB28_269:
                                        ; implicit-def: $vgpr60_vgpr61
.LBB28_270:
	ds_read_b64 v[60:61], v62
.LBB28_271:
	s_and_saveexec_b64 s[10:11], s[4:5]
	s_cbranch_execz .LBB28_275
; %bb.272:
	v_add_u32_e32 v65, -1, v0
	s_movk_i32 s12, 0xf8
	s_mov_b64 s[4:5], 0
.LBB28_273:                             ; =>This Inner Loop Header: Depth=1
	buffer_load_dword v66, v64, s[0:3], 0 offen
	buffer_load_dword v67, v64, s[0:3], 0 offen offset:4
	v_mov_b32_e32 v68, s12
	ds_read_b64 v[68:69], v68
	v_add_u32_e32 v65, -1, v65
	s_add_i32 s12, s12, 8
	v_cmp_eq_u32_e32 vcc, 0, v65
	v_add_u32_e32 v64, 8, v64
	s_or_b64 s[4:5], vcc, s[4:5]
	s_waitcnt vmcnt(0) lgkmcnt(0)
	v_fmac_f64_e32 v[60:61], v[66:67], v[68:69]
	s_andn2_b64 exec, exec, s[4:5]
	s_cbranch_execnz .LBB28_273
; %bb.274:
	s_or_b64 exec, exec, s[4:5]
.LBB28_275:
	s_or_b64 exec, exec, s[10:11]
	v_mov_b32_e32 v64, 0
	ds_read_b64 v[64:65], v64
	s_waitcnt lgkmcnt(0)
	v_mul_f64 v[60:61], v[60:61], v[64:65]
	buffer_store_dword v61, off, s[0:3], 0 offset:4
	buffer_store_dword v60, off, s[0:3], 0
.LBB28_276:
	s_or_b64 exec, exec, s[6:7]
	s_mov_b64 s[4:5], 0
.LBB28_277:
	s_and_b64 vcc, exec, s[4:5]
	s_cbranch_vccz .LBB28_551
; %bb.278:
	buffer_load_dword v60, off, s[0:3], 0 offset:8
	buffer_load_dword v61, off, s[0:3], 0 offset:12
	v_cmp_eq_u32_e64 s[6:7], 0, v0
	s_waitcnt vmcnt(0)
	ds_write_b64 v62, v[60:61]
	s_waitcnt lgkmcnt(0)
	; wave barrier
	s_waitcnt lgkmcnt(0)
	s_and_saveexec_b64 s[4:5], s[6:7]
	s_cbranch_execz .LBB28_284
; %bb.279:
	s_and_b64 vcc, exec, s[8:9]
	s_cbranch_vccz .LBB28_281
; %bb.280:
	buffer_load_dword v60, v63, s[0:3], 0 offen
	buffer_load_dword v61, v63, s[0:3], 0 offen offset:4
	ds_read_b64 v[64:65], v62
	s_waitcnt vmcnt(0) lgkmcnt(0)
	v_mul_f64 v[60:61], v[60:61], v[64:65]
	s_cbranch_execz .LBB28_282
	s_branch .LBB28_283
.LBB28_281:
                                        ; implicit-def: $vgpr60_vgpr61
.LBB28_282:
	ds_read_b64 v[60:61], v62
.LBB28_283:
	v_mov_b32_e32 v64, 0
	ds_read_b64 v[64:65], v64 offset:8
	s_waitcnt lgkmcnt(0)
	v_mul_f64 v[60:61], v[60:61], v[64:65]
	buffer_store_dword v61, off, s[0:3], 0 offset:12
	buffer_store_dword v60, off, s[0:3], 0 offset:8
.LBB28_284:
	s_or_b64 exec, exec, s[4:5]
	buffer_load_dword v60, off, s[0:3], 0 offset:16
	buffer_load_dword v61, off, s[0:3], 0 offset:20
	v_cndmask_b32_e64 v64, 0, 1, s[8:9]
	v_cmp_gt_u32_e32 vcc, 2, v0
	v_cmp_ne_u32_e64 s[4:5], 1, v64
	s_waitcnt vmcnt(0)
	ds_write_b64 v62, v[60:61]
	s_waitcnt lgkmcnt(0)
	; wave barrier
	s_waitcnt lgkmcnt(0)
	s_and_saveexec_b64 s[8:9], vcc
	s_cbranch_execz .LBB28_292
; %bb.285:
	s_and_b64 vcc, exec, s[4:5]
	s_cbranch_vccnz .LBB28_287
; %bb.286:
	buffer_load_dword v60, v63, s[0:3], 0 offen
	buffer_load_dword v61, v63, s[0:3], 0 offen offset:4
	ds_read_b64 v[64:65], v62
	s_waitcnt vmcnt(0) lgkmcnt(0)
	v_mul_f64 v[60:61], v[60:61], v[64:65]
	s_cbranch_execz .LBB28_288
	s_branch .LBB28_289
.LBB28_287:
                                        ; implicit-def: $vgpr60_vgpr61
.LBB28_288:
	ds_read_b64 v[60:61], v62
.LBB28_289:
	s_and_saveexec_b64 s[10:11], s[6:7]
	s_cbranch_execz .LBB28_291
; %bb.290:
	buffer_load_dword v64, v63, s[0:3], 0 offen offset:8
	buffer_load_dword v65, v63, s[0:3], 0 offen offset:12
	ds_read_b64 v[66:67], v62 offset:8
	s_waitcnt vmcnt(0) lgkmcnt(0)
	v_fmac_f64_e32 v[60:61], v[64:65], v[66:67]
.LBB28_291:
	s_or_b64 exec, exec, s[10:11]
	v_mov_b32_e32 v64, 0
	ds_read_b64 v[64:65], v64 offset:16
	s_waitcnt lgkmcnt(0)
	v_mul_f64 v[60:61], v[60:61], v[64:65]
	buffer_store_dword v61, off, s[0:3], 0 offset:20
	buffer_store_dword v60, off, s[0:3], 0 offset:16
.LBB28_292:
	s_or_b64 exec, exec, s[8:9]
	buffer_load_dword v60, off, s[0:3], 0 offset:24
	buffer_load_dword v61, off, s[0:3], 0 offset:28
	v_cmp_gt_u32_e32 vcc, 3, v0
	s_waitcnt vmcnt(0)
	ds_write_b64 v62, v[60:61]
	s_waitcnt lgkmcnt(0)
	; wave barrier
	s_waitcnt lgkmcnt(0)
	s_and_saveexec_b64 s[8:9], vcc
	s_cbranch_execz .LBB28_300
; %bb.293:
	s_and_b64 vcc, exec, s[4:5]
	s_cbranch_vccnz .LBB28_295
; %bb.294:
	buffer_load_dword v60, v63, s[0:3], 0 offen
	buffer_load_dword v61, v63, s[0:3], 0 offen offset:4
	ds_read_b64 v[64:65], v62
	s_waitcnt vmcnt(0) lgkmcnt(0)
	v_mul_f64 v[60:61], v[60:61], v[64:65]
	s_cbranch_execz .LBB28_296
	s_branch .LBB28_297
.LBB28_295:
                                        ; implicit-def: $vgpr60_vgpr61
.LBB28_296:
	ds_read_b64 v[60:61], v62
.LBB28_297:
	v_cmp_ne_u32_e32 vcc, 2, v0
	s_and_saveexec_b64 s[10:11], vcc
	s_cbranch_execz .LBB28_299
; %bb.298:
	buffer_load_dword v65, v63, s[0:3], 0 offen offset:12
	buffer_load_dword v66, off, s[0:3], 0 offset:16
	buffer_load_dword v64, v63, s[0:3], 0 offen offset:8
	buffer_load_dword v67, off, s[0:3], 0 offset:20
	v_mov_b32_e32 v70, 0
	ds_read_b64 v[68:69], v62 offset:8
	ds_read_b64 v[70:71], v70 offset:256
	s_waitcnt vmcnt(1) lgkmcnt(1)
	v_fmac_f64_e32 v[60:61], v[64:65], v[68:69]
	s_waitcnt vmcnt(0) lgkmcnt(0)
	v_fma_f64 v[64:65], v[66:67], v[70:71], v[60:61]
	v_cndmask_b32_e64 v61, v61, v65, s[6:7]
	v_cndmask_b32_e64 v60, v60, v64, s[6:7]
.LBB28_299:
	s_or_b64 exec, exec, s[10:11]
	v_mov_b32_e32 v64, 0
	ds_read_b64 v[64:65], v64 offset:24
	s_waitcnt lgkmcnt(0)
	v_mul_f64 v[60:61], v[60:61], v[64:65]
	buffer_store_dword v61, off, s[0:3], 0 offset:28
	buffer_store_dword v60, off, s[0:3], 0 offset:24
.LBB28_300:
	s_or_b64 exec, exec, s[8:9]
	buffer_load_dword v60, off, s[0:3], 0 offset:32
	buffer_load_dword v61, off, s[0:3], 0 offset:36
	v_cmp_gt_u32_e32 vcc, 4, v0
	s_waitcnt vmcnt(0)
	ds_write_b64 v62, v[60:61]
	s_waitcnt lgkmcnt(0)
	; wave barrier
	s_waitcnt lgkmcnt(0)
	s_and_saveexec_b64 s[6:7], vcc
	s_cbranch_execz .LBB28_310
; %bb.301:
	s_and_b64 vcc, exec, s[4:5]
	s_cbranch_vccnz .LBB28_303
; %bb.302:
	buffer_load_dword v60, v63, s[0:3], 0 offen
	buffer_load_dword v61, v63, s[0:3], 0 offen offset:4
	ds_read_b64 v[64:65], v62
	s_waitcnt vmcnt(0) lgkmcnt(0)
	v_mul_f64 v[60:61], v[60:61], v[64:65]
	s_cbranch_execz .LBB28_304
	s_branch .LBB28_305
.LBB28_303:
                                        ; implicit-def: $vgpr60_vgpr61
.LBB28_304:
	ds_read_b64 v[60:61], v62
.LBB28_305:
	v_cmp_ne_u32_e32 vcc, 3, v0
	s_and_saveexec_b64 s[8:9], vcc
	s_cbranch_execz .LBB28_309
; %bb.306:
	v_mov_b32_e32 v65, 0
	v_add_u32_e32 v64, 0xf8, v1
	v_add3_u32 v65, v1, v65, 8
	s_mov_b64 s[10:11], 0
	v_mov_b32_e32 v66, v0
.LBB28_307:                             ; =>This Inner Loop Header: Depth=1
	buffer_load_dword v68, v65, s[0:3], 0 offen
	buffer_load_dword v69, v65, s[0:3], 0 offen offset:4
	ds_read_b64 v[70:71], v64
	v_add_u32_e32 v66, 1, v66
	v_cmp_lt_u32_e32 vcc, 2, v66
	v_add_u32_e32 v64, 8, v64
	v_add_u32_e32 v65, 8, v65
	s_or_b64 s[10:11], vcc, s[10:11]
	s_waitcnt vmcnt(0) lgkmcnt(0)
	v_fmac_f64_e32 v[60:61], v[68:69], v[70:71]
	s_andn2_b64 exec, exec, s[10:11]
	s_cbranch_execnz .LBB28_307
; %bb.308:
	s_or_b64 exec, exec, s[10:11]
.LBB28_309:
	s_or_b64 exec, exec, s[8:9]
	v_mov_b32_e32 v64, 0
	ds_read_b64 v[64:65], v64 offset:32
	s_waitcnt lgkmcnt(0)
	v_mul_f64 v[60:61], v[60:61], v[64:65]
	buffer_store_dword v61, off, s[0:3], 0 offset:36
	buffer_store_dword v60, off, s[0:3], 0 offset:32
.LBB28_310:
	s_or_b64 exec, exec, s[6:7]
	buffer_load_dword v60, off, s[0:3], 0 offset:40
	buffer_load_dword v61, off, s[0:3], 0 offset:44
	v_cmp_gt_u32_e32 vcc, 5, v0
	s_waitcnt vmcnt(0)
	ds_write_b64 v62, v[60:61]
	s_waitcnt lgkmcnt(0)
	; wave barrier
	s_waitcnt lgkmcnt(0)
	s_and_saveexec_b64 s[6:7], vcc
	s_cbranch_execz .LBB28_320
; %bb.311:
	s_and_b64 vcc, exec, s[4:5]
	s_cbranch_vccnz .LBB28_313
; %bb.312:
	buffer_load_dword v60, v63, s[0:3], 0 offen
	buffer_load_dword v61, v63, s[0:3], 0 offen offset:4
	ds_read_b64 v[64:65], v62
	s_waitcnt vmcnt(0) lgkmcnt(0)
	v_mul_f64 v[60:61], v[60:61], v[64:65]
	s_cbranch_execz .LBB28_314
	s_branch .LBB28_315
.LBB28_313:
                                        ; implicit-def: $vgpr60_vgpr61
.LBB28_314:
	ds_read_b64 v[60:61], v62
.LBB28_315:
	v_cmp_ne_u32_e32 vcc, 4, v0
	s_and_saveexec_b64 s[8:9], vcc
	s_cbranch_execz .LBB28_319
; %bb.316:
	v_mov_b32_e32 v65, 0
	v_add_u32_e32 v64, 0xf8, v1
	v_add3_u32 v65, v1, v65, 8
	s_mov_b64 s[10:11], 0
	v_mov_b32_e32 v66, v0
.LBB28_317:                             ; =>This Inner Loop Header: Depth=1
	buffer_load_dword v68, v65, s[0:3], 0 offen
	buffer_load_dword v69, v65, s[0:3], 0 offen offset:4
	ds_read_b64 v[70:71], v64
	v_add_u32_e32 v66, 1, v66
	v_cmp_lt_u32_e32 vcc, 3, v66
	v_add_u32_e32 v64, 8, v64
	v_add_u32_e32 v65, 8, v65
	s_or_b64 s[10:11], vcc, s[10:11]
	s_waitcnt vmcnt(0) lgkmcnt(0)
	v_fmac_f64_e32 v[60:61], v[68:69], v[70:71]
	s_andn2_b64 exec, exec, s[10:11]
	s_cbranch_execnz .LBB28_317
; %bb.318:
	s_or_b64 exec, exec, s[10:11]
.LBB28_319:
	s_or_b64 exec, exec, s[8:9]
	v_mov_b32_e32 v64, 0
	ds_read_b64 v[64:65], v64 offset:40
	s_waitcnt lgkmcnt(0)
	v_mul_f64 v[60:61], v[60:61], v[64:65]
	buffer_store_dword v61, off, s[0:3], 0 offset:44
	buffer_store_dword v60, off, s[0:3], 0 offset:40
.LBB28_320:
	;; [unrolled: 60-line block ×23, first 2 shown]
	s_or_b64 exec, exec, s[6:7]
	buffer_load_dword v60, off, s[0:3], 0 offset:216
	buffer_load_dword v61, off, s[0:3], 0 offset:220
	v_cmp_gt_u32_e64 s[6:7], 27, v0
	s_waitcnt vmcnt(0)
	ds_write_b64 v62, v[60:61]
	s_waitcnt lgkmcnt(0)
	; wave barrier
	s_waitcnt lgkmcnt(0)
	s_and_saveexec_b64 s[8:9], s[6:7]
	s_cbranch_execz .LBB28_540
; %bb.531:
	s_and_b64 vcc, exec, s[4:5]
	s_cbranch_vccnz .LBB28_533
; %bb.532:
	buffer_load_dword v60, v63, s[0:3], 0 offen
	buffer_load_dword v61, v63, s[0:3], 0 offen offset:4
	ds_read_b64 v[64:65], v62
	s_waitcnt vmcnt(0) lgkmcnt(0)
	v_mul_f64 v[60:61], v[60:61], v[64:65]
	s_cbranch_execz .LBB28_534
	s_branch .LBB28_535
.LBB28_533:
                                        ; implicit-def: $vgpr60_vgpr61
.LBB28_534:
	ds_read_b64 v[60:61], v62
.LBB28_535:
	v_cmp_ne_u32_e32 vcc, 26, v0
	s_and_saveexec_b64 s[10:11], vcc
	s_cbranch_execz .LBB28_539
; %bb.536:
	v_mov_b32_e32 v65, 0
	v_add_u32_e32 v64, 0xf8, v1
	v_add3_u32 v65, v1, v65, 8
	s_mov_b64 s[12:13], 0
	v_mov_b32_e32 v66, v0
.LBB28_537:                             ; =>This Inner Loop Header: Depth=1
	buffer_load_dword v68, v65, s[0:3], 0 offen
	buffer_load_dword v69, v65, s[0:3], 0 offen offset:4
	ds_read_b64 v[70:71], v64
	v_add_u32_e32 v66, 1, v66
	v_cmp_lt_u32_e32 vcc, 25, v66
	v_add_u32_e32 v64, 8, v64
	v_add_u32_e32 v65, 8, v65
	s_or_b64 s[12:13], vcc, s[12:13]
	s_waitcnt vmcnt(0) lgkmcnt(0)
	v_fmac_f64_e32 v[60:61], v[68:69], v[70:71]
	s_andn2_b64 exec, exec, s[12:13]
	s_cbranch_execnz .LBB28_537
; %bb.538:
	s_or_b64 exec, exec, s[12:13]
.LBB28_539:
	s_or_b64 exec, exec, s[10:11]
	v_mov_b32_e32 v64, 0
	ds_read_b64 v[64:65], v64 offset:216
	s_waitcnt lgkmcnt(0)
	v_mul_f64 v[60:61], v[60:61], v[64:65]
	buffer_store_dword v61, off, s[0:3], 0 offset:220
	buffer_store_dword v60, off, s[0:3], 0 offset:216
.LBB28_540:
	s_or_b64 exec, exec, s[8:9]
	buffer_load_dword v60, off, s[0:3], 0 offset:224
	buffer_load_dword v61, off, s[0:3], 0 offset:228
	v_cmp_ne_u32_e32 vcc, 28, v0
	s_waitcnt vmcnt(0)
	ds_write_b64 v62, v[60:61]
	s_waitcnt lgkmcnt(0)
	; wave barrier
	s_waitcnt lgkmcnt(0)
	s_and_saveexec_b64 s[8:9], vcc
	s_cbranch_execz .LBB28_550
; %bb.541:
	s_and_b64 vcc, exec, s[4:5]
	s_cbranch_vccnz .LBB28_543
; %bb.542:
	buffer_load_dword v60, v63, s[0:3], 0 offen
	buffer_load_dword v61, v63, s[0:3], 0 offen offset:4
	ds_read_b64 v[64:65], v62
	s_waitcnt vmcnt(0) lgkmcnt(0)
	v_mul_f64 v[60:61], v[60:61], v[64:65]
	s_cbranch_execz .LBB28_544
	s_branch .LBB28_545
.LBB28_543:
                                        ; implicit-def: $vgpr60_vgpr61
.LBB28_544:
	ds_read_b64 v[60:61], v62
.LBB28_545:
	s_and_saveexec_b64 s[4:5], s[6:7]
	s_cbranch_execz .LBB28_549
; %bb.546:
	v_mov_b32_e32 v63, 0
	v_add_u32_e32 v62, 0xf8, v1
	v_add3_u32 v1, v1, v63, 8
	s_mov_b64 s[6:7], 0
.LBB28_547:                             ; =>This Inner Loop Header: Depth=1
	buffer_load_dword v64, v1, s[0:3], 0 offen
	buffer_load_dword v65, v1, s[0:3], 0 offen offset:4
	ds_read_b64 v[66:67], v62
	v_add_u32_e32 v0, 1, v0
	v_cmp_lt_u32_e32 vcc, 26, v0
	v_add_u32_e32 v62, 8, v62
	v_add_u32_e32 v1, 8, v1
	s_or_b64 s[6:7], vcc, s[6:7]
	s_waitcnt vmcnt(0) lgkmcnt(0)
	v_fmac_f64_e32 v[60:61], v[64:65], v[66:67]
	s_andn2_b64 exec, exec, s[6:7]
	s_cbranch_execnz .LBB28_547
; %bb.548:
	s_or_b64 exec, exec, s[6:7]
.LBB28_549:
	s_or_b64 exec, exec, s[4:5]
	v_mov_b32_e32 v0, 0
	ds_read_b64 v[0:1], v0 offset:224
	s_waitcnt lgkmcnt(0)
	v_mul_f64 v[0:1], v[60:61], v[0:1]
	buffer_store_dword v1, off, s[0:3], 0 offset:228
	buffer_store_dword v0, off, s[0:3], 0 offset:224
.LBB28_550:
	s_or_b64 exec, exec, s[8:9]
.LBB28_551:
	buffer_load_dword v0, off, s[0:3], 0
	buffer_load_dword v1, off, s[0:3], 0 offset:4
	buffer_load_dword v60, off, s[0:3], 0 offset:8
	;; [unrolled: 1-line block ×57, first 2 shown]
	s_waitcnt vmcnt(56)
	global_store_dwordx2 v[2:3], v[0:1], off
	s_waitcnt vmcnt(55)
	global_store_dwordx2 v[4:5], v[60:61], off
	;; [unrolled: 2-line block ×9, first 2 shown]
	global_store_dwordx2 v[20:21], v[74:75], off
	global_store_dwordx2 v[22:23], v[76:77], off
	;; [unrolled: 1-line block ×3, first 2 shown]
	s_waitcnt vmcnt(44)
	global_store_dwordx2 v[26:27], v[82:83], off
	s_waitcnt vmcnt(43)
	global_store_dwordx2 v[28:29], v[84:85], off
	;; [unrolled: 2-line block ×17, first 2 shown]
.LBB28_552:
	s_endpgm
	.section	.rodata,"a",@progbits
	.p2align	6, 0x0
	.amdhsa_kernel _ZN9rocsolver6v33100L18trti2_kernel_smallILi29EdPdEEv13rocblas_fill_17rocblas_diagonal_T1_iil
		.amdhsa_group_segment_fixed_size 472
		.amdhsa_private_segment_fixed_size 240
		.amdhsa_kernarg_size 32
		.amdhsa_user_sgpr_count 8
		.amdhsa_user_sgpr_private_segment_buffer 1
		.amdhsa_user_sgpr_dispatch_ptr 0
		.amdhsa_user_sgpr_queue_ptr 0
		.amdhsa_user_sgpr_kernarg_segment_ptr 1
		.amdhsa_user_sgpr_dispatch_id 0
		.amdhsa_user_sgpr_flat_scratch_init 1
		.amdhsa_user_sgpr_kernarg_preload_length 0
		.amdhsa_user_sgpr_kernarg_preload_offset 0
		.amdhsa_user_sgpr_private_segment_size 0
		.amdhsa_uses_dynamic_stack 0
		.amdhsa_system_sgpr_private_segment_wavefront_offset 1
		.amdhsa_system_sgpr_workgroup_id_x 1
		.amdhsa_system_sgpr_workgroup_id_y 0
		.amdhsa_system_sgpr_workgroup_id_z 0
		.amdhsa_system_sgpr_workgroup_info 0
		.amdhsa_system_vgpr_workitem_id 0
		.amdhsa_next_free_vgpr 120
		.amdhsa_next_free_sgpr 20
		.amdhsa_accum_offset 120
		.amdhsa_reserve_vcc 1
		.amdhsa_reserve_flat_scratch 0
		.amdhsa_float_round_mode_32 0
		.amdhsa_float_round_mode_16_64 0
		.amdhsa_float_denorm_mode_32 3
		.amdhsa_float_denorm_mode_16_64 3
		.amdhsa_dx10_clamp 1
		.amdhsa_ieee_mode 1
		.amdhsa_fp16_overflow 0
		.amdhsa_tg_split 0
		.amdhsa_exception_fp_ieee_invalid_op 0
		.amdhsa_exception_fp_denorm_src 0
		.amdhsa_exception_fp_ieee_div_zero 0
		.amdhsa_exception_fp_ieee_overflow 0
		.amdhsa_exception_fp_ieee_underflow 0
		.amdhsa_exception_fp_ieee_inexact 0
		.amdhsa_exception_int_div_zero 0
	.end_amdhsa_kernel
	.section	.text._ZN9rocsolver6v33100L18trti2_kernel_smallILi29EdPdEEv13rocblas_fill_17rocblas_diagonal_T1_iil,"axG",@progbits,_ZN9rocsolver6v33100L18trti2_kernel_smallILi29EdPdEEv13rocblas_fill_17rocblas_diagonal_T1_iil,comdat
.Lfunc_end28:
	.size	_ZN9rocsolver6v33100L18trti2_kernel_smallILi29EdPdEEv13rocblas_fill_17rocblas_diagonal_T1_iil, .Lfunc_end28-_ZN9rocsolver6v33100L18trti2_kernel_smallILi29EdPdEEv13rocblas_fill_17rocblas_diagonal_T1_iil
                                        ; -- End function
	.section	.AMDGPU.csdata,"",@progbits
; Kernel info:
; codeLenInByte = 16804
; NumSgprs: 24
; NumVgprs: 120
; NumAgprs: 0
; TotalNumVgprs: 120
; ScratchSize: 240
; MemoryBound: 0
; FloatMode: 240
; IeeeMode: 1
; LDSByteSize: 472 bytes/workgroup (compile time only)
; SGPRBlocks: 2
; VGPRBlocks: 14
; NumSGPRsForWavesPerEU: 24
; NumVGPRsForWavesPerEU: 120
; AccumOffset: 120
; Occupancy: 4
; WaveLimiterHint : 0
; COMPUTE_PGM_RSRC2:SCRATCH_EN: 1
; COMPUTE_PGM_RSRC2:USER_SGPR: 8
; COMPUTE_PGM_RSRC2:TRAP_HANDLER: 0
; COMPUTE_PGM_RSRC2:TGID_X_EN: 1
; COMPUTE_PGM_RSRC2:TGID_Y_EN: 0
; COMPUTE_PGM_RSRC2:TGID_Z_EN: 0
; COMPUTE_PGM_RSRC2:TIDIG_COMP_CNT: 0
; COMPUTE_PGM_RSRC3_GFX90A:ACCUM_OFFSET: 29
; COMPUTE_PGM_RSRC3_GFX90A:TG_SPLIT: 0
	.section	.text._ZN9rocsolver6v33100L18trti2_kernel_smallILi30EdPdEEv13rocblas_fill_17rocblas_diagonal_T1_iil,"axG",@progbits,_ZN9rocsolver6v33100L18trti2_kernel_smallILi30EdPdEEv13rocblas_fill_17rocblas_diagonal_T1_iil,comdat
	.globl	_ZN9rocsolver6v33100L18trti2_kernel_smallILi30EdPdEEv13rocblas_fill_17rocblas_diagonal_T1_iil ; -- Begin function _ZN9rocsolver6v33100L18trti2_kernel_smallILi30EdPdEEv13rocblas_fill_17rocblas_diagonal_T1_iil
	.p2align	8
	.type	_ZN9rocsolver6v33100L18trti2_kernel_smallILi30EdPdEEv13rocblas_fill_17rocblas_diagonal_T1_iil,@function
_ZN9rocsolver6v33100L18trti2_kernel_smallILi30EdPdEEv13rocblas_fill_17rocblas_diagonal_T1_iil: ; @_ZN9rocsolver6v33100L18trti2_kernel_smallILi30EdPdEEv13rocblas_fill_17rocblas_diagonal_T1_iil
; %bb.0:
	s_add_u32 s0, s0, s9
	s_addc_u32 s1, s1, 0
	v_cmp_gt_u32_e32 vcc, 30, v0
	s_and_saveexec_b64 s[6:7], vcc
	s_cbranch_execz .LBB29_572
; %bb.1:
	s_load_dwordx8 s[12:19], s[4:5], 0x0
	s_ashr_i32 s6, s8, 31
	s_waitcnt lgkmcnt(0)
	s_mul_i32 s7, s8, s19
	s_mul_hi_u32 s9, s8, s18
	s_add_i32 s7, s9, s7
	s_mul_i32 s6, s6, s18
	s_add_i32 s7, s7, s6
	s_mul_i32 s6, s8, s18
	s_ashr_i32 s5, s16, 31
	s_lshl_b64 s[6:7], s[6:7], 3
	s_mov_b32 s4, s16
	s_add_u32 s6, s14, s6
	s_addc_u32 s7, s15, s7
	s_lshl_b64 s[4:5], s[4:5], 3
	s_add_u32 s4, s6, s4
	s_addc_u32 s5, s7, s5
	s_add_i32 s6, s17, s17
	v_add_u32_e32 v4, s6, v0
	v_ashrrev_i32_e32 v5, 31, v4
	v_lshlrev_b64 v[2:3], 3, v[4:5]
	v_add_u32_e32 v6, s17, v4
	v_mov_b32_e32 v1, s5
	v_add_co_u32_e32 v2, vcc, s4, v2
	v_ashrrev_i32_e32 v7, 31, v6
	v_addc_co_u32_e32 v3, vcc, v1, v3, vcc
	v_lshlrev_b64 v[4:5], 3, v[6:7]
	v_add_u32_e32 v8, s17, v6
	v_add_co_u32_e32 v4, vcc, s4, v4
	v_ashrrev_i32_e32 v9, 31, v8
	v_addc_co_u32_e32 v5, vcc, v1, v5, vcc
	v_lshlrev_b64 v[6:7], 3, v[8:9]
	v_add_u32_e32 v10, s17, v8
	;; [unrolled: 5-line block ×22, first 2 shown]
	v_add_co_u32_e32 v46, vcc, s4, v46
	v_ashrrev_i32_e32 v51, 31, v50
	v_addc_co_u32_e32 v47, vcc, v1, v47, vcc
	v_lshlrev_b64 v[48:49], 3, v[50:51]
	v_add_co_u32_e32 v48, vcc, s4, v48
	v_addc_co_u32_e32 v49, vcc, v1, v49, vcc
	v_lshlrev_b32_e32 v1, 3, v0
	v_mov_b32_e32 v53, s5
	v_add_co_u32_e32 v52, vcc, s4, v1
	s_ashr_i32 s7, s17, 31
	s_mov_b32 s6, s17
	v_add_u32_e32 v56, s17, v50
	v_addc_co_u32_e32 v53, vcc, 0, v53, vcc
	s_lshl_b64 s[6:7], s[6:7], 3
	v_ashrrev_i32_e32 v57, 31, v56
	v_mov_b32_e32 v55, s7
	v_add_co_u32_e32 v54, vcc, s6, v52
	v_lshlrev_b64 v[50:51], 3, v[56:57]
	v_addc_co_u32_e32 v55, vcc, v53, v55, vcc
	v_add_u32_e32 v58, s17, v56
	v_mov_b32_e32 v57, s5
	v_add_co_u32_e32 v50, vcc, s4, v50
	v_ashrrev_i32_e32 v59, 31, v58
	v_addc_co_u32_e32 v51, vcc, v57, v51, vcc
	v_lshlrev_b64 v[56:57], 3, v[58:59]
	v_add_u32_e32 v60, s17, v58
	v_mov_b32_e32 v59, s5
	v_add_co_u32_e32 v56, vcc, s4, v56
	v_ashrrev_i32_e32 v61, 31, v60
	v_addc_co_u32_e32 v57, vcc, v59, v57, vcc
	v_lshlrev_b64 v[58:59], 3, v[60:61]
	v_mov_b32_e32 v61, s5
	v_add_co_u32_e32 v58, vcc, s4, v58
	global_load_dwordx2 v[62:63], v1, s[4:5]
	global_load_dwordx2 v[64:65], v[54:55], off
	global_load_dwordx2 v[66:67], v[2:3], off
	;; [unrolled: 1-line block ×20, first 2 shown]
	v_addc_co_u32_e32 v59, vcc, v61, v59, vcc
	global_load_dwordx2 v[104:105], v[40:41], off
	global_load_dwordx2 v[106:107], v[42:43], off
	;; [unrolled: 1-line block ×8, first 2 shown]
	v_add_u32_e32 v60, s17, v60
	v_ashrrev_i32_e32 v61, 31, v60
	v_lshlrev_b64 v[60:61], 3, v[60:61]
	v_mov_b32_e32 v120, s5
	v_add_co_u32_e32 v60, vcc, s4, v60
	v_addc_co_u32_e32 v61, vcc, v120, v61, vcc
	global_load_dwordx2 v[120:121], v[60:61], off
	s_waitcnt vmcnt(29)
	buffer_store_dword v63, off, s[0:3], 0 offset:4
	buffer_store_dword v62, off, s[0:3], 0
	s_waitcnt vmcnt(30)
	buffer_store_dword v65, off, s[0:3], 0 offset:12
	buffer_store_dword v64, off, s[0:3], 0 offset:8
	s_waitcnt vmcnt(31)
	buffer_store_dword v67, off, s[0:3], 0 offset:20
	buffer_store_dword v66, off, s[0:3], 0 offset:16
	;; [unrolled: 3-line block ×29, first 2 shown]
	s_cmpk_lg_i32 s13, 0x84
	v_mov_b32_e32 v62, 0
	s_cselect_b64 s[8:9], -1, 0
	s_cmpk_eq_i32 s13, 0x84
	v_mov_b32_e32 v92, 0
	v_mov_b32_e32 v63, 0xbff00000
	s_cbranch_scc1 .LBB29_3
; %bb.2:
	v_lshl_add_u32 v72, v0, 3, v92
	buffer_load_dword v62, v72, s[0:3], 0 offen
	buffer_load_dword v63, v72, s[0:3], 0 offen offset:4
	s_waitcnt vmcnt(0)
	v_div_scale_f64 v[64:65], s[4:5], v[62:63], v[62:63], 1.0
	v_rcp_f64_e32 v[66:67], v[64:65]
	v_div_scale_f64 v[68:69], vcc, 1.0, v[62:63], 1.0
	v_fma_f64 v[70:71], -v[64:65], v[66:67], 1.0
	v_fmac_f64_e32 v[66:67], v[66:67], v[70:71]
	v_fma_f64 v[70:71], -v[64:65], v[66:67], 1.0
	v_fmac_f64_e32 v[66:67], v[66:67], v[70:71]
	v_mul_f64 v[70:71], v[68:69], v[66:67]
	v_fma_f64 v[64:65], -v[64:65], v[70:71], v[68:69]
	v_div_fmas_f64 v[64:65], v[64:65], v[66:67], v[70:71]
	v_div_fixup_f64 v[62:63], v[64:65], v[62:63], 1.0
	buffer_store_dword v62, v72, s[0:3], 0 offen
	buffer_store_dword v63, v72, s[0:3], 0 offen offset:4
	v_xor_b32_e32 v63, 0x80000000, v63
.LBB29_3:
	s_cmpk_eq_i32 s12, 0x79
	v_add_u32_e32 v64, 0xf0, v1
	v_add_u32_e32 v65, 0, v1
	s_mov_b64 s[4:5], -1
	ds_write_b64 v1, v[62:63]
	s_cbranch_scc1 .LBB29_287
; %bb.4:
	buffer_load_dword v62, off, s[0:3], 0 offset:224
	buffer_load_dword v63, off, s[0:3], 0 offset:228
	v_cmp_eq_u32_e64 s[4:5], 29, v0
	s_waitcnt vmcnt(0)
	ds_write_b64 v64, v[62:63]
	s_waitcnt lgkmcnt(0)
	; wave barrier
	s_waitcnt lgkmcnt(0)
	s_and_saveexec_b64 s[6:7], s[4:5]
	s_cbranch_execz .LBB29_10
; %bb.5:
	s_and_b64 vcc, exec, s[8:9]
	s_cbranch_vccz .LBB29_7
; %bb.6:
	buffer_load_dword v62, v65, s[0:3], 0 offen
	buffer_load_dword v63, v65, s[0:3], 0 offen offset:4
	ds_read_b64 v[66:67], v64
	s_waitcnt vmcnt(0) lgkmcnt(0)
	v_mul_f64 v[62:63], v[62:63], v[66:67]
	s_cbranch_execz .LBB29_8
	s_branch .LBB29_9
.LBB29_7:
                                        ; implicit-def: $vgpr62_vgpr63
.LBB29_8:
	ds_read_b64 v[62:63], v64
.LBB29_9:
	v_mov_b32_e32 v66, 0
	ds_read_b64 v[66:67], v66 offset:224
	s_waitcnt lgkmcnt(0)
	v_mul_f64 v[62:63], v[62:63], v[66:67]
	buffer_store_dword v63, off, s[0:3], 0 offset:228
	buffer_store_dword v62, off, s[0:3], 0 offset:224
.LBB29_10:
	s_or_b64 exec, exec, s[6:7]
	buffer_load_dword v62, off, s[0:3], 0 offset:216
	buffer_load_dword v63, off, s[0:3], 0 offset:220
	v_or_b32_e32 v66, 8, v92
	v_add_u32_e32 v67, 16, v92
	v_add_u32_e32 v68, 24, v92
	;; [unrolled: 1-line block ×26, first 2 shown]
	v_cmp_lt_u32_e64 s[6:7], 27, v0
	s_waitcnt vmcnt(0)
	ds_write_b64 v64, v[62:63]
	s_waitcnt lgkmcnt(0)
	; wave barrier
	s_waitcnt lgkmcnt(0)
	s_and_saveexec_b64 s[10:11], s[6:7]
	s_cbranch_execz .LBB29_16
; %bb.11:
	s_andn2_b64 vcc, exec, s[8:9]
	s_cbranch_vccnz .LBB29_13
; %bb.12:
	buffer_load_dword v62, v65, s[0:3], 0 offen
	buffer_load_dword v63, v65, s[0:3], 0 offen offset:4
	ds_read_b64 v[94:95], v64
	s_waitcnt vmcnt(0) lgkmcnt(0)
	v_mul_f64 v[62:63], v[62:63], v[94:95]
	s_cbranch_execz .LBB29_14
	s_branch .LBB29_15
.LBB29_13:
                                        ; implicit-def: $vgpr62_vgpr63
.LBB29_14:
	ds_read_b64 v[62:63], v64
.LBB29_15:
	buffer_load_dword v98, off, s[0:3], 0 offset:224
	buffer_load_dword v99, off, s[0:3], 0 offset:228
	v_mov_b32_e32 v93, 0
	ds_read2_b64 v[94:97], v93 offset0:27 offset1:58
	s_waitcnt vmcnt(0) lgkmcnt(0)
	v_fma_f64 v[96:97], v[98:99], v[96:97], v[62:63]
	v_cndmask_b32_e64 v63, v63, v97, s[4:5]
	v_cndmask_b32_e64 v62, v62, v96, s[4:5]
	v_mul_f64 v[62:63], v[62:63], v[94:95]
	buffer_store_dword v63, off, s[0:3], 0 offset:220
	buffer_store_dword v62, off, s[0:3], 0 offset:216
.LBB29_16:
	s_or_b64 exec, exec, s[10:11]
	buffer_load_dword v62, off, s[0:3], 0 offset:208
	buffer_load_dword v63, off, s[0:3], 0 offset:212
	v_cmp_lt_u32_e64 s[4:5], 26, v0
	s_waitcnt vmcnt(0)
	ds_write_b64 v64, v[62:63]
	s_waitcnt lgkmcnt(0)
	; wave barrier
	s_waitcnt lgkmcnt(0)
	s_and_saveexec_b64 s[10:11], s[4:5]
	s_cbranch_execz .LBB29_26
; %bb.17:
	s_andn2_b64 vcc, exec, s[8:9]
	s_cbranch_vccnz .LBB29_19
; %bb.18:
	buffer_load_dword v62, v65, s[0:3], 0 offen
	buffer_load_dword v63, v65, s[0:3], 0 offen offset:4
	ds_read_b64 v[94:95], v64
	s_waitcnt vmcnt(0) lgkmcnt(0)
	v_mul_f64 v[62:63], v[62:63], v[94:95]
	s_cbranch_execz .LBB29_20
	s_branch .LBB29_21
.LBB29_19:
                                        ; implicit-def: $vgpr62_vgpr63
.LBB29_20:
	ds_read_b64 v[62:63], v64
.LBB29_21:
	s_and_saveexec_b64 s[12:13], s[6:7]
	s_cbranch_execz .LBB29_25
; %bb.22:
	v_subrev_u32_e32 v93, 27, v0
	s_movk_i32 s14, 0x1c8
	s_mov_b64 s[6:7], 0
.LBB29_23:                              ; =>This Inner Loop Header: Depth=1
	buffer_load_dword v94, v92, s[0:3], 0 offen
	buffer_load_dword v95, v92, s[0:3], 0 offen offset:4
	v_mov_b32_e32 v96, s14
	ds_read_b64 v[96:97], v96
	v_add_u32_e32 v93, -1, v93
	s_add_i32 s14, s14, 8
	v_cmp_eq_u32_e32 vcc, 0, v93
	v_add_u32_e32 v92, 8, v92
	s_or_b64 s[6:7], vcc, s[6:7]
	s_waitcnt vmcnt(0) lgkmcnt(0)
	v_fmac_f64_e32 v[62:63], v[94:95], v[96:97]
	s_andn2_b64 exec, exec, s[6:7]
	s_cbranch_execnz .LBB29_23
; %bb.24:
	s_or_b64 exec, exec, s[6:7]
.LBB29_25:
	s_or_b64 exec, exec, s[12:13]
	v_mov_b32_e32 v92, 0
	ds_read_b64 v[92:93], v92 offset:208
	s_waitcnt lgkmcnt(0)
	v_mul_f64 v[62:63], v[62:63], v[92:93]
	buffer_store_dword v63, off, s[0:3], 0 offset:212
	buffer_store_dword v62, off, s[0:3], 0 offset:208
.LBB29_26:
	s_or_b64 exec, exec, s[10:11]
	buffer_load_dword v62, off, s[0:3], 0 offset:200
	buffer_load_dword v63, off, s[0:3], 0 offset:204
	v_cmp_lt_u32_e64 s[6:7], 25, v0
	s_waitcnt vmcnt(0)
	ds_write_b64 v64, v[62:63]
	s_waitcnt lgkmcnt(0)
	; wave barrier
	s_waitcnt lgkmcnt(0)
	s_and_saveexec_b64 s[10:11], s[6:7]
	s_cbranch_execz .LBB29_36
; %bb.27:
	s_andn2_b64 vcc, exec, s[8:9]
	s_cbranch_vccnz .LBB29_29
; %bb.28:
	buffer_load_dword v62, v65, s[0:3], 0 offen
	buffer_load_dword v63, v65, s[0:3], 0 offen offset:4
	ds_read_b64 v[92:93], v64
	s_waitcnt vmcnt(0) lgkmcnt(0)
	v_mul_f64 v[62:63], v[62:63], v[92:93]
	s_cbranch_execz .LBB29_30
	s_branch .LBB29_31
.LBB29_29:
                                        ; implicit-def: $vgpr62_vgpr63
.LBB29_30:
	ds_read_b64 v[62:63], v64
.LBB29_31:
	s_and_saveexec_b64 s[12:13], s[4:5]
	s_cbranch_execz .LBB29_35
; %bb.32:
	v_subrev_u32_e32 v92, 26, v0
	s_movk_i32 s14, 0x1c0
	s_mov_b64 s[4:5], 0
.LBB29_33:                              ; =>This Inner Loop Header: Depth=1
	buffer_load_dword v94, v91, s[0:3], 0 offen
	buffer_load_dword v95, v91, s[0:3], 0 offen offset:4
	v_mov_b32_e32 v93, s14
	ds_read_b64 v[96:97], v93
	v_add_u32_e32 v92, -1, v92
	s_add_i32 s14, s14, 8
	v_cmp_eq_u32_e32 vcc, 0, v92
	v_add_u32_e32 v91, 8, v91
	s_or_b64 s[4:5], vcc, s[4:5]
	s_waitcnt vmcnt(0) lgkmcnt(0)
	v_fmac_f64_e32 v[62:63], v[94:95], v[96:97]
	s_andn2_b64 exec, exec, s[4:5]
	s_cbranch_execnz .LBB29_33
; %bb.34:
	s_or_b64 exec, exec, s[4:5]
.LBB29_35:
	s_or_b64 exec, exec, s[12:13]
	v_mov_b32_e32 v91, 0
	ds_read_b64 v[92:93], v91 offset:200
	s_waitcnt lgkmcnt(0)
	v_mul_f64 v[62:63], v[62:63], v[92:93]
	buffer_store_dword v63, off, s[0:3], 0 offset:204
	buffer_store_dword v62, off, s[0:3], 0 offset:200
.LBB29_36:
	;; [unrolled: 58-line block ×8, first 2 shown]
	s_or_b64 exec, exec, s[10:11]
	buffer_load_dword v62, off, s[0:3], 0 offset:144
	buffer_load_dword v63, off, s[0:3], 0 offset:148
	v_cmp_lt_u32_e64 s[4:5], 18, v0
	s_waitcnt vmcnt(0)
	ds_write_b64 v64, v[62:63]
	s_waitcnt lgkmcnt(0)
	; wave barrier
	s_waitcnt lgkmcnt(0)
	s_and_saveexec_b64 s[10:11], s[4:5]
	s_cbranch_execz .LBB29_106
; %bb.97:
	s_andn2_b64 vcc, exec, s[8:9]
	s_cbranch_vccnz .LBB29_99
; %bb.98:
	buffer_load_dword v62, v65, s[0:3], 0 offen
	buffer_load_dword v63, v65, s[0:3], 0 offen offset:4
	ds_read_b64 v[86:87], v64
	s_waitcnt vmcnt(0) lgkmcnt(0)
	v_mul_f64 v[62:63], v[62:63], v[86:87]
	s_cbranch_execz .LBB29_100
	s_branch .LBB29_101
.LBB29_99:
                                        ; implicit-def: $vgpr62_vgpr63
.LBB29_100:
	ds_read_b64 v[62:63], v64
.LBB29_101:
	s_and_saveexec_b64 s[12:13], s[6:7]
	s_cbranch_execz .LBB29_105
; %bb.102:
	v_subrev_u32_e32 v85, 19, v0
	s_movk_i32 s14, 0x188
	s_mov_b64 s[6:7], 0
.LBB29_103:                             ; =>This Inner Loop Header: Depth=1
	buffer_load_dword v86, v84, s[0:3], 0 offen
	buffer_load_dword v87, v84, s[0:3], 0 offen offset:4
	v_mov_b32_e32 v88, s14
	ds_read_b64 v[88:89], v88
	v_add_u32_e32 v85, -1, v85
	s_add_i32 s14, s14, 8
	v_cmp_eq_u32_e32 vcc, 0, v85
	v_add_u32_e32 v84, 8, v84
	s_or_b64 s[6:7], vcc, s[6:7]
	s_waitcnt vmcnt(0) lgkmcnt(0)
	v_fmac_f64_e32 v[62:63], v[86:87], v[88:89]
	s_andn2_b64 exec, exec, s[6:7]
	s_cbranch_execnz .LBB29_103
; %bb.104:
	s_or_b64 exec, exec, s[6:7]
.LBB29_105:
	s_or_b64 exec, exec, s[12:13]
	v_mov_b32_e32 v84, 0
	ds_read_b64 v[84:85], v84 offset:144
	s_waitcnt lgkmcnt(0)
	v_mul_f64 v[62:63], v[62:63], v[84:85]
	buffer_store_dword v63, off, s[0:3], 0 offset:148
	buffer_store_dword v62, off, s[0:3], 0 offset:144
.LBB29_106:
	s_or_b64 exec, exec, s[10:11]
	buffer_load_dword v62, off, s[0:3], 0 offset:136
	buffer_load_dword v63, off, s[0:3], 0 offset:140
	v_cmp_lt_u32_e64 s[6:7], 17, v0
	s_waitcnt vmcnt(0)
	ds_write_b64 v64, v[62:63]
	s_waitcnt lgkmcnt(0)
	; wave barrier
	s_waitcnt lgkmcnt(0)
	s_and_saveexec_b64 s[10:11], s[6:7]
	s_cbranch_execz .LBB29_116
; %bb.107:
	s_andn2_b64 vcc, exec, s[8:9]
	s_cbranch_vccnz .LBB29_109
; %bb.108:
	buffer_load_dword v62, v65, s[0:3], 0 offen
	buffer_load_dword v63, v65, s[0:3], 0 offen offset:4
	ds_read_b64 v[84:85], v64
	s_waitcnt vmcnt(0) lgkmcnt(0)
	v_mul_f64 v[62:63], v[62:63], v[84:85]
	s_cbranch_execz .LBB29_110
	s_branch .LBB29_111
.LBB29_109:
                                        ; implicit-def: $vgpr62_vgpr63
.LBB29_110:
	ds_read_b64 v[62:63], v64
.LBB29_111:
	s_and_saveexec_b64 s[12:13], s[4:5]
	s_cbranch_execz .LBB29_115
; %bb.112:
	v_subrev_u32_e32 v84, 18, v0
	s_movk_i32 s14, 0x180
	s_mov_b64 s[4:5], 0
.LBB29_113:                             ; =>This Inner Loop Header: Depth=1
	buffer_load_dword v86, v83, s[0:3], 0 offen
	buffer_load_dword v87, v83, s[0:3], 0 offen offset:4
	v_mov_b32_e32 v85, s14
	ds_read_b64 v[88:89], v85
	v_add_u32_e32 v84, -1, v84
	s_add_i32 s14, s14, 8
	v_cmp_eq_u32_e32 vcc, 0, v84
	v_add_u32_e32 v83, 8, v83
	s_or_b64 s[4:5], vcc, s[4:5]
	s_waitcnt vmcnt(0) lgkmcnt(0)
	v_fmac_f64_e32 v[62:63], v[86:87], v[88:89]
	s_andn2_b64 exec, exec, s[4:5]
	s_cbranch_execnz .LBB29_113
; %bb.114:
	s_or_b64 exec, exec, s[4:5]
.LBB29_115:
	s_or_b64 exec, exec, s[12:13]
	v_mov_b32_e32 v83, 0
	ds_read_b64 v[84:85], v83 offset:136
	s_waitcnt lgkmcnt(0)
	v_mul_f64 v[62:63], v[62:63], v[84:85]
	buffer_store_dword v63, off, s[0:3], 0 offset:140
	buffer_store_dword v62, off, s[0:3], 0 offset:136
.LBB29_116:
	;; [unrolled: 58-line block ×3, first 2 shown]
	s_or_b64 exec, exec, s[10:11]
	buffer_load_dword v62, off, s[0:3], 0 offset:120
	buffer_load_dword v63, off, s[0:3], 0 offset:124
	v_cmp_lt_u32_e64 s[6:7], 15, v0
	s_waitcnt vmcnt(0)
	ds_write_b64 v64, v[62:63]
	s_waitcnt lgkmcnt(0)
	; wave barrier
	s_waitcnt lgkmcnt(0)
	s_and_saveexec_b64 s[10:11], s[6:7]
	s_cbranch_execz .LBB29_136
; %bb.127:
	s_andn2_b64 vcc, exec, s[8:9]
	s_cbranch_vccnz .LBB29_129
; %bb.128:
	buffer_load_dword v62, v65, s[0:3], 0 offen
	buffer_load_dword v63, v65, s[0:3], 0 offen offset:4
	ds_read_b64 v[82:83], v64
	s_waitcnt vmcnt(0) lgkmcnt(0)
	v_mul_f64 v[62:63], v[62:63], v[82:83]
	s_cbranch_execz .LBB29_130
	s_branch .LBB29_131
.LBB29_129:
                                        ; implicit-def: $vgpr62_vgpr63
.LBB29_130:
	ds_read_b64 v[62:63], v64
.LBB29_131:
	s_and_saveexec_b64 s[12:13], s[4:5]
	s_cbranch_execz .LBB29_135
; %bb.132:
	v_add_u32_e32 v82, -16, v0
	s_movk_i32 s14, 0x170
	s_mov_b64 s[4:5], 0
.LBB29_133:                             ; =>This Inner Loop Header: Depth=1
	buffer_load_dword v84, v81, s[0:3], 0 offen
	buffer_load_dword v85, v81, s[0:3], 0 offen offset:4
	v_mov_b32_e32 v83, s14
	ds_read_b64 v[86:87], v83
	v_add_u32_e32 v82, -1, v82
	s_add_i32 s14, s14, 8
	v_cmp_eq_u32_e32 vcc, 0, v82
	v_add_u32_e32 v81, 8, v81
	s_or_b64 s[4:5], vcc, s[4:5]
	s_waitcnt vmcnt(0) lgkmcnt(0)
	v_fmac_f64_e32 v[62:63], v[84:85], v[86:87]
	s_andn2_b64 exec, exec, s[4:5]
	s_cbranch_execnz .LBB29_133
; %bb.134:
	s_or_b64 exec, exec, s[4:5]
.LBB29_135:
	s_or_b64 exec, exec, s[12:13]
	v_mov_b32_e32 v81, 0
	ds_read_b64 v[82:83], v81 offset:120
	s_waitcnt lgkmcnt(0)
	v_mul_f64 v[62:63], v[62:63], v[82:83]
	buffer_store_dword v63, off, s[0:3], 0 offset:124
	buffer_store_dword v62, off, s[0:3], 0 offset:120
.LBB29_136:
	s_or_b64 exec, exec, s[10:11]
	buffer_load_dword v62, off, s[0:3], 0 offset:112
	buffer_load_dword v63, off, s[0:3], 0 offset:116
	v_cmp_lt_u32_e64 s[4:5], 14, v0
	s_waitcnt vmcnt(0)
	ds_write_b64 v64, v[62:63]
	s_waitcnt lgkmcnt(0)
	; wave barrier
	s_waitcnt lgkmcnt(0)
	s_and_saveexec_b64 s[10:11], s[4:5]
	s_cbranch_execz .LBB29_146
; %bb.137:
	s_andn2_b64 vcc, exec, s[8:9]
	s_cbranch_vccnz .LBB29_139
; %bb.138:
	buffer_load_dword v62, v65, s[0:3], 0 offen
	buffer_load_dword v63, v65, s[0:3], 0 offen offset:4
	ds_read_b64 v[82:83], v64
	s_waitcnt vmcnt(0) lgkmcnt(0)
	v_mul_f64 v[62:63], v[62:63], v[82:83]
	s_cbranch_execz .LBB29_140
	s_branch .LBB29_141
.LBB29_139:
                                        ; implicit-def: $vgpr62_vgpr63
.LBB29_140:
	ds_read_b64 v[62:63], v64
.LBB29_141:
	s_and_saveexec_b64 s[12:13], s[6:7]
	s_cbranch_execz .LBB29_145
; %bb.142:
	v_add_u32_e32 v81, -15, v0
	s_movk_i32 s14, 0x168
	s_mov_b64 s[6:7], 0
.LBB29_143:                             ; =>This Inner Loop Header: Depth=1
	buffer_load_dword v82, v80, s[0:3], 0 offen
	buffer_load_dword v83, v80, s[0:3], 0 offen offset:4
	v_mov_b32_e32 v84, s14
	ds_read_b64 v[84:85], v84
	v_add_u32_e32 v81, -1, v81
	s_add_i32 s14, s14, 8
	v_cmp_eq_u32_e32 vcc, 0, v81
	v_add_u32_e32 v80, 8, v80
	s_or_b64 s[6:7], vcc, s[6:7]
	s_waitcnt vmcnt(0) lgkmcnt(0)
	v_fmac_f64_e32 v[62:63], v[82:83], v[84:85]
	s_andn2_b64 exec, exec, s[6:7]
	s_cbranch_execnz .LBB29_143
; %bb.144:
	s_or_b64 exec, exec, s[6:7]
.LBB29_145:
	s_or_b64 exec, exec, s[12:13]
	v_mov_b32_e32 v80, 0
	ds_read_b64 v[80:81], v80 offset:112
	s_waitcnt lgkmcnt(0)
	v_mul_f64 v[62:63], v[62:63], v[80:81]
	buffer_store_dword v63, off, s[0:3], 0 offset:116
	buffer_store_dword v62, off, s[0:3], 0 offset:112
.LBB29_146:
	;; [unrolled: 58-line block ×15, first 2 shown]
	s_or_b64 exec, exec, s[10:11]
	buffer_load_dword v62, off, s[0:3], 0
	buffer_load_dword v63, off, s[0:3], 0 offset:4
	v_cmp_ne_u32_e32 vcc, 0, v0
	s_waitcnt vmcnt(0)
	ds_write_b64 v64, v[62:63]
	s_waitcnt lgkmcnt(0)
	; wave barrier
	s_waitcnt lgkmcnt(0)
	s_and_saveexec_b64 s[4:5], vcc
	s_cbranch_execz .LBB29_286
; %bb.277:
	s_andn2_b64 vcc, exec, s[8:9]
	s_cbranch_vccnz .LBB29_279
; %bb.278:
	buffer_load_dword v62, v65, s[0:3], 0 offen
	buffer_load_dword v63, v65, s[0:3], 0 offen offset:4
	ds_read_b64 v[68:69], v64
	s_waitcnt vmcnt(0) lgkmcnt(0)
	v_mul_f64 v[62:63], v[62:63], v[68:69]
	s_cbranch_execz .LBB29_280
	s_branch .LBB29_281
.LBB29_279:
                                        ; implicit-def: $vgpr62_vgpr63
.LBB29_280:
	ds_read_b64 v[62:63], v64
.LBB29_281:
	s_and_saveexec_b64 s[10:11], s[6:7]
	s_cbranch_execz .LBB29_285
; %bb.282:
	v_add_u32_e32 v67, -1, v0
	s_movk_i32 s12, 0xf8
	s_mov_b64 s[6:7], 0
.LBB29_283:                             ; =>This Inner Loop Header: Depth=1
	buffer_load_dword v68, v66, s[0:3], 0 offen
	buffer_load_dword v69, v66, s[0:3], 0 offen offset:4
	v_mov_b32_e32 v70, s12
	ds_read_b64 v[70:71], v70
	v_add_u32_e32 v67, -1, v67
	s_add_i32 s12, s12, 8
	v_cmp_eq_u32_e32 vcc, 0, v67
	v_add_u32_e32 v66, 8, v66
	s_or_b64 s[6:7], vcc, s[6:7]
	s_waitcnt vmcnt(0) lgkmcnt(0)
	v_fmac_f64_e32 v[62:63], v[68:69], v[70:71]
	s_andn2_b64 exec, exec, s[6:7]
	s_cbranch_execnz .LBB29_283
; %bb.284:
	s_or_b64 exec, exec, s[6:7]
.LBB29_285:
	s_or_b64 exec, exec, s[10:11]
	v_mov_b32_e32 v66, 0
	ds_read_b64 v[66:67], v66
	s_waitcnt lgkmcnt(0)
	v_mul_f64 v[62:63], v[62:63], v[66:67]
	buffer_store_dword v63, off, s[0:3], 0 offset:4
	buffer_store_dword v62, off, s[0:3], 0
.LBB29_286:
	s_or_b64 exec, exec, s[4:5]
	s_mov_b64 s[4:5], 0
.LBB29_287:
	s_and_b64 vcc, exec, s[4:5]
	s_cbranch_vccz .LBB29_571
; %bb.288:
	buffer_load_dword v62, off, s[0:3], 0 offset:8
	buffer_load_dword v63, off, s[0:3], 0 offset:12
	v_cmp_eq_u32_e64 s[6:7], 0, v0
	s_waitcnt vmcnt(0)
	ds_write_b64 v64, v[62:63]
	s_waitcnt lgkmcnt(0)
	; wave barrier
	s_waitcnt lgkmcnt(0)
	s_and_saveexec_b64 s[4:5], s[6:7]
	s_cbranch_execz .LBB29_294
; %bb.289:
	s_and_b64 vcc, exec, s[8:9]
	s_cbranch_vccz .LBB29_291
; %bb.290:
	buffer_load_dword v62, v65, s[0:3], 0 offen
	buffer_load_dword v63, v65, s[0:3], 0 offen offset:4
	ds_read_b64 v[66:67], v64
	s_waitcnt vmcnt(0) lgkmcnt(0)
	v_mul_f64 v[62:63], v[62:63], v[66:67]
	s_cbranch_execz .LBB29_292
	s_branch .LBB29_293
.LBB29_291:
                                        ; implicit-def: $vgpr62_vgpr63
.LBB29_292:
	ds_read_b64 v[62:63], v64
.LBB29_293:
	v_mov_b32_e32 v66, 0
	ds_read_b64 v[66:67], v66 offset:8
	s_waitcnt lgkmcnt(0)
	v_mul_f64 v[62:63], v[62:63], v[66:67]
	buffer_store_dword v63, off, s[0:3], 0 offset:12
	buffer_store_dword v62, off, s[0:3], 0 offset:8
.LBB29_294:
	s_or_b64 exec, exec, s[4:5]
	buffer_load_dword v62, off, s[0:3], 0 offset:16
	buffer_load_dword v63, off, s[0:3], 0 offset:20
	v_cndmask_b32_e64 v66, 0, 1, s[8:9]
	v_cmp_gt_u32_e32 vcc, 2, v0
	v_cmp_ne_u32_e64 s[4:5], 1, v66
	s_waitcnt vmcnt(0)
	ds_write_b64 v64, v[62:63]
	s_waitcnt lgkmcnt(0)
	; wave barrier
	s_waitcnt lgkmcnt(0)
	s_and_saveexec_b64 s[8:9], vcc
	s_cbranch_execz .LBB29_302
; %bb.295:
	s_and_b64 vcc, exec, s[4:5]
	s_cbranch_vccnz .LBB29_297
; %bb.296:
	buffer_load_dword v62, v65, s[0:3], 0 offen
	buffer_load_dword v63, v65, s[0:3], 0 offen offset:4
	ds_read_b64 v[66:67], v64
	s_waitcnt vmcnt(0) lgkmcnt(0)
	v_mul_f64 v[62:63], v[62:63], v[66:67]
	s_cbranch_execz .LBB29_298
	s_branch .LBB29_299
.LBB29_297:
                                        ; implicit-def: $vgpr62_vgpr63
.LBB29_298:
	ds_read_b64 v[62:63], v64
.LBB29_299:
	s_and_saveexec_b64 s[10:11], s[6:7]
	s_cbranch_execz .LBB29_301
; %bb.300:
	buffer_load_dword v66, v65, s[0:3], 0 offen offset:8
	buffer_load_dword v67, v65, s[0:3], 0 offen offset:12
	ds_read_b64 v[68:69], v64 offset:8
	s_waitcnt vmcnt(0) lgkmcnt(0)
	v_fmac_f64_e32 v[62:63], v[66:67], v[68:69]
.LBB29_301:
	s_or_b64 exec, exec, s[10:11]
	v_mov_b32_e32 v66, 0
	ds_read_b64 v[66:67], v66 offset:16
	s_waitcnt lgkmcnt(0)
	v_mul_f64 v[62:63], v[62:63], v[66:67]
	buffer_store_dword v63, off, s[0:3], 0 offset:20
	buffer_store_dword v62, off, s[0:3], 0 offset:16
.LBB29_302:
	s_or_b64 exec, exec, s[8:9]
	buffer_load_dword v62, off, s[0:3], 0 offset:24
	buffer_load_dword v63, off, s[0:3], 0 offset:28
	v_cmp_gt_u32_e32 vcc, 3, v0
	s_waitcnt vmcnt(0)
	ds_write_b64 v64, v[62:63]
	s_waitcnt lgkmcnt(0)
	; wave barrier
	s_waitcnt lgkmcnt(0)
	s_and_saveexec_b64 s[8:9], vcc
	s_cbranch_execz .LBB29_310
; %bb.303:
	s_and_b64 vcc, exec, s[4:5]
	s_cbranch_vccnz .LBB29_305
; %bb.304:
	buffer_load_dword v62, v65, s[0:3], 0 offen
	buffer_load_dword v63, v65, s[0:3], 0 offen offset:4
	ds_read_b64 v[66:67], v64
	s_waitcnt vmcnt(0) lgkmcnt(0)
	v_mul_f64 v[62:63], v[62:63], v[66:67]
	s_cbranch_execz .LBB29_306
	s_branch .LBB29_307
.LBB29_305:
                                        ; implicit-def: $vgpr62_vgpr63
.LBB29_306:
	ds_read_b64 v[62:63], v64
.LBB29_307:
	v_cmp_ne_u32_e32 vcc, 2, v0
	s_and_saveexec_b64 s[10:11], vcc
	s_cbranch_execz .LBB29_309
; %bb.308:
	buffer_load_dword v67, v65, s[0:3], 0 offen offset:12
	buffer_load_dword v68, off, s[0:3], 0 offset:16
	buffer_load_dword v66, v65, s[0:3], 0 offen offset:8
	buffer_load_dword v69, off, s[0:3], 0 offset:20
	v_mov_b32_e32 v72, 0
	ds_read_b64 v[70:71], v64 offset:8
	ds_read_b64 v[72:73], v72 offset:256
	s_waitcnt vmcnt(1) lgkmcnt(1)
	v_fmac_f64_e32 v[62:63], v[66:67], v[70:71]
	s_waitcnt vmcnt(0) lgkmcnt(0)
	v_fma_f64 v[66:67], v[68:69], v[72:73], v[62:63]
	v_cndmask_b32_e64 v63, v63, v67, s[6:7]
	v_cndmask_b32_e64 v62, v62, v66, s[6:7]
.LBB29_309:
	s_or_b64 exec, exec, s[10:11]
	v_mov_b32_e32 v66, 0
	ds_read_b64 v[66:67], v66 offset:24
	s_waitcnt lgkmcnt(0)
	v_mul_f64 v[62:63], v[62:63], v[66:67]
	buffer_store_dword v63, off, s[0:3], 0 offset:28
	buffer_store_dword v62, off, s[0:3], 0 offset:24
.LBB29_310:
	s_or_b64 exec, exec, s[8:9]
	buffer_load_dword v62, off, s[0:3], 0 offset:32
	buffer_load_dword v63, off, s[0:3], 0 offset:36
	v_cmp_gt_u32_e32 vcc, 4, v0
	s_waitcnt vmcnt(0)
	ds_write_b64 v64, v[62:63]
	s_waitcnt lgkmcnt(0)
	; wave barrier
	s_waitcnt lgkmcnt(0)
	s_and_saveexec_b64 s[6:7], vcc
	s_cbranch_execz .LBB29_320
; %bb.311:
	s_and_b64 vcc, exec, s[4:5]
	s_cbranch_vccnz .LBB29_313
; %bb.312:
	buffer_load_dword v62, v65, s[0:3], 0 offen
	buffer_load_dword v63, v65, s[0:3], 0 offen offset:4
	ds_read_b64 v[66:67], v64
	s_waitcnt vmcnt(0) lgkmcnt(0)
	v_mul_f64 v[62:63], v[62:63], v[66:67]
	s_cbranch_execz .LBB29_314
	s_branch .LBB29_315
.LBB29_313:
                                        ; implicit-def: $vgpr62_vgpr63
.LBB29_314:
	ds_read_b64 v[62:63], v64
.LBB29_315:
	v_cmp_ne_u32_e32 vcc, 3, v0
	s_and_saveexec_b64 s[8:9], vcc
	s_cbranch_execz .LBB29_319
; %bb.316:
	v_mov_b32_e32 v67, 0
	v_add_u32_e32 v66, 0xf8, v1
	v_add3_u32 v67, v1, v67, 8
	s_mov_b64 s[10:11], 0
	v_mov_b32_e32 v68, v0
.LBB29_317:                             ; =>This Inner Loop Header: Depth=1
	buffer_load_dword v70, v67, s[0:3], 0 offen
	buffer_load_dword v71, v67, s[0:3], 0 offen offset:4
	ds_read_b64 v[72:73], v66
	v_add_u32_e32 v68, 1, v68
	v_cmp_lt_u32_e32 vcc, 2, v68
	v_add_u32_e32 v66, 8, v66
	v_add_u32_e32 v67, 8, v67
	s_or_b64 s[10:11], vcc, s[10:11]
	s_waitcnt vmcnt(0) lgkmcnt(0)
	v_fmac_f64_e32 v[62:63], v[70:71], v[72:73]
	s_andn2_b64 exec, exec, s[10:11]
	s_cbranch_execnz .LBB29_317
; %bb.318:
	s_or_b64 exec, exec, s[10:11]
.LBB29_319:
	s_or_b64 exec, exec, s[8:9]
	v_mov_b32_e32 v66, 0
	ds_read_b64 v[66:67], v66 offset:32
	s_waitcnt lgkmcnt(0)
	v_mul_f64 v[62:63], v[62:63], v[66:67]
	buffer_store_dword v63, off, s[0:3], 0 offset:36
	buffer_store_dword v62, off, s[0:3], 0 offset:32
.LBB29_320:
	s_or_b64 exec, exec, s[6:7]
	buffer_load_dword v62, off, s[0:3], 0 offset:40
	buffer_load_dword v63, off, s[0:3], 0 offset:44
	v_cmp_gt_u32_e32 vcc, 5, v0
	s_waitcnt vmcnt(0)
	ds_write_b64 v64, v[62:63]
	s_waitcnt lgkmcnt(0)
	; wave barrier
	s_waitcnt lgkmcnt(0)
	s_and_saveexec_b64 s[6:7], vcc
	s_cbranch_execz .LBB29_330
; %bb.321:
	s_and_b64 vcc, exec, s[4:5]
	s_cbranch_vccnz .LBB29_323
; %bb.322:
	buffer_load_dword v62, v65, s[0:3], 0 offen
	buffer_load_dword v63, v65, s[0:3], 0 offen offset:4
	ds_read_b64 v[66:67], v64
	s_waitcnt vmcnt(0) lgkmcnt(0)
	v_mul_f64 v[62:63], v[62:63], v[66:67]
	s_cbranch_execz .LBB29_324
	s_branch .LBB29_325
.LBB29_323:
                                        ; implicit-def: $vgpr62_vgpr63
.LBB29_324:
	ds_read_b64 v[62:63], v64
.LBB29_325:
	v_cmp_ne_u32_e32 vcc, 4, v0
	s_and_saveexec_b64 s[8:9], vcc
	s_cbranch_execz .LBB29_329
; %bb.326:
	v_mov_b32_e32 v67, 0
	v_add_u32_e32 v66, 0xf8, v1
	v_add3_u32 v67, v1, v67, 8
	s_mov_b64 s[10:11], 0
	v_mov_b32_e32 v68, v0
.LBB29_327:                             ; =>This Inner Loop Header: Depth=1
	buffer_load_dword v70, v67, s[0:3], 0 offen
	buffer_load_dword v71, v67, s[0:3], 0 offen offset:4
	ds_read_b64 v[72:73], v66
	v_add_u32_e32 v68, 1, v68
	v_cmp_lt_u32_e32 vcc, 3, v68
	v_add_u32_e32 v66, 8, v66
	v_add_u32_e32 v67, 8, v67
	s_or_b64 s[10:11], vcc, s[10:11]
	s_waitcnt vmcnt(0) lgkmcnt(0)
	v_fmac_f64_e32 v[62:63], v[70:71], v[72:73]
	s_andn2_b64 exec, exec, s[10:11]
	s_cbranch_execnz .LBB29_327
; %bb.328:
	s_or_b64 exec, exec, s[10:11]
.LBB29_329:
	s_or_b64 exec, exec, s[8:9]
	v_mov_b32_e32 v66, 0
	ds_read_b64 v[66:67], v66 offset:40
	s_waitcnt lgkmcnt(0)
	v_mul_f64 v[62:63], v[62:63], v[66:67]
	buffer_store_dword v63, off, s[0:3], 0 offset:44
	buffer_store_dword v62, off, s[0:3], 0 offset:40
.LBB29_330:
	;; [unrolled: 60-line block ×24, first 2 shown]
	s_or_b64 exec, exec, s[6:7]
	buffer_load_dword v62, off, s[0:3], 0 offset:224
	buffer_load_dword v63, off, s[0:3], 0 offset:228
	v_cmp_gt_u32_e64 s[6:7], 28, v0
	s_waitcnt vmcnt(0)
	ds_write_b64 v64, v[62:63]
	s_waitcnt lgkmcnt(0)
	; wave barrier
	s_waitcnt lgkmcnt(0)
	s_and_saveexec_b64 s[8:9], s[6:7]
	s_cbranch_execz .LBB29_560
; %bb.551:
	s_and_b64 vcc, exec, s[4:5]
	s_cbranch_vccnz .LBB29_553
; %bb.552:
	buffer_load_dword v62, v65, s[0:3], 0 offen
	buffer_load_dword v63, v65, s[0:3], 0 offen offset:4
	ds_read_b64 v[66:67], v64
	s_waitcnt vmcnt(0) lgkmcnt(0)
	v_mul_f64 v[62:63], v[62:63], v[66:67]
	s_cbranch_execz .LBB29_554
	s_branch .LBB29_555
.LBB29_553:
                                        ; implicit-def: $vgpr62_vgpr63
.LBB29_554:
	ds_read_b64 v[62:63], v64
.LBB29_555:
	v_cmp_ne_u32_e32 vcc, 27, v0
	s_and_saveexec_b64 s[10:11], vcc
	s_cbranch_execz .LBB29_559
; %bb.556:
	v_mov_b32_e32 v67, 0
	v_add_u32_e32 v66, 0xf8, v1
	v_add3_u32 v67, v1, v67, 8
	s_mov_b64 s[12:13], 0
	v_mov_b32_e32 v68, v0
.LBB29_557:                             ; =>This Inner Loop Header: Depth=1
	buffer_load_dword v70, v67, s[0:3], 0 offen
	buffer_load_dword v71, v67, s[0:3], 0 offen offset:4
	ds_read_b64 v[72:73], v66
	v_add_u32_e32 v68, 1, v68
	v_cmp_lt_u32_e32 vcc, 26, v68
	v_add_u32_e32 v66, 8, v66
	v_add_u32_e32 v67, 8, v67
	s_or_b64 s[12:13], vcc, s[12:13]
	s_waitcnt vmcnt(0) lgkmcnt(0)
	v_fmac_f64_e32 v[62:63], v[70:71], v[72:73]
	s_andn2_b64 exec, exec, s[12:13]
	s_cbranch_execnz .LBB29_557
; %bb.558:
	s_or_b64 exec, exec, s[12:13]
.LBB29_559:
	s_or_b64 exec, exec, s[10:11]
	v_mov_b32_e32 v66, 0
	ds_read_b64 v[66:67], v66 offset:224
	s_waitcnt lgkmcnt(0)
	v_mul_f64 v[62:63], v[62:63], v[66:67]
	buffer_store_dword v63, off, s[0:3], 0 offset:228
	buffer_store_dword v62, off, s[0:3], 0 offset:224
.LBB29_560:
	s_or_b64 exec, exec, s[8:9]
	buffer_load_dword v62, off, s[0:3], 0 offset:232
	buffer_load_dword v63, off, s[0:3], 0 offset:236
	v_cmp_ne_u32_e32 vcc, 29, v0
	s_waitcnt vmcnt(0)
	ds_write_b64 v64, v[62:63]
	s_waitcnt lgkmcnt(0)
	; wave barrier
	s_waitcnt lgkmcnt(0)
	s_and_saveexec_b64 s[8:9], vcc
	s_cbranch_execz .LBB29_570
; %bb.561:
	s_and_b64 vcc, exec, s[4:5]
	s_cbranch_vccnz .LBB29_563
; %bb.562:
	buffer_load_dword v62, v65, s[0:3], 0 offen
	buffer_load_dword v63, v65, s[0:3], 0 offen offset:4
	ds_read_b64 v[66:67], v64
	s_waitcnt vmcnt(0) lgkmcnt(0)
	v_mul_f64 v[62:63], v[62:63], v[66:67]
	s_cbranch_execz .LBB29_564
	s_branch .LBB29_565
.LBB29_563:
                                        ; implicit-def: $vgpr62_vgpr63
.LBB29_564:
	ds_read_b64 v[62:63], v64
.LBB29_565:
	s_and_saveexec_b64 s[4:5], s[6:7]
	s_cbranch_execz .LBB29_569
; %bb.566:
	v_mov_b32_e32 v65, 0
	v_add_u32_e32 v64, 0xf8, v1
	v_add3_u32 v1, v1, v65, 8
	s_mov_b64 s[6:7], 0
.LBB29_567:                             ; =>This Inner Loop Header: Depth=1
	buffer_load_dword v66, v1, s[0:3], 0 offen
	buffer_load_dword v67, v1, s[0:3], 0 offen offset:4
	ds_read_b64 v[68:69], v64
	v_add_u32_e32 v0, 1, v0
	v_cmp_lt_u32_e32 vcc, 27, v0
	v_add_u32_e32 v64, 8, v64
	v_add_u32_e32 v1, 8, v1
	s_or_b64 s[6:7], vcc, s[6:7]
	s_waitcnt vmcnt(0) lgkmcnt(0)
	v_fmac_f64_e32 v[62:63], v[66:67], v[68:69]
	s_andn2_b64 exec, exec, s[6:7]
	s_cbranch_execnz .LBB29_567
; %bb.568:
	s_or_b64 exec, exec, s[6:7]
.LBB29_569:
	s_or_b64 exec, exec, s[4:5]
	v_mov_b32_e32 v0, 0
	ds_read_b64 v[0:1], v0 offset:232
	s_waitcnt lgkmcnt(0)
	v_mul_f64 v[0:1], v[62:63], v[0:1]
	buffer_store_dword v1, off, s[0:3], 0 offset:236
	buffer_store_dword v0, off, s[0:3], 0 offset:232
.LBB29_570:
	s_or_b64 exec, exec, s[8:9]
.LBB29_571:
	buffer_load_dword v0, off, s[0:3], 0
	buffer_load_dword v1, off, s[0:3], 0 offset:4
	buffer_load_dword v62, off, s[0:3], 0 offset:8
	;; [unrolled: 1-line block ×59, first 2 shown]
	s_waitcnt vmcnt(58)
	global_store_dwordx2 v[52:53], v[0:1], off
	s_waitcnt vmcnt(57)
	global_store_dwordx2 v[54:55], v[62:63], off
	;; [unrolled: 2-line block ×9, first 2 shown]
	global_store_dwordx2 v[16:17], v[76:77], off
	global_store_dwordx2 v[18:19], v[78:79], off
	;; [unrolled: 1-line block ×3, first 2 shown]
	s_waitcnt vmcnt(46)
	global_store_dwordx2 v[22:23], v[84:85], off
	s_waitcnt vmcnt(45)
	global_store_dwordx2 v[24:25], v[86:87], off
	;; [unrolled: 2-line block ×18, first 2 shown]
.LBB29_572:
	s_endpgm
	.section	.rodata,"a",@progbits
	.p2align	6, 0x0
	.amdhsa_kernel _ZN9rocsolver6v33100L18trti2_kernel_smallILi30EdPdEEv13rocblas_fill_17rocblas_diagonal_T1_iil
		.amdhsa_group_segment_fixed_size 480
		.amdhsa_private_segment_fixed_size 256
		.amdhsa_kernarg_size 32
		.amdhsa_user_sgpr_count 8
		.amdhsa_user_sgpr_private_segment_buffer 1
		.amdhsa_user_sgpr_dispatch_ptr 0
		.amdhsa_user_sgpr_queue_ptr 0
		.amdhsa_user_sgpr_kernarg_segment_ptr 1
		.amdhsa_user_sgpr_dispatch_id 0
		.amdhsa_user_sgpr_flat_scratch_init 1
		.amdhsa_user_sgpr_kernarg_preload_length 0
		.amdhsa_user_sgpr_kernarg_preload_offset 0
		.amdhsa_user_sgpr_private_segment_size 0
		.amdhsa_uses_dynamic_stack 0
		.amdhsa_system_sgpr_private_segment_wavefront_offset 1
		.amdhsa_system_sgpr_workgroup_id_x 1
		.amdhsa_system_sgpr_workgroup_id_y 0
		.amdhsa_system_sgpr_workgroup_id_z 0
		.amdhsa_system_sgpr_workgroup_info 0
		.amdhsa_system_vgpr_workitem_id 0
		.amdhsa_next_free_vgpr 122
		.amdhsa_next_free_sgpr 20
		.amdhsa_accum_offset 124
		.amdhsa_reserve_vcc 1
		.amdhsa_reserve_flat_scratch 0
		.amdhsa_float_round_mode_32 0
		.amdhsa_float_round_mode_16_64 0
		.amdhsa_float_denorm_mode_32 3
		.amdhsa_float_denorm_mode_16_64 3
		.amdhsa_dx10_clamp 1
		.amdhsa_ieee_mode 1
		.amdhsa_fp16_overflow 0
		.amdhsa_tg_split 0
		.amdhsa_exception_fp_ieee_invalid_op 0
		.amdhsa_exception_fp_denorm_src 0
		.amdhsa_exception_fp_ieee_div_zero 0
		.amdhsa_exception_fp_ieee_overflow 0
		.amdhsa_exception_fp_ieee_underflow 0
		.amdhsa_exception_fp_ieee_inexact 0
		.amdhsa_exception_int_div_zero 0
	.end_amdhsa_kernel
	.section	.text._ZN9rocsolver6v33100L18trti2_kernel_smallILi30EdPdEEv13rocblas_fill_17rocblas_diagonal_T1_iil,"axG",@progbits,_ZN9rocsolver6v33100L18trti2_kernel_smallILi30EdPdEEv13rocblas_fill_17rocblas_diagonal_T1_iil,comdat
.Lfunc_end29:
	.size	_ZN9rocsolver6v33100L18trti2_kernel_smallILi30EdPdEEv13rocblas_fill_17rocblas_diagonal_T1_iil, .Lfunc_end29-_ZN9rocsolver6v33100L18trti2_kernel_smallILi30EdPdEEv13rocblas_fill_17rocblas_diagonal_T1_iil
                                        ; -- End function
	.section	.AMDGPU.csdata,"",@progbits
; Kernel info:
; codeLenInByte = 17312
; NumSgprs: 24
; NumVgprs: 122
; NumAgprs: 0
; TotalNumVgprs: 122
; ScratchSize: 256
; MemoryBound: 0
; FloatMode: 240
; IeeeMode: 1
; LDSByteSize: 480 bytes/workgroup (compile time only)
; SGPRBlocks: 2
; VGPRBlocks: 15
; NumSGPRsForWavesPerEU: 24
; NumVGPRsForWavesPerEU: 122
; AccumOffset: 124
; Occupancy: 4
; WaveLimiterHint : 0
; COMPUTE_PGM_RSRC2:SCRATCH_EN: 1
; COMPUTE_PGM_RSRC2:USER_SGPR: 8
; COMPUTE_PGM_RSRC2:TRAP_HANDLER: 0
; COMPUTE_PGM_RSRC2:TGID_X_EN: 1
; COMPUTE_PGM_RSRC2:TGID_Y_EN: 0
; COMPUTE_PGM_RSRC2:TGID_Z_EN: 0
; COMPUTE_PGM_RSRC2:TIDIG_COMP_CNT: 0
; COMPUTE_PGM_RSRC3_GFX90A:ACCUM_OFFSET: 30
; COMPUTE_PGM_RSRC3_GFX90A:TG_SPLIT: 0
	.section	.text._ZN9rocsolver6v33100L18trti2_kernel_smallILi31EdPdEEv13rocblas_fill_17rocblas_diagonal_T1_iil,"axG",@progbits,_ZN9rocsolver6v33100L18trti2_kernel_smallILi31EdPdEEv13rocblas_fill_17rocblas_diagonal_T1_iil,comdat
	.globl	_ZN9rocsolver6v33100L18trti2_kernel_smallILi31EdPdEEv13rocblas_fill_17rocblas_diagonal_T1_iil ; -- Begin function _ZN9rocsolver6v33100L18trti2_kernel_smallILi31EdPdEEv13rocblas_fill_17rocblas_diagonal_T1_iil
	.p2align	8
	.type	_ZN9rocsolver6v33100L18trti2_kernel_smallILi31EdPdEEv13rocblas_fill_17rocblas_diagonal_T1_iil,@function
_ZN9rocsolver6v33100L18trti2_kernel_smallILi31EdPdEEv13rocblas_fill_17rocblas_diagonal_T1_iil: ; @_ZN9rocsolver6v33100L18trti2_kernel_smallILi31EdPdEEv13rocblas_fill_17rocblas_diagonal_T1_iil
; %bb.0:
	s_add_u32 s0, s0, s9
	s_addc_u32 s1, s1, 0
	v_cmp_gt_u32_e32 vcc, 31, v0
	s_and_saveexec_b64 s[6:7], vcc
	s_cbranch_execz .LBB30_592
; %bb.1:
	s_load_dwordx8 s[12:19], s[4:5], 0x0
	s_ashr_i32 s6, s8, 31
	v_lshlrev_b32_e32 v1, 3, v0
	s_waitcnt lgkmcnt(0)
	s_mul_i32 s7, s8, s19
	s_mul_hi_u32 s9, s8, s18
	s_add_i32 s7, s9, s7
	s_mul_i32 s6, s6, s18
	s_add_i32 s7, s7, s6
	s_mul_i32 s6, s8, s18
	s_ashr_i32 s5, s16, 31
	s_lshl_b64 s[6:7], s[6:7], 3
	s_mov_b32 s4, s16
	s_add_u32 s6, s14, s6
	s_addc_u32 s7, s15, s7
	s_lshl_b64 s[4:5], s[4:5], 3
	s_add_u32 s4, s6, s4
	s_addc_u32 s5, s7, s5
	v_mov_b32_e32 v3, s5
	v_add_co_u32_e32 v2, vcc, s4, v1
	s_ashr_i32 s7, s17, 31
	s_mov_b32 s6, s17
	v_addc_co_u32_e32 v3, vcc, 0, v3, vcc
	s_lshl_b64 s[6:7], s[6:7], 3
	v_add_co_u32_e32 v4, vcc, s6, v2
	s_add_i32 s6, s17, s17
	v_add_u32_e32 v8, s6, v0
	v_mov_b32_e32 v5, s7
	v_ashrrev_i32_e32 v9, 31, v8
	v_addc_co_u32_e32 v5, vcc, v3, v5, vcc
	v_lshlrev_b64 v[6:7], 3, v[8:9]
	v_add_u32_e32 v10, s17, v8
	v_mov_b32_e32 v9, s5
	v_add_co_u32_e32 v6, vcc, s4, v6
	v_ashrrev_i32_e32 v11, 31, v10
	v_addc_co_u32_e32 v7, vcc, v9, v7, vcc
	v_lshlrev_b64 v[8:9], 3, v[10:11]
	v_add_u32_e32 v12, s17, v10
	v_mov_b32_e32 v11, s5
	v_add_co_u32_e32 v8, vcc, s4, v8
	v_ashrrev_i32_e32 v13, 31, v12
	v_addc_co_u32_e32 v9, vcc, v11, v9, vcc
	v_lshlrev_b64 v[10:11], 3, v[12:13]
	v_add_u32_e32 v14, s17, v12
	v_mov_b32_e32 v13, s5
	v_add_co_u32_e32 v10, vcc, s4, v10
	v_ashrrev_i32_e32 v15, 31, v14
	v_addc_co_u32_e32 v11, vcc, v13, v11, vcc
	v_lshlrev_b64 v[12:13], 3, v[14:15]
	v_add_u32_e32 v16, s17, v14
	v_mov_b32_e32 v15, s5
	v_add_co_u32_e32 v12, vcc, s4, v12
	v_ashrrev_i32_e32 v17, 31, v16
	v_addc_co_u32_e32 v13, vcc, v15, v13, vcc
	v_lshlrev_b64 v[14:15], 3, v[16:17]
	v_add_u32_e32 v18, s17, v16
	v_mov_b32_e32 v17, s5
	v_add_co_u32_e32 v14, vcc, s4, v14
	v_ashrrev_i32_e32 v19, 31, v18
	v_addc_co_u32_e32 v15, vcc, v17, v15, vcc
	v_lshlrev_b64 v[16:17], 3, v[18:19]
	v_add_u32_e32 v20, s17, v18
	v_mov_b32_e32 v19, s5
	v_add_co_u32_e32 v16, vcc, s4, v16
	v_ashrrev_i32_e32 v21, 31, v20
	v_addc_co_u32_e32 v17, vcc, v19, v17, vcc
	v_lshlrev_b64 v[18:19], 3, v[20:21]
	v_add_u32_e32 v22, s17, v20
	v_mov_b32_e32 v21, s5
	v_add_co_u32_e32 v18, vcc, s4, v18
	v_ashrrev_i32_e32 v23, 31, v22
	v_addc_co_u32_e32 v19, vcc, v21, v19, vcc
	v_lshlrev_b64 v[20:21], 3, v[22:23]
	v_add_u32_e32 v24, s17, v22
	v_mov_b32_e32 v23, s5
	v_add_co_u32_e32 v20, vcc, s4, v20
	v_ashrrev_i32_e32 v25, 31, v24
	v_addc_co_u32_e32 v21, vcc, v23, v21, vcc
	v_lshlrev_b64 v[22:23], 3, v[24:25]
	v_add_u32_e32 v26, s17, v24
	v_mov_b32_e32 v25, s5
	v_add_co_u32_e32 v22, vcc, s4, v22
	v_ashrrev_i32_e32 v27, 31, v26
	v_addc_co_u32_e32 v23, vcc, v25, v23, vcc
	v_lshlrev_b64 v[24:25], 3, v[26:27]
	v_add_u32_e32 v28, s17, v26
	v_mov_b32_e32 v27, s5
	v_add_co_u32_e32 v24, vcc, s4, v24
	v_ashrrev_i32_e32 v29, 31, v28
	v_addc_co_u32_e32 v25, vcc, v27, v25, vcc
	v_lshlrev_b64 v[26:27], 3, v[28:29]
	v_add_u32_e32 v30, s17, v28
	v_mov_b32_e32 v29, s5
	v_add_co_u32_e32 v26, vcc, s4, v26
	v_ashrrev_i32_e32 v31, 31, v30
	v_addc_co_u32_e32 v27, vcc, v29, v27, vcc
	v_lshlrev_b64 v[28:29], 3, v[30:31]
	v_add_u32_e32 v32, s17, v30
	v_mov_b32_e32 v31, s5
	v_add_co_u32_e32 v28, vcc, s4, v28
	v_ashrrev_i32_e32 v33, 31, v32
	v_addc_co_u32_e32 v29, vcc, v31, v29, vcc
	v_lshlrev_b64 v[30:31], 3, v[32:33]
	v_add_u32_e32 v34, s17, v32
	v_mov_b32_e32 v33, s5
	v_add_co_u32_e32 v30, vcc, s4, v30
	v_ashrrev_i32_e32 v35, 31, v34
	v_addc_co_u32_e32 v31, vcc, v33, v31, vcc
	v_lshlrev_b64 v[32:33], 3, v[34:35]
	v_add_u32_e32 v36, s17, v34
	v_mov_b32_e32 v35, s5
	v_add_co_u32_e32 v32, vcc, s4, v32
	v_ashrrev_i32_e32 v37, 31, v36
	v_addc_co_u32_e32 v33, vcc, v35, v33, vcc
	v_lshlrev_b64 v[34:35], 3, v[36:37]
	v_add_u32_e32 v38, s17, v36
	v_mov_b32_e32 v37, s5
	v_add_co_u32_e32 v34, vcc, s4, v34
	v_ashrrev_i32_e32 v39, 31, v38
	v_addc_co_u32_e32 v35, vcc, v37, v35, vcc
	v_lshlrev_b64 v[36:37], 3, v[38:39]
	v_add_u32_e32 v40, s17, v38
	v_mov_b32_e32 v39, s5
	v_add_co_u32_e32 v36, vcc, s4, v36
	v_ashrrev_i32_e32 v41, 31, v40
	v_addc_co_u32_e32 v37, vcc, v39, v37, vcc
	v_lshlrev_b64 v[38:39], 3, v[40:41]
	v_add_u32_e32 v42, s17, v40
	v_mov_b32_e32 v41, s5
	v_add_co_u32_e32 v38, vcc, s4, v38
	v_ashrrev_i32_e32 v43, 31, v42
	global_load_dwordx2 v[64:65], v1, s[4:5]
	v_addc_co_u32_e32 v39, vcc, v41, v39, vcc
	v_lshlrev_b64 v[40:41], 3, v[42:43]
	v_add_u32_e32 v44, s17, v42
	v_mov_b32_e32 v43, s5
	v_add_co_u32_e32 v40, vcc, s4, v40
	v_ashrrev_i32_e32 v45, 31, v44
	v_addc_co_u32_e32 v41, vcc, v43, v41, vcc
	v_lshlrev_b64 v[42:43], 3, v[44:45]
	v_add_u32_e32 v46, s17, v44
	v_mov_b32_e32 v45, s5
	v_add_co_u32_e32 v42, vcc, s4, v42
	v_ashrrev_i32_e32 v47, 31, v46
	;; [unrolled: 6-line block ×10, first 2 shown]
	v_addc_co_u32_e32 v59, vcc, v61, v59, vcc
	v_lshlrev_b64 v[60:61], 3, v[62:63]
	v_mov_b32_e32 v63, s5
	v_add_co_u32_e32 v60, vcc, s4, v60
	v_add_u32_e32 v62, s17, v62
	v_addc_co_u32_e32 v61, vcc, v63, v61, vcc
	v_ashrrev_i32_e32 v63, 31, v62
	v_lshlrev_b64 v[62:63], 3, v[62:63]
	v_mov_b32_e32 v98, s5
	v_add_co_u32_e32 v62, vcc, s4, v62
	v_addc_co_u32_e32 v63, vcc, v98, v63, vcc
	global_load_dwordx2 v[72:73], v[4:5], off
	global_load_dwordx2 v[70:71], v[6:7], off
	global_load_dwordx2 v[68:69], v[8:9], off
	global_load_dwordx2 v[66:67], v[10:11], off
	global_load_dwordx2 v[80:81], v[12:13], off
	global_load_dwordx2 v[78:79], v[14:15], off
	global_load_dwordx2 v[76:77], v[16:17], off
	global_load_dwordx2 v[74:75], v[18:19], off
	global_load_dwordx2 v[88:89], v[20:21], off
	global_load_dwordx2 v[86:87], v[22:23], off
	global_load_dwordx2 v[84:85], v[24:25], off
	global_load_dwordx2 v[82:83], v[26:27], off
	global_load_dwordx2 v[96:97], v[28:29], off
	global_load_dwordx2 v[94:95], v[30:31], off
	global_load_dwordx2 v[92:93], v[32:33], off
	global_load_dwordx2 v[90:91], v[34:35], off
	global_load_dwordx2 v[100:101], v[36:37], off
	global_load_dwordx2 v[102:103], v[38:39], off
	global_load_dwordx2 v[104:105], v[40:41], off
	global_load_dwordx2 v[106:107], v[42:43], off
	global_load_dwordx2 v[108:109], v[44:45], off
	global_load_dwordx2 v[110:111], v[46:47], off
	global_load_dwordx2 v[112:113], v[48:49], off
	global_load_dwordx2 v[114:115], v[50:51], off
	global_load_dwordx2 v[116:117], v[52:53], off
	global_load_dwordx2 v[118:119], v[54:55], off
	global_load_dwordx2 v[120:121], v[62:63], off
	global_load_dwordx2 v[122:123], v[56:57], off
	global_load_dwordx2 v[124:125], v[58:59], off
	s_cmpk_lg_i32 s13, 0x84
	s_waitcnt vmcnt(29)
	buffer_store_dword v65, off, s[0:3], 0 offset:4
	buffer_store_dword v64, off, s[0:3], 0
	global_load_dwordx2 v[64:65], v[60:61], off
	s_waitcnt vmcnt(31)
	buffer_store_dword v73, off, s[0:3], 0 offset:12
	buffer_store_dword v72, off, s[0:3], 0 offset:8
	s_waitcnt vmcnt(32)
	buffer_store_dword v71, off, s[0:3], 0 offset:20
	buffer_store_dword v70, off, s[0:3], 0 offset:16
	;; [unrolled: 3-line block ×29, first 2 shown]
	buffer_store_dword v120, off, s[0:3], 0 offset:240
	buffer_store_dword v121, off, s[0:3], 0 offset:244
	v_mov_b32_e32 v64, 0
	v_mov_b32_e32 v98, 0
	s_cselect_b64 s[8:9], -1, 0
	s_cmpk_eq_i32 s13, 0x84
	v_mov_b32_e32 v65, 0xbff00000
	s_cbranch_scc1 .LBB30_3
; %bb.2:
	v_lshl_add_u32 v74, v0, 3, v98
	buffer_load_dword v64, v74, s[0:3], 0 offen
	buffer_load_dword v65, v74, s[0:3], 0 offen offset:4
	s_waitcnt vmcnt(0)
	v_div_scale_f64 v[66:67], s[4:5], v[64:65], v[64:65], 1.0
	v_rcp_f64_e32 v[68:69], v[66:67]
	v_div_scale_f64 v[70:71], vcc, 1.0, v[64:65], 1.0
	v_fma_f64 v[72:73], -v[66:67], v[68:69], 1.0
	v_fmac_f64_e32 v[68:69], v[68:69], v[72:73]
	v_fma_f64 v[72:73], -v[66:67], v[68:69], 1.0
	v_fmac_f64_e32 v[68:69], v[68:69], v[72:73]
	v_mul_f64 v[72:73], v[70:71], v[68:69]
	v_fma_f64 v[66:67], -v[66:67], v[72:73], v[70:71]
	v_div_fmas_f64 v[66:67], v[66:67], v[68:69], v[72:73]
	v_div_fixup_f64 v[64:65], v[66:67], v[64:65], 1.0
	buffer_store_dword v64, v74, s[0:3], 0 offen
	buffer_store_dword v65, v74, s[0:3], 0 offen offset:4
	v_xor_b32_e32 v65, 0x80000000, v65
.LBB30_3:
	s_cmpk_eq_i32 s12, 0x79
	v_add_u32_e32 v66, 0x100, v1
	v_add_u32_e32 v67, 0, v1
	s_mov_b64 s[4:5], -1
	ds_write_b64 v1, v[64:65]
	s_cbranch_scc1 .LBB30_297
; %bb.4:
	buffer_load_dword v64, off, s[0:3], 0 offset:232
	buffer_load_dword v65, off, s[0:3], 0 offset:236
	v_cmp_eq_u32_e64 s[4:5], 30, v0
	s_waitcnt vmcnt(0)
	ds_write_b64 v66, v[64:65]
	s_waitcnt lgkmcnt(0)
	; wave barrier
	s_waitcnt lgkmcnt(0)
	s_and_saveexec_b64 s[6:7], s[4:5]
	s_cbranch_execz .LBB30_10
; %bb.5:
	s_and_b64 vcc, exec, s[8:9]
	s_cbranch_vccz .LBB30_7
; %bb.6:
	buffer_load_dword v64, v67, s[0:3], 0 offen
	buffer_load_dword v65, v67, s[0:3], 0 offen offset:4
	ds_read_b64 v[68:69], v66
	s_waitcnt vmcnt(0) lgkmcnt(0)
	v_mul_f64 v[64:65], v[64:65], v[68:69]
	s_cbranch_execz .LBB30_8
	s_branch .LBB30_9
.LBB30_7:
                                        ; implicit-def: $vgpr64_vgpr65
.LBB30_8:
	ds_read_b64 v[64:65], v66
.LBB30_9:
	v_mov_b32_e32 v68, 0
	ds_read_b64 v[68:69], v68 offset:232
	s_waitcnt lgkmcnt(0)
	v_mul_f64 v[64:65], v[64:65], v[68:69]
	buffer_store_dword v65, off, s[0:3], 0 offset:236
	buffer_store_dword v64, off, s[0:3], 0 offset:232
.LBB30_10:
	s_or_b64 exec, exec, s[6:7]
	buffer_load_dword v64, off, s[0:3], 0 offset:224
	buffer_load_dword v65, off, s[0:3], 0 offset:228
	v_or_b32_e32 v68, 8, v98
	v_add_u32_e32 v69, 16, v98
	v_add_u32_e32 v70, 24, v98
	;; [unrolled: 1-line block ×27, first 2 shown]
	v_cmp_lt_u32_e64 s[6:7], 28, v0
	s_waitcnt vmcnt(0)
	ds_write_b64 v66, v[64:65]
	s_waitcnt lgkmcnt(0)
	; wave barrier
	s_waitcnt lgkmcnt(0)
	s_and_saveexec_b64 s[10:11], s[6:7]
	s_cbranch_execz .LBB30_16
; %bb.11:
	s_andn2_b64 vcc, exec, s[8:9]
	s_cbranch_vccnz .LBB30_13
; %bb.12:
	buffer_load_dword v64, v67, s[0:3], 0 offen
	buffer_load_dword v65, v67, s[0:3], 0 offen offset:4
	ds_read_b64 v[96:97], v66
	s_waitcnt vmcnt(0) lgkmcnt(0)
	v_mul_f64 v[64:65], v[64:65], v[96:97]
	s_cbranch_execz .LBB30_14
	s_branch .LBB30_15
.LBB30_13:
                                        ; implicit-def: $vgpr64_vgpr65
.LBB30_14:
	ds_read_b64 v[64:65], v66
.LBB30_15:
	buffer_load_dword v100, off, s[0:3], 0 offset:232
	buffer_load_dword v101, off, s[0:3], 0 offset:236
	v_mov_b32_e32 v96, 0
	ds_read2_b64 v[96:99], v96 offset0:28 offset1:61
	s_waitcnt vmcnt(0) lgkmcnt(0)
	v_fma_f64 v[98:99], v[100:101], v[98:99], v[64:65]
	v_cndmask_b32_e64 v65, v65, v99, s[4:5]
	v_cndmask_b32_e64 v64, v64, v98, s[4:5]
	v_mul_f64 v[64:65], v[64:65], v[96:97]
	buffer_store_dword v65, off, s[0:3], 0 offset:228
	buffer_store_dword v64, off, s[0:3], 0 offset:224
.LBB30_16:
	s_or_b64 exec, exec, s[10:11]
	buffer_load_dword v64, off, s[0:3], 0 offset:216
	buffer_load_dword v65, off, s[0:3], 0 offset:220
	v_cmp_lt_u32_e64 s[4:5], 27, v0
	s_waitcnt vmcnt(0)
	ds_write_b64 v66, v[64:65]
	s_waitcnt lgkmcnt(0)
	; wave barrier
	s_waitcnt lgkmcnt(0)
	s_and_saveexec_b64 s[10:11], s[4:5]
	s_cbranch_execz .LBB30_26
; %bb.17:
	s_andn2_b64 vcc, exec, s[8:9]
	s_cbranch_vccnz .LBB30_19
; %bb.18:
	buffer_load_dword v64, v67, s[0:3], 0 offen
	buffer_load_dword v65, v67, s[0:3], 0 offen offset:4
	ds_read_b64 v[96:97], v66
	s_waitcnt vmcnt(0) lgkmcnt(0)
	v_mul_f64 v[64:65], v[64:65], v[96:97]
	s_cbranch_execz .LBB30_20
	s_branch .LBB30_21
.LBB30_19:
                                        ; implicit-def: $vgpr64_vgpr65
.LBB30_20:
	ds_read_b64 v[64:65], v66
.LBB30_21:
	s_and_saveexec_b64 s[12:13], s[6:7]
	s_cbranch_execz .LBB30_25
; %bb.22:
	v_subrev_u32_e32 v96, 28, v0
	s_movk_i32 s14, 0x1e0
	s_mov_b64 s[6:7], 0
.LBB30_23:                              ; =>This Inner Loop Header: Depth=1
	buffer_load_dword v98, v95, s[0:3], 0 offen
	buffer_load_dword v99, v95, s[0:3], 0 offen offset:4
	v_mov_b32_e32 v97, s14
	ds_read_b64 v[100:101], v97
	v_add_u32_e32 v96, -1, v96
	s_add_i32 s14, s14, 8
	v_cmp_eq_u32_e32 vcc, 0, v96
	v_add_u32_e32 v95, 8, v95
	s_or_b64 s[6:7], vcc, s[6:7]
	s_waitcnt vmcnt(0) lgkmcnt(0)
	v_fmac_f64_e32 v[64:65], v[98:99], v[100:101]
	s_andn2_b64 exec, exec, s[6:7]
	s_cbranch_execnz .LBB30_23
; %bb.24:
	s_or_b64 exec, exec, s[6:7]
.LBB30_25:
	s_or_b64 exec, exec, s[12:13]
	v_mov_b32_e32 v95, 0
	ds_read_b64 v[96:97], v95 offset:216
	s_waitcnt lgkmcnt(0)
	v_mul_f64 v[64:65], v[64:65], v[96:97]
	buffer_store_dword v65, off, s[0:3], 0 offset:220
	buffer_store_dword v64, off, s[0:3], 0 offset:216
.LBB30_26:
	s_or_b64 exec, exec, s[10:11]
	buffer_load_dword v64, off, s[0:3], 0 offset:208
	buffer_load_dword v65, off, s[0:3], 0 offset:212
	v_cmp_lt_u32_e64 s[6:7], 26, v0
	s_waitcnt vmcnt(0)
	ds_write_b64 v66, v[64:65]
	s_waitcnt lgkmcnt(0)
	; wave barrier
	s_waitcnt lgkmcnt(0)
	s_and_saveexec_b64 s[10:11], s[6:7]
	s_cbranch_execz .LBB30_36
; %bb.27:
	s_andn2_b64 vcc, exec, s[8:9]
	s_cbranch_vccnz .LBB30_29
; %bb.28:
	buffer_load_dword v64, v67, s[0:3], 0 offen
	buffer_load_dword v65, v67, s[0:3], 0 offen offset:4
	ds_read_b64 v[96:97], v66
	s_waitcnt vmcnt(0) lgkmcnt(0)
	v_mul_f64 v[64:65], v[64:65], v[96:97]
	s_cbranch_execz .LBB30_30
	s_branch .LBB30_31
.LBB30_29:
                                        ; implicit-def: $vgpr64_vgpr65
.LBB30_30:
	ds_read_b64 v[64:65], v66
.LBB30_31:
	s_and_saveexec_b64 s[12:13], s[4:5]
	s_cbranch_execz .LBB30_35
; %bb.32:
	v_subrev_u32_e32 v95, 27, v0
	s_movk_i32 s14, 0x1d8
	s_mov_b64 s[4:5], 0
.LBB30_33:                              ; =>This Inner Loop Header: Depth=1
	buffer_load_dword v96, v94, s[0:3], 0 offen
	buffer_load_dword v97, v94, s[0:3], 0 offen offset:4
	v_mov_b32_e32 v98, s14
	ds_read_b64 v[98:99], v98
	v_add_u32_e32 v95, -1, v95
	s_add_i32 s14, s14, 8
	v_cmp_eq_u32_e32 vcc, 0, v95
	v_add_u32_e32 v94, 8, v94
	s_or_b64 s[4:5], vcc, s[4:5]
	s_waitcnt vmcnt(0) lgkmcnt(0)
	v_fmac_f64_e32 v[64:65], v[96:97], v[98:99]
	s_andn2_b64 exec, exec, s[4:5]
	s_cbranch_execnz .LBB30_33
; %bb.34:
	s_or_b64 exec, exec, s[4:5]
.LBB30_35:
	s_or_b64 exec, exec, s[12:13]
	v_mov_b32_e32 v94, 0
	ds_read_b64 v[94:95], v94 offset:208
	s_waitcnt lgkmcnt(0)
	v_mul_f64 v[64:65], v[64:65], v[94:95]
	buffer_store_dword v65, off, s[0:3], 0 offset:212
	buffer_store_dword v64, off, s[0:3], 0 offset:208
.LBB30_36:
	;; [unrolled: 58-line block ×8, first 2 shown]
	s_or_b64 exec, exec, s[10:11]
	buffer_load_dword v64, off, s[0:3], 0 offset:152
	buffer_load_dword v65, off, s[0:3], 0 offset:156
	v_cmp_lt_u32_e64 s[4:5], 19, v0
	s_waitcnt vmcnt(0)
	ds_write_b64 v66, v[64:65]
	s_waitcnt lgkmcnt(0)
	; wave barrier
	s_waitcnt lgkmcnt(0)
	s_and_saveexec_b64 s[10:11], s[4:5]
	s_cbranch_execz .LBB30_106
; %bb.97:
	s_andn2_b64 vcc, exec, s[8:9]
	s_cbranch_vccnz .LBB30_99
; %bb.98:
	buffer_load_dword v64, v67, s[0:3], 0 offen
	buffer_load_dword v65, v67, s[0:3], 0 offen offset:4
	ds_read_b64 v[88:89], v66
	s_waitcnt vmcnt(0) lgkmcnt(0)
	v_mul_f64 v[64:65], v[64:65], v[88:89]
	s_cbranch_execz .LBB30_100
	s_branch .LBB30_101
.LBB30_99:
                                        ; implicit-def: $vgpr64_vgpr65
.LBB30_100:
	ds_read_b64 v[64:65], v66
.LBB30_101:
	s_and_saveexec_b64 s[12:13], s[6:7]
	s_cbranch_execz .LBB30_105
; %bb.102:
	v_subrev_u32_e32 v88, 20, v0
	s_movk_i32 s14, 0x1a0
	s_mov_b64 s[6:7], 0
.LBB30_103:                             ; =>This Inner Loop Header: Depth=1
	buffer_load_dword v90, v87, s[0:3], 0 offen
	buffer_load_dword v91, v87, s[0:3], 0 offen offset:4
	v_mov_b32_e32 v89, s14
	ds_read_b64 v[92:93], v89
	v_add_u32_e32 v88, -1, v88
	s_add_i32 s14, s14, 8
	v_cmp_eq_u32_e32 vcc, 0, v88
	v_add_u32_e32 v87, 8, v87
	s_or_b64 s[6:7], vcc, s[6:7]
	s_waitcnt vmcnt(0) lgkmcnt(0)
	v_fmac_f64_e32 v[64:65], v[90:91], v[92:93]
	s_andn2_b64 exec, exec, s[6:7]
	s_cbranch_execnz .LBB30_103
; %bb.104:
	s_or_b64 exec, exec, s[6:7]
.LBB30_105:
	s_or_b64 exec, exec, s[12:13]
	v_mov_b32_e32 v87, 0
	ds_read_b64 v[88:89], v87 offset:152
	s_waitcnt lgkmcnt(0)
	v_mul_f64 v[64:65], v[64:65], v[88:89]
	buffer_store_dword v65, off, s[0:3], 0 offset:156
	buffer_store_dword v64, off, s[0:3], 0 offset:152
.LBB30_106:
	s_or_b64 exec, exec, s[10:11]
	buffer_load_dword v64, off, s[0:3], 0 offset:144
	buffer_load_dword v65, off, s[0:3], 0 offset:148
	v_cmp_lt_u32_e64 s[6:7], 18, v0
	s_waitcnt vmcnt(0)
	ds_write_b64 v66, v[64:65]
	s_waitcnt lgkmcnt(0)
	; wave barrier
	s_waitcnt lgkmcnt(0)
	s_and_saveexec_b64 s[10:11], s[6:7]
	s_cbranch_execz .LBB30_116
; %bb.107:
	s_andn2_b64 vcc, exec, s[8:9]
	s_cbranch_vccnz .LBB30_109
; %bb.108:
	buffer_load_dword v64, v67, s[0:3], 0 offen
	buffer_load_dword v65, v67, s[0:3], 0 offen offset:4
	ds_read_b64 v[88:89], v66
	s_waitcnt vmcnt(0) lgkmcnt(0)
	v_mul_f64 v[64:65], v[64:65], v[88:89]
	s_cbranch_execz .LBB30_110
	s_branch .LBB30_111
.LBB30_109:
                                        ; implicit-def: $vgpr64_vgpr65
.LBB30_110:
	ds_read_b64 v[64:65], v66
.LBB30_111:
	s_and_saveexec_b64 s[12:13], s[4:5]
	s_cbranch_execz .LBB30_115
; %bb.112:
	v_subrev_u32_e32 v87, 19, v0
	s_movk_i32 s14, 0x198
	s_mov_b64 s[4:5], 0
.LBB30_113:                             ; =>This Inner Loop Header: Depth=1
	buffer_load_dword v88, v86, s[0:3], 0 offen
	buffer_load_dword v89, v86, s[0:3], 0 offen offset:4
	v_mov_b32_e32 v90, s14
	ds_read_b64 v[90:91], v90
	v_add_u32_e32 v87, -1, v87
	s_add_i32 s14, s14, 8
	v_cmp_eq_u32_e32 vcc, 0, v87
	v_add_u32_e32 v86, 8, v86
	s_or_b64 s[4:5], vcc, s[4:5]
	s_waitcnt vmcnt(0) lgkmcnt(0)
	v_fmac_f64_e32 v[64:65], v[88:89], v[90:91]
	s_andn2_b64 exec, exec, s[4:5]
	s_cbranch_execnz .LBB30_113
; %bb.114:
	s_or_b64 exec, exec, s[4:5]
.LBB30_115:
	s_or_b64 exec, exec, s[12:13]
	v_mov_b32_e32 v86, 0
	ds_read_b64 v[86:87], v86 offset:144
	s_waitcnt lgkmcnt(0)
	v_mul_f64 v[64:65], v[64:65], v[86:87]
	buffer_store_dword v65, off, s[0:3], 0 offset:148
	buffer_store_dword v64, off, s[0:3], 0 offset:144
.LBB30_116:
	s_or_b64 exec, exec, s[10:11]
	buffer_load_dword v64, off, s[0:3], 0 offset:136
	buffer_load_dword v65, off, s[0:3], 0 offset:140
	v_cmp_lt_u32_e64 s[4:5], 17, v0
	s_waitcnt vmcnt(0)
	ds_write_b64 v66, v[64:65]
	s_waitcnt lgkmcnt(0)
	; wave barrier
	s_waitcnt lgkmcnt(0)
	s_and_saveexec_b64 s[10:11], s[4:5]
	s_cbranch_execz .LBB30_126
; %bb.117:
	s_andn2_b64 vcc, exec, s[8:9]
	s_cbranch_vccnz .LBB30_119
; %bb.118:
	buffer_load_dword v64, v67, s[0:3], 0 offen
	buffer_load_dword v65, v67, s[0:3], 0 offen offset:4
	ds_read_b64 v[86:87], v66
	s_waitcnt vmcnt(0) lgkmcnt(0)
	v_mul_f64 v[64:65], v[64:65], v[86:87]
	s_cbranch_execz .LBB30_120
	s_branch .LBB30_121
.LBB30_119:
                                        ; implicit-def: $vgpr64_vgpr65
.LBB30_120:
	ds_read_b64 v[64:65], v66
.LBB30_121:
	s_and_saveexec_b64 s[12:13], s[6:7]
	s_cbranch_execz .LBB30_125
; %bb.122:
	v_subrev_u32_e32 v86, 18, v0
	s_movk_i32 s14, 0x190
	s_mov_b64 s[6:7], 0
.LBB30_123:                             ; =>This Inner Loop Header: Depth=1
	buffer_load_dword v88, v85, s[0:3], 0 offen
	buffer_load_dword v89, v85, s[0:3], 0 offen offset:4
	v_mov_b32_e32 v87, s14
	ds_read_b64 v[90:91], v87
	v_add_u32_e32 v86, -1, v86
	s_add_i32 s14, s14, 8
	v_cmp_eq_u32_e32 vcc, 0, v86
	v_add_u32_e32 v85, 8, v85
	s_or_b64 s[6:7], vcc, s[6:7]
	s_waitcnt vmcnt(0) lgkmcnt(0)
	v_fmac_f64_e32 v[64:65], v[88:89], v[90:91]
	s_andn2_b64 exec, exec, s[6:7]
	s_cbranch_execnz .LBB30_123
; %bb.124:
	s_or_b64 exec, exec, s[6:7]
.LBB30_125:
	s_or_b64 exec, exec, s[12:13]
	v_mov_b32_e32 v85, 0
	ds_read_b64 v[86:87], v85 offset:136
	s_waitcnt lgkmcnt(0)
	v_mul_f64 v[64:65], v[64:65], v[86:87]
	buffer_store_dword v65, off, s[0:3], 0 offset:140
	buffer_store_dword v64, off, s[0:3], 0 offset:136
.LBB30_126:
	s_or_b64 exec, exec, s[10:11]
	buffer_load_dword v64, off, s[0:3], 0 offset:128
	buffer_load_dword v65, off, s[0:3], 0 offset:132
	v_cmp_lt_u32_e64 s[6:7], 16, v0
	s_waitcnt vmcnt(0)
	ds_write_b64 v66, v[64:65]
	s_waitcnt lgkmcnt(0)
	; wave barrier
	s_waitcnt lgkmcnt(0)
	s_and_saveexec_b64 s[10:11], s[6:7]
	s_cbranch_execz .LBB30_136
; %bb.127:
	s_andn2_b64 vcc, exec, s[8:9]
	s_cbranch_vccnz .LBB30_129
; %bb.128:
	buffer_load_dword v64, v67, s[0:3], 0 offen
	buffer_load_dword v65, v67, s[0:3], 0 offen offset:4
	ds_read_b64 v[86:87], v66
	s_waitcnt vmcnt(0) lgkmcnt(0)
	v_mul_f64 v[64:65], v[64:65], v[86:87]
	s_cbranch_execz .LBB30_130
	s_branch .LBB30_131
.LBB30_129:
                                        ; implicit-def: $vgpr64_vgpr65
.LBB30_130:
	ds_read_b64 v[64:65], v66
.LBB30_131:
	s_and_saveexec_b64 s[12:13], s[4:5]
	s_cbranch_execz .LBB30_135
; %bb.132:
	v_subrev_u32_e32 v85, 17, v0
	s_movk_i32 s14, 0x188
	s_mov_b64 s[4:5], 0
.LBB30_133:                             ; =>This Inner Loop Header: Depth=1
	buffer_load_dword v86, v84, s[0:3], 0 offen
	buffer_load_dword v87, v84, s[0:3], 0 offen offset:4
	v_mov_b32_e32 v88, s14
	ds_read_b64 v[88:89], v88
	v_add_u32_e32 v85, -1, v85
	s_add_i32 s14, s14, 8
	v_cmp_eq_u32_e32 vcc, 0, v85
	v_add_u32_e32 v84, 8, v84
	s_or_b64 s[4:5], vcc, s[4:5]
	s_waitcnt vmcnt(0) lgkmcnt(0)
	v_fmac_f64_e32 v[64:65], v[86:87], v[88:89]
	s_andn2_b64 exec, exec, s[4:5]
	s_cbranch_execnz .LBB30_133
; %bb.134:
	s_or_b64 exec, exec, s[4:5]
.LBB30_135:
	s_or_b64 exec, exec, s[12:13]
	v_mov_b32_e32 v84, 0
	ds_read_b64 v[84:85], v84 offset:128
	s_waitcnt lgkmcnt(0)
	v_mul_f64 v[64:65], v[64:65], v[84:85]
	buffer_store_dword v65, off, s[0:3], 0 offset:132
	buffer_store_dword v64, off, s[0:3], 0 offset:128
.LBB30_136:
	s_or_b64 exec, exec, s[10:11]
	buffer_load_dword v64, off, s[0:3], 0 offset:120
	buffer_load_dword v65, off, s[0:3], 0 offset:124
	v_cmp_lt_u32_e64 s[4:5], 15, v0
	s_waitcnt vmcnt(0)
	ds_write_b64 v66, v[64:65]
	s_waitcnt lgkmcnt(0)
	; wave barrier
	s_waitcnt lgkmcnt(0)
	s_and_saveexec_b64 s[10:11], s[4:5]
	s_cbranch_execz .LBB30_146
; %bb.137:
	s_andn2_b64 vcc, exec, s[8:9]
	s_cbranch_vccnz .LBB30_139
; %bb.138:
	buffer_load_dword v64, v67, s[0:3], 0 offen
	buffer_load_dword v65, v67, s[0:3], 0 offen offset:4
	ds_read_b64 v[84:85], v66
	s_waitcnt vmcnt(0) lgkmcnt(0)
	v_mul_f64 v[64:65], v[64:65], v[84:85]
	s_cbranch_execz .LBB30_140
	s_branch .LBB30_141
.LBB30_139:
                                        ; implicit-def: $vgpr64_vgpr65
.LBB30_140:
	ds_read_b64 v[64:65], v66
.LBB30_141:
	s_and_saveexec_b64 s[12:13], s[6:7]
	s_cbranch_execz .LBB30_145
; %bb.142:
	v_add_u32_e32 v84, -16, v0
	s_movk_i32 s14, 0x180
	s_mov_b64 s[6:7], 0
.LBB30_143:                             ; =>This Inner Loop Header: Depth=1
	buffer_load_dword v86, v83, s[0:3], 0 offen
	buffer_load_dword v87, v83, s[0:3], 0 offen offset:4
	v_mov_b32_e32 v85, s14
	ds_read_b64 v[88:89], v85
	v_add_u32_e32 v84, -1, v84
	s_add_i32 s14, s14, 8
	v_cmp_eq_u32_e32 vcc, 0, v84
	v_add_u32_e32 v83, 8, v83
	s_or_b64 s[6:7], vcc, s[6:7]
	s_waitcnt vmcnt(0) lgkmcnt(0)
	v_fmac_f64_e32 v[64:65], v[86:87], v[88:89]
	s_andn2_b64 exec, exec, s[6:7]
	s_cbranch_execnz .LBB30_143
; %bb.144:
	s_or_b64 exec, exec, s[6:7]
.LBB30_145:
	s_or_b64 exec, exec, s[12:13]
	v_mov_b32_e32 v83, 0
	ds_read_b64 v[84:85], v83 offset:120
	s_waitcnt lgkmcnt(0)
	v_mul_f64 v[64:65], v[64:65], v[84:85]
	buffer_store_dword v65, off, s[0:3], 0 offset:124
	buffer_store_dword v64, off, s[0:3], 0 offset:120
.LBB30_146:
	s_or_b64 exec, exec, s[10:11]
	buffer_load_dword v64, off, s[0:3], 0 offset:112
	buffer_load_dword v65, off, s[0:3], 0 offset:116
	v_cmp_lt_u32_e64 s[6:7], 14, v0
	s_waitcnt vmcnt(0)
	ds_write_b64 v66, v[64:65]
	s_waitcnt lgkmcnt(0)
	; wave barrier
	s_waitcnt lgkmcnt(0)
	s_and_saveexec_b64 s[10:11], s[6:7]
	s_cbranch_execz .LBB30_156
; %bb.147:
	s_andn2_b64 vcc, exec, s[8:9]
	s_cbranch_vccnz .LBB30_149
; %bb.148:
	buffer_load_dword v64, v67, s[0:3], 0 offen
	buffer_load_dword v65, v67, s[0:3], 0 offen offset:4
	ds_read_b64 v[84:85], v66
	s_waitcnt vmcnt(0) lgkmcnt(0)
	v_mul_f64 v[64:65], v[64:65], v[84:85]
	s_cbranch_execz .LBB30_150
	s_branch .LBB30_151
.LBB30_149:
                                        ; implicit-def: $vgpr64_vgpr65
.LBB30_150:
	ds_read_b64 v[64:65], v66
.LBB30_151:
	s_and_saveexec_b64 s[12:13], s[4:5]
	s_cbranch_execz .LBB30_155
; %bb.152:
	v_add_u32_e32 v83, -15, v0
	s_movk_i32 s14, 0x178
	s_mov_b64 s[4:5], 0
.LBB30_153:                             ; =>This Inner Loop Header: Depth=1
	buffer_load_dword v84, v82, s[0:3], 0 offen
	buffer_load_dword v85, v82, s[0:3], 0 offen offset:4
	v_mov_b32_e32 v86, s14
	ds_read_b64 v[86:87], v86
	v_add_u32_e32 v83, -1, v83
	s_add_i32 s14, s14, 8
	v_cmp_eq_u32_e32 vcc, 0, v83
	v_add_u32_e32 v82, 8, v82
	s_or_b64 s[4:5], vcc, s[4:5]
	s_waitcnt vmcnt(0) lgkmcnt(0)
	v_fmac_f64_e32 v[64:65], v[84:85], v[86:87]
	s_andn2_b64 exec, exec, s[4:5]
	s_cbranch_execnz .LBB30_153
; %bb.154:
	s_or_b64 exec, exec, s[4:5]
.LBB30_155:
	s_or_b64 exec, exec, s[12:13]
	v_mov_b32_e32 v82, 0
	ds_read_b64 v[82:83], v82 offset:112
	s_waitcnt lgkmcnt(0)
	v_mul_f64 v[64:65], v[64:65], v[82:83]
	buffer_store_dword v65, off, s[0:3], 0 offset:116
	buffer_store_dword v64, off, s[0:3], 0 offset:112
.LBB30_156:
	;; [unrolled: 58-line block ×15, first 2 shown]
	s_or_b64 exec, exec, s[10:11]
	buffer_load_dword v64, off, s[0:3], 0
	buffer_load_dword v65, off, s[0:3], 0 offset:4
	v_cmp_ne_u32_e32 vcc, 0, v0
	s_waitcnt vmcnt(0)
	ds_write_b64 v66, v[64:65]
	s_waitcnt lgkmcnt(0)
	; wave barrier
	s_waitcnt lgkmcnt(0)
	s_and_saveexec_b64 s[6:7], vcc
	s_cbranch_execz .LBB30_296
; %bb.287:
	s_andn2_b64 vcc, exec, s[8:9]
	s_cbranch_vccnz .LBB30_289
; %bb.288:
	buffer_load_dword v64, v67, s[0:3], 0 offen
	buffer_load_dword v65, v67, s[0:3], 0 offen offset:4
	ds_read_b64 v[70:71], v66
	s_waitcnt vmcnt(0) lgkmcnt(0)
	v_mul_f64 v[64:65], v[64:65], v[70:71]
	s_cbranch_execz .LBB30_290
	s_branch .LBB30_291
.LBB30_289:
                                        ; implicit-def: $vgpr64_vgpr65
.LBB30_290:
	ds_read_b64 v[64:65], v66
.LBB30_291:
	s_and_saveexec_b64 s[10:11], s[4:5]
	s_cbranch_execz .LBB30_295
; %bb.292:
	v_add_u32_e32 v69, -1, v0
	s_movk_i32 s12, 0x108
	s_mov_b64 s[4:5], 0
.LBB30_293:                             ; =>This Inner Loop Header: Depth=1
	buffer_load_dword v70, v68, s[0:3], 0 offen
	buffer_load_dword v71, v68, s[0:3], 0 offen offset:4
	v_mov_b32_e32 v72, s12
	ds_read_b64 v[72:73], v72
	v_add_u32_e32 v69, -1, v69
	s_add_i32 s12, s12, 8
	v_cmp_eq_u32_e32 vcc, 0, v69
	v_add_u32_e32 v68, 8, v68
	s_or_b64 s[4:5], vcc, s[4:5]
	s_waitcnt vmcnt(0) lgkmcnt(0)
	v_fmac_f64_e32 v[64:65], v[70:71], v[72:73]
	s_andn2_b64 exec, exec, s[4:5]
	s_cbranch_execnz .LBB30_293
; %bb.294:
	s_or_b64 exec, exec, s[4:5]
.LBB30_295:
	s_or_b64 exec, exec, s[10:11]
	v_mov_b32_e32 v68, 0
	ds_read_b64 v[68:69], v68
	s_waitcnt lgkmcnt(0)
	v_mul_f64 v[64:65], v[64:65], v[68:69]
	buffer_store_dword v65, off, s[0:3], 0 offset:4
	buffer_store_dword v64, off, s[0:3], 0
.LBB30_296:
	s_or_b64 exec, exec, s[6:7]
	s_mov_b64 s[4:5], 0
.LBB30_297:
	s_and_b64 vcc, exec, s[4:5]
	s_cbranch_vccz .LBB30_591
; %bb.298:
	buffer_load_dword v64, off, s[0:3], 0 offset:8
	buffer_load_dword v65, off, s[0:3], 0 offset:12
	v_cmp_eq_u32_e64 s[6:7], 0, v0
	s_waitcnt vmcnt(0)
	ds_write_b64 v66, v[64:65]
	s_waitcnt lgkmcnt(0)
	; wave barrier
	s_waitcnt lgkmcnt(0)
	s_and_saveexec_b64 s[4:5], s[6:7]
	s_cbranch_execz .LBB30_304
; %bb.299:
	s_and_b64 vcc, exec, s[8:9]
	s_cbranch_vccz .LBB30_301
; %bb.300:
	buffer_load_dword v64, v67, s[0:3], 0 offen
	buffer_load_dword v65, v67, s[0:3], 0 offen offset:4
	ds_read_b64 v[68:69], v66
	s_waitcnt vmcnt(0) lgkmcnt(0)
	v_mul_f64 v[64:65], v[64:65], v[68:69]
	s_cbranch_execz .LBB30_302
	s_branch .LBB30_303
.LBB30_301:
                                        ; implicit-def: $vgpr64_vgpr65
.LBB30_302:
	ds_read_b64 v[64:65], v66
.LBB30_303:
	v_mov_b32_e32 v68, 0
	ds_read_b64 v[68:69], v68 offset:8
	s_waitcnt lgkmcnt(0)
	v_mul_f64 v[64:65], v[64:65], v[68:69]
	buffer_store_dword v65, off, s[0:3], 0 offset:12
	buffer_store_dword v64, off, s[0:3], 0 offset:8
.LBB30_304:
	s_or_b64 exec, exec, s[4:5]
	buffer_load_dword v64, off, s[0:3], 0 offset:16
	buffer_load_dword v65, off, s[0:3], 0 offset:20
	v_cndmask_b32_e64 v68, 0, 1, s[8:9]
	v_cmp_gt_u32_e32 vcc, 2, v0
	v_cmp_ne_u32_e64 s[4:5], 1, v68
	s_waitcnt vmcnt(0)
	ds_write_b64 v66, v[64:65]
	s_waitcnt lgkmcnt(0)
	; wave barrier
	s_waitcnt lgkmcnt(0)
	s_and_saveexec_b64 s[8:9], vcc
	s_cbranch_execz .LBB30_312
; %bb.305:
	s_and_b64 vcc, exec, s[4:5]
	s_cbranch_vccnz .LBB30_307
; %bb.306:
	buffer_load_dword v64, v67, s[0:3], 0 offen
	buffer_load_dword v65, v67, s[0:3], 0 offen offset:4
	ds_read_b64 v[68:69], v66
	s_waitcnt vmcnt(0) lgkmcnt(0)
	v_mul_f64 v[64:65], v[64:65], v[68:69]
	s_cbranch_execz .LBB30_308
	s_branch .LBB30_309
.LBB30_307:
                                        ; implicit-def: $vgpr64_vgpr65
.LBB30_308:
	ds_read_b64 v[64:65], v66
.LBB30_309:
	s_and_saveexec_b64 s[10:11], s[6:7]
	s_cbranch_execz .LBB30_311
; %bb.310:
	buffer_load_dword v68, v67, s[0:3], 0 offen offset:8
	buffer_load_dword v69, v67, s[0:3], 0 offen offset:12
	ds_read_b64 v[70:71], v66 offset:8
	s_waitcnt vmcnt(0) lgkmcnt(0)
	v_fmac_f64_e32 v[64:65], v[68:69], v[70:71]
.LBB30_311:
	s_or_b64 exec, exec, s[10:11]
	v_mov_b32_e32 v68, 0
	ds_read_b64 v[68:69], v68 offset:16
	s_waitcnt lgkmcnt(0)
	v_mul_f64 v[64:65], v[64:65], v[68:69]
	buffer_store_dword v65, off, s[0:3], 0 offset:20
	buffer_store_dword v64, off, s[0:3], 0 offset:16
.LBB30_312:
	s_or_b64 exec, exec, s[8:9]
	buffer_load_dword v64, off, s[0:3], 0 offset:24
	buffer_load_dword v65, off, s[0:3], 0 offset:28
	v_cmp_gt_u32_e32 vcc, 3, v0
	s_waitcnt vmcnt(0)
	ds_write_b64 v66, v[64:65]
	s_waitcnt lgkmcnt(0)
	; wave barrier
	s_waitcnt lgkmcnt(0)
	s_and_saveexec_b64 s[8:9], vcc
	s_cbranch_execz .LBB30_320
; %bb.313:
	s_and_b64 vcc, exec, s[4:5]
	s_cbranch_vccnz .LBB30_315
; %bb.314:
	buffer_load_dword v64, v67, s[0:3], 0 offen
	buffer_load_dword v65, v67, s[0:3], 0 offen offset:4
	ds_read_b64 v[68:69], v66
	s_waitcnt vmcnt(0) lgkmcnt(0)
	v_mul_f64 v[64:65], v[64:65], v[68:69]
	s_cbranch_execz .LBB30_316
	s_branch .LBB30_317
.LBB30_315:
                                        ; implicit-def: $vgpr64_vgpr65
.LBB30_316:
	ds_read_b64 v[64:65], v66
.LBB30_317:
	v_cmp_ne_u32_e32 vcc, 2, v0
	s_and_saveexec_b64 s[10:11], vcc
	s_cbranch_execz .LBB30_319
; %bb.318:
	buffer_load_dword v69, v67, s[0:3], 0 offen offset:12
	buffer_load_dword v70, off, s[0:3], 0 offset:16
	buffer_load_dword v68, v67, s[0:3], 0 offen offset:8
	buffer_load_dword v71, off, s[0:3], 0 offset:20
	v_mov_b32_e32 v74, 0
	ds_read_b64 v[72:73], v66 offset:8
	ds_read_b64 v[74:75], v74 offset:272
	s_waitcnt vmcnt(1) lgkmcnt(1)
	v_fmac_f64_e32 v[64:65], v[68:69], v[72:73]
	s_waitcnt vmcnt(0) lgkmcnt(0)
	v_fma_f64 v[68:69], v[70:71], v[74:75], v[64:65]
	v_cndmask_b32_e64 v65, v65, v69, s[6:7]
	v_cndmask_b32_e64 v64, v64, v68, s[6:7]
.LBB30_319:
	s_or_b64 exec, exec, s[10:11]
	v_mov_b32_e32 v68, 0
	ds_read_b64 v[68:69], v68 offset:24
	s_waitcnt lgkmcnt(0)
	v_mul_f64 v[64:65], v[64:65], v[68:69]
	buffer_store_dword v65, off, s[0:3], 0 offset:28
	buffer_store_dword v64, off, s[0:3], 0 offset:24
.LBB30_320:
	s_or_b64 exec, exec, s[8:9]
	buffer_load_dword v64, off, s[0:3], 0 offset:32
	buffer_load_dword v65, off, s[0:3], 0 offset:36
	v_cmp_gt_u32_e32 vcc, 4, v0
	s_waitcnt vmcnt(0)
	ds_write_b64 v66, v[64:65]
	s_waitcnt lgkmcnt(0)
	; wave barrier
	s_waitcnt lgkmcnt(0)
	s_and_saveexec_b64 s[6:7], vcc
	s_cbranch_execz .LBB30_330
; %bb.321:
	s_and_b64 vcc, exec, s[4:5]
	s_cbranch_vccnz .LBB30_323
; %bb.322:
	buffer_load_dword v64, v67, s[0:3], 0 offen
	buffer_load_dword v65, v67, s[0:3], 0 offen offset:4
	ds_read_b64 v[68:69], v66
	s_waitcnt vmcnt(0) lgkmcnt(0)
	v_mul_f64 v[64:65], v[64:65], v[68:69]
	s_cbranch_execz .LBB30_324
	s_branch .LBB30_325
.LBB30_323:
                                        ; implicit-def: $vgpr64_vgpr65
.LBB30_324:
	ds_read_b64 v[64:65], v66
.LBB30_325:
	v_cmp_ne_u32_e32 vcc, 3, v0
	s_and_saveexec_b64 s[8:9], vcc
	s_cbranch_execz .LBB30_329
; %bb.326:
	v_mov_b32_e32 v69, 0
	v_add_u32_e32 v68, 0x108, v1
	v_add3_u32 v69, v1, v69, 8
	s_mov_b64 s[10:11], 0
	v_mov_b32_e32 v70, v0
.LBB30_327:                             ; =>This Inner Loop Header: Depth=1
	buffer_load_dword v72, v69, s[0:3], 0 offen
	buffer_load_dword v73, v69, s[0:3], 0 offen offset:4
	ds_read_b64 v[74:75], v68
	v_add_u32_e32 v70, 1, v70
	v_cmp_lt_u32_e32 vcc, 2, v70
	v_add_u32_e32 v68, 8, v68
	v_add_u32_e32 v69, 8, v69
	s_or_b64 s[10:11], vcc, s[10:11]
	s_waitcnt vmcnt(0) lgkmcnt(0)
	v_fmac_f64_e32 v[64:65], v[72:73], v[74:75]
	s_andn2_b64 exec, exec, s[10:11]
	s_cbranch_execnz .LBB30_327
; %bb.328:
	s_or_b64 exec, exec, s[10:11]
.LBB30_329:
	s_or_b64 exec, exec, s[8:9]
	v_mov_b32_e32 v68, 0
	ds_read_b64 v[68:69], v68 offset:32
	s_waitcnt lgkmcnt(0)
	v_mul_f64 v[64:65], v[64:65], v[68:69]
	buffer_store_dword v65, off, s[0:3], 0 offset:36
	buffer_store_dword v64, off, s[0:3], 0 offset:32
.LBB30_330:
	s_or_b64 exec, exec, s[6:7]
	buffer_load_dword v64, off, s[0:3], 0 offset:40
	buffer_load_dword v65, off, s[0:3], 0 offset:44
	v_cmp_gt_u32_e32 vcc, 5, v0
	s_waitcnt vmcnt(0)
	ds_write_b64 v66, v[64:65]
	s_waitcnt lgkmcnt(0)
	; wave barrier
	s_waitcnt lgkmcnt(0)
	s_and_saveexec_b64 s[6:7], vcc
	s_cbranch_execz .LBB30_340
; %bb.331:
	s_and_b64 vcc, exec, s[4:5]
	s_cbranch_vccnz .LBB30_333
; %bb.332:
	buffer_load_dword v64, v67, s[0:3], 0 offen
	buffer_load_dword v65, v67, s[0:3], 0 offen offset:4
	ds_read_b64 v[68:69], v66
	s_waitcnt vmcnt(0) lgkmcnt(0)
	v_mul_f64 v[64:65], v[64:65], v[68:69]
	s_cbranch_execz .LBB30_334
	s_branch .LBB30_335
.LBB30_333:
                                        ; implicit-def: $vgpr64_vgpr65
.LBB30_334:
	ds_read_b64 v[64:65], v66
.LBB30_335:
	v_cmp_ne_u32_e32 vcc, 4, v0
	s_and_saveexec_b64 s[8:9], vcc
	s_cbranch_execz .LBB30_339
; %bb.336:
	v_mov_b32_e32 v69, 0
	v_add_u32_e32 v68, 0x108, v1
	v_add3_u32 v69, v1, v69, 8
	s_mov_b64 s[10:11], 0
	v_mov_b32_e32 v70, v0
.LBB30_337:                             ; =>This Inner Loop Header: Depth=1
	buffer_load_dword v72, v69, s[0:3], 0 offen
	buffer_load_dword v73, v69, s[0:3], 0 offen offset:4
	ds_read_b64 v[74:75], v68
	v_add_u32_e32 v70, 1, v70
	v_cmp_lt_u32_e32 vcc, 3, v70
	v_add_u32_e32 v68, 8, v68
	v_add_u32_e32 v69, 8, v69
	s_or_b64 s[10:11], vcc, s[10:11]
	s_waitcnt vmcnt(0) lgkmcnt(0)
	v_fmac_f64_e32 v[64:65], v[72:73], v[74:75]
	s_andn2_b64 exec, exec, s[10:11]
	s_cbranch_execnz .LBB30_337
; %bb.338:
	s_or_b64 exec, exec, s[10:11]
.LBB30_339:
	s_or_b64 exec, exec, s[8:9]
	v_mov_b32_e32 v68, 0
	ds_read_b64 v[68:69], v68 offset:40
	s_waitcnt lgkmcnt(0)
	v_mul_f64 v[64:65], v[64:65], v[68:69]
	buffer_store_dword v65, off, s[0:3], 0 offset:44
	buffer_store_dword v64, off, s[0:3], 0 offset:40
.LBB30_340:
	;; [unrolled: 60-line block ×25, first 2 shown]
	s_or_b64 exec, exec, s[6:7]
	buffer_load_dword v64, off, s[0:3], 0 offset:232
	buffer_load_dword v65, off, s[0:3], 0 offset:236
	v_cmp_gt_u32_e64 s[6:7], 29, v0
	s_waitcnt vmcnt(0)
	ds_write_b64 v66, v[64:65]
	s_waitcnt lgkmcnt(0)
	; wave barrier
	s_waitcnt lgkmcnt(0)
	s_and_saveexec_b64 s[8:9], s[6:7]
	s_cbranch_execz .LBB30_580
; %bb.571:
	s_and_b64 vcc, exec, s[4:5]
	s_cbranch_vccnz .LBB30_573
; %bb.572:
	buffer_load_dword v64, v67, s[0:3], 0 offen
	buffer_load_dword v65, v67, s[0:3], 0 offen offset:4
	ds_read_b64 v[68:69], v66
	s_waitcnt vmcnt(0) lgkmcnt(0)
	v_mul_f64 v[64:65], v[64:65], v[68:69]
	s_cbranch_execz .LBB30_574
	s_branch .LBB30_575
.LBB30_573:
                                        ; implicit-def: $vgpr64_vgpr65
.LBB30_574:
	ds_read_b64 v[64:65], v66
.LBB30_575:
	v_cmp_ne_u32_e32 vcc, 28, v0
	s_and_saveexec_b64 s[10:11], vcc
	s_cbranch_execz .LBB30_579
; %bb.576:
	v_mov_b32_e32 v69, 0
	v_add_u32_e32 v68, 0x108, v1
	v_add3_u32 v69, v1, v69, 8
	s_mov_b64 s[12:13], 0
	v_mov_b32_e32 v70, v0
.LBB30_577:                             ; =>This Inner Loop Header: Depth=1
	buffer_load_dword v72, v69, s[0:3], 0 offen
	buffer_load_dword v73, v69, s[0:3], 0 offen offset:4
	ds_read_b64 v[74:75], v68
	v_add_u32_e32 v70, 1, v70
	v_cmp_lt_u32_e32 vcc, 27, v70
	v_add_u32_e32 v68, 8, v68
	v_add_u32_e32 v69, 8, v69
	s_or_b64 s[12:13], vcc, s[12:13]
	s_waitcnt vmcnt(0) lgkmcnt(0)
	v_fmac_f64_e32 v[64:65], v[72:73], v[74:75]
	s_andn2_b64 exec, exec, s[12:13]
	s_cbranch_execnz .LBB30_577
; %bb.578:
	s_or_b64 exec, exec, s[12:13]
.LBB30_579:
	s_or_b64 exec, exec, s[10:11]
	v_mov_b32_e32 v68, 0
	ds_read_b64 v[68:69], v68 offset:232
	s_waitcnt lgkmcnt(0)
	v_mul_f64 v[64:65], v[64:65], v[68:69]
	buffer_store_dword v65, off, s[0:3], 0 offset:236
	buffer_store_dword v64, off, s[0:3], 0 offset:232
.LBB30_580:
	s_or_b64 exec, exec, s[8:9]
	buffer_load_dword v64, off, s[0:3], 0 offset:240
	buffer_load_dword v65, off, s[0:3], 0 offset:244
	v_cmp_ne_u32_e32 vcc, 30, v0
	s_waitcnt vmcnt(0)
	ds_write_b64 v66, v[64:65]
	s_waitcnt lgkmcnt(0)
	; wave barrier
	s_waitcnt lgkmcnt(0)
	s_and_saveexec_b64 s[8:9], vcc
	s_cbranch_execz .LBB30_590
; %bb.581:
	s_and_b64 vcc, exec, s[4:5]
	s_cbranch_vccnz .LBB30_583
; %bb.582:
	buffer_load_dword v64, v67, s[0:3], 0 offen
	buffer_load_dword v65, v67, s[0:3], 0 offen offset:4
	ds_read_b64 v[68:69], v66
	s_waitcnt vmcnt(0) lgkmcnt(0)
	v_mul_f64 v[64:65], v[64:65], v[68:69]
	s_cbranch_execz .LBB30_584
	s_branch .LBB30_585
.LBB30_583:
                                        ; implicit-def: $vgpr64_vgpr65
.LBB30_584:
	ds_read_b64 v[64:65], v66
.LBB30_585:
	s_and_saveexec_b64 s[4:5], s[6:7]
	s_cbranch_execz .LBB30_589
; %bb.586:
	v_mov_b32_e32 v67, 0
	v_add_u32_e32 v66, 0x108, v1
	v_add3_u32 v1, v1, v67, 8
	s_mov_b64 s[6:7], 0
.LBB30_587:                             ; =>This Inner Loop Header: Depth=1
	buffer_load_dword v68, v1, s[0:3], 0 offen
	buffer_load_dword v69, v1, s[0:3], 0 offen offset:4
	ds_read_b64 v[70:71], v66
	v_add_u32_e32 v0, 1, v0
	v_cmp_lt_u32_e32 vcc, 28, v0
	v_add_u32_e32 v66, 8, v66
	v_add_u32_e32 v1, 8, v1
	s_or_b64 s[6:7], vcc, s[6:7]
	s_waitcnt vmcnt(0) lgkmcnt(0)
	v_fmac_f64_e32 v[64:65], v[68:69], v[70:71]
	s_andn2_b64 exec, exec, s[6:7]
	s_cbranch_execnz .LBB30_587
; %bb.588:
	s_or_b64 exec, exec, s[6:7]
.LBB30_589:
	s_or_b64 exec, exec, s[4:5]
	v_mov_b32_e32 v0, 0
	ds_read_b64 v[0:1], v0 offset:240
	s_waitcnt lgkmcnt(0)
	v_mul_f64 v[0:1], v[64:65], v[0:1]
	buffer_store_dword v1, off, s[0:3], 0 offset:244
	buffer_store_dword v0, off, s[0:3], 0 offset:240
.LBB30_590:
	s_or_b64 exec, exec, s[8:9]
.LBB30_591:
	buffer_load_dword v0, off, s[0:3], 0
	buffer_load_dword v1, off, s[0:3], 0 offset:4
	buffer_load_dword v64, off, s[0:3], 0 offset:8
	;; [unrolled: 1-line block ×61, first 2 shown]
	s_waitcnt vmcnt(60)
	global_store_dwordx2 v[2:3], v[0:1], off
	s_waitcnt vmcnt(59)
	global_store_dwordx2 v[4:5], v[64:65], off
	;; [unrolled: 2-line block ×9, first 2 shown]
	global_store_dwordx2 v[20:21], v[78:79], off
	global_store_dwordx2 v[22:23], v[80:81], off
	;; [unrolled: 1-line block ×3, first 2 shown]
	s_waitcnt vmcnt(48)
	global_store_dwordx2 v[26:27], v[86:87], off
	s_waitcnt vmcnt(47)
	global_store_dwordx2 v[28:29], v[88:89], off
	;; [unrolled: 2-line block ×19, first 2 shown]
.LBB30_592:
	s_endpgm
	.section	.rodata,"a",@progbits
	.p2align	6, 0x0
	.amdhsa_kernel _ZN9rocsolver6v33100L18trti2_kernel_smallILi31EdPdEEv13rocblas_fill_17rocblas_diagonal_T1_iil
		.amdhsa_group_segment_fixed_size 504
		.amdhsa_private_segment_fixed_size 256
		.amdhsa_kernarg_size 32
		.amdhsa_user_sgpr_count 8
		.amdhsa_user_sgpr_private_segment_buffer 1
		.amdhsa_user_sgpr_dispatch_ptr 0
		.amdhsa_user_sgpr_queue_ptr 0
		.amdhsa_user_sgpr_kernarg_segment_ptr 1
		.amdhsa_user_sgpr_dispatch_id 0
		.amdhsa_user_sgpr_flat_scratch_init 1
		.amdhsa_user_sgpr_kernarg_preload_length 0
		.amdhsa_user_sgpr_kernarg_preload_offset 0
		.amdhsa_user_sgpr_private_segment_size 0
		.amdhsa_uses_dynamic_stack 0
		.amdhsa_system_sgpr_private_segment_wavefront_offset 1
		.amdhsa_system_sgpr_workgroup_id_x 1
		.amdhsa_system_sgpr_workgroup_id_y 0
		.amdhsa_system_sgpr_workgroup_id_z 0
		.amdhsa_system_sgpr_workgroup_info 0
		.amdhsa_system_vgpr_workitem_id 0
		.amdhsa_next_free_vgpr 126
		.amdhsa_next_free_sgpr 20
		.amdhsa_accum_offset 128
		.amdhsa_reserve_vcc 1
		.amdhsa_reserve_flat_scratch 0
		.amdhsa_float_round_mode_32 0
		.amdhsa_float_round_mode_16_64 0
		.amdhsa_float_denorm_mode_32 3
		.amdhsa_float_denorm_mode_16_64 3
		.amdhsa_dx10_clamp 1
		.amdhsa_ieee_mode 1
		.amdhsa_fp16_overflow 0
		.amdhsa_tg_split 0
		.amdhsa_exception_fp_ieee_invalid_op 0
		.amdhsa_exception_fp_denorm_src 0
		.amdhsa_exception_fp_ieee_div_zero 0
		.amdhsa_exception_fp_ieee_overflow 0
		.amdhsa_exception_fp_ieee_underflow 0
		.amdhsa_exception_fp_ieee_inexact 0
		.amdhsa_exception_int_div_zero 0
	.end_amdhsa_kernel
	.section	.text._ZN9rocsolver6v33100L18trti2_kernel_smallILi31EdPdEEv13rocblas_fill_17rocblas_diagonal_T1_iil,"axG",@progbits,_ZN9rocsolver6v33100L18trti2_kernel_smallILi31EdPdEEv13rocblas_fill_17rocblas_diagonal_T1_iil,comdat
.Lfunc_end30:
	.size	_ZN9rocsolver6v33100L18trti2_kernel_smallILi31EdPdEEv13rocblas_fill_17rocblas_diagonal_T1_iil, .Lfunc_end30-_ZN9rocsolver6v33100L18trti2_kernel_smallILi31EdPdEEv13rocblas_fill_17rocblas_diagonal_T1_iil
                                        ; -- End function
	.section	.AMDGPU.csdata,"",@progbits
; Kernel info:
; codeLenInByte = 18000
; NumSgprs: 24
; NumVgprs: 126
; NumAgprs: 0
; TotalNumVgprs: 126
; ScratchSize: 256
; MemoryBound: 0
; FloatMode: 240
; IeeeMode: 1
; LDSByteSize: 504 bytes/workgroup (compile time only)
; SGPRBlocks: 2
; VGPRBlocks: 15
; NumSGPRsForWavesPerEU: 24
; NumVGPRsForWavesPerEU: 126
; AccumOffset: 128
; Occupancy: 4
; WaveLimiterHint : 0
; COMPUTE_PGM_RSRC2:SCRATCH_EN: 1
; COMPUTE_PGM_RSRC2:USER_SGPR: 8
; COMPUTE_PGM_RSRC2:TRAP_HANDLER: 0
; COMPUTE_PGM_RSRC2:TGID_X_EN: 1
; COMPUTE_PGM_RSRC2:TGID_Y_EN: 0
; COMPUTE_PGM_RSRC2:TGID_Z_EN: 0
; COMPUTE_PGM_RSRC2:TIDIG_COMP_CNT: 0
; COMPUTE_PGM_RSRC3_GFX90A:ACCUM_OFFSET: 31
; COMPUTE_PGM_RSRC3_GFX90A:TG_SPLIT: 0
	.section	.text._ZN9rocsolver6v33100L18trti2_kernel_smallILi32EdPdEEv13rocblas_fill_17rocblas_diagonal_T1_iil,"axG",@progbits,_ZN9rocsolver6v33100L18trti2_kernel_smallILi32EdPdEEv13rocblas_fill_17rocblas_diagonal_T1_iil,comdat
	.globl	_ZN9rocsolver6v33100L18trti2_kernel_smallILi32EdPdEEv13rocblas_fill_17rocblas_diagonal_T1_iil ; -- Begin function _ZN9rocsolver6v33100L18trti2_kernel_smallILi32EdPdEEv13rocblas_fill_17rocblas_diagonal_T1_iil
	.p2align	8
	.type	_ZN9rocsolver6v33100L18trti2_kernel_smallILi32EdPdEEv13rocblas_fill_17rocblas_diagonal_T1_iil,@function
_ZN9rocsolver6v33100L18trti2_kernel_smallILi32EdPdEEv13rocblas_fill_17rocblas_diagonal_T1_iil: ; @_ZN9rocsolver6v33100L18trti2_kernel_smallILi32EdPdEEv13rocblas_fill_17rocblas_diagonal_T1_iil
; %bb.0:
	s_add_u32 s0, s0, s9
	s_addc_u32 s1, s1, 0
	v_cmp_gt_u32_e32 vcc, 32, v0
	s_and_saveexec_b64 s[6:7], vcc
	s_cbranch_execz .LBB31_612
; %bb.1:
	s_load_dwordx8 s[12:19], s[4:5], 0x0
	s_ashr_i32 s6, s8, 31
	v_lshlrev_b32_e32 v1, 3, v0
	v_mov_b32_e32 v97, 0
	s_waitcnt lgkmcnt(0)
	s_mul_i32 s7, s8, s19
	s_mul_hi_u32 s9, s8, s18
	s_add_i32 s7, s9, s7
	s_mul_i32 s6, s6, s18
	s_add_i32 s7, s7, s6
	s_mul_i32 s6, s8, s18
	s_ashr_i32 s5, s16, 31
	s_lshl_b64 s[6:7], s[6:7], 3
	s_mov_b32 s4, s16
	s_add_u32 s6, s14, s6
	s_addc_u32 s7, s15, s7
	s_lshl_b64 s[4:5], s[4:5], 3
	s_add_u32 s4, s6, s4
	s_addc_u32 s5, s7, s5
	v_mov_b32_e32 v3, s5
	v_add_co_u32_e32 v2, vcc, s4, v1
	s_ashr_i32 s7, s17, 31
	s_mov_b32 s6, s17
	v_addc_co_u32_e32 v3, vcc, 0, v3, vcc
	s_lshl_b64 s[6:7], s[6:7], 3
	v_mov_b32_e32 v5, s7
	v_add_co_u32_e32 v4, vcc, s6, v2
	global_load_dwordx2 v[14:15], v1, s[4:5]
	v_addc_co_u32_e32 v5, vcc, v3, v5, vcc
	global_load_dwordx2 v[16:17], v[4:5], off
	s_add_i32 s6, s17, s17
	v_add_u32_e32 v6, s6, v0
	v_add_u32_e32 v10, s17, v6
	;; [unrolled: 1-line block ×24, first 2 shown]
	v_ashrrev_i32_e32 v7, 31, v6
	v_add_u32_e32 v60, s17, v58
	v_lshlrev_b64 v[6:7], 3, v[6:7]
	v_add_u32_e32 v62, s17, v60
	v_mov_b32_e32 v8, s5
	v_ashrrev_i32_e32 v11, 31, v10
	v_add_co_u32_e32 v6, vcc, s4, v6
	v_add_u32_e32 v64, s17, v62
	v_addc_co_u32_e32 v7, vcc, v8, v7, vcc
	v_lshlrev_b64 v[10:11], 3, v[10:11]
	v_add_u32_e32 v68, s17, v64
	v_mov_b32_e32 v9, s5
	v_ashrrev_i32_e32 v13, 31, v12
	v_add_co_u32_e32 v8, vcc, s4, v10
	v_add_u32_e32 v70, s17, v68
	v_addc_co_u32_e32 v9, vcc, v9, v11, vcc
	v_lshlrev_b64 v[10:11], 3, v[12:13]
	v_add_u32_e32 v12, s17, v70
	v_mov_b32_e32 v19, s5
	v_add_co_u32_e32 v10, vcc, s4, v10
	v_ashrrev_i32_e32 v13, 31, v12
	v_addc_co_u32_e32 v11, vcc, v19, v11, vcc
	v_lshlrev_b64 v[12:13], 3, v[12:13]
	v_mov_b32_e32 v21, s5
	v_add_co_u32_e32 v12, vcc, s4, v12
	v_addc_co_u32_e32 v13, vcc, v21, v13, vcc
	global_load_dwordx2 v[66:67], v[12:13], off
	v_ashrrev_i32_e32 v19, 31, v18
	s_waitcnt vmcnt(2)
	buffer_store_dword v15, off, s[0:3], 0 offset:4
	buffer_store_dword v14, off, s[0:3], 0
	v_lshlrev_b64 v[14:15], 3, v[18:19]
	global_load_dwordx2 v[72:73], v[6:7], off
	global_load_dwordx2 v[74:75], v[8:9], off
	;; [unrolled: 1-line block ×3, first 2 shown]
	s_waitcnt vmcnt(6)
	buffer_store_dword v17, off, s[0:3], 0 offset:12
	buffer_store_dword v16, off, s[0:3], 0 offset:8
	v_mov_b32_e32 v16, s5
	v_add_co_u32_e32 v14, vcc, s4, v14
	v_ashrrev_i32_e32 v21, 31, v20
	v_addc_co_u32_e32 v15, vcc, v16, v15, vcc
	v_lshlrev_b64 v[16:17], 3, v[20:21]
	v_mov_b32_e32 v18, s5
	v_add_co_u32_e32 v16, vcc, s4, v16
	v_ashrrev_i32_e32 v23, 31, v22
	v_addc_co_u32_e32 v17, vcc, v18, v17, vcc
	v_lshlrev_b64 v[18:19], 3, v[22:23]
	;; [unrolled: 5-line block ×22, first 2 shown]
	v_mov_b32_e32 v60, s5
	v_add_co_u32_e32 v58, vcc, s4, v58
	global_load_dwordx2 v[78:79], v[14:15], off
	global_load_dwordx2 v[80:81], v[16:17], off
	;; [unrolled: 1-line block ×20, first 2 shown]
	v_addc_co_u32_e32 v59, vcc, v60, v59, vcc
	global_load_dwordx2 v[120:121], v[54:55], off
	global_load_dwordx2 v[122:123], v[56:57], off
	;; [unrolled: 1-line block ×3, first 2 shown]
	v_ashrrev_i32_e32 v65, 31, v64
	v_lshlrev_b64 v[60:61], 3, v[64:65]
	v_mov_b32_e32 v62, s5
	v_add_co_u32_e32 v60, vcc, s4, v60
	v_ashrrev_i32_e32 v69, 31, v68
	v_addc_co_u32_e32 v61, vcc, v62, v61, vcc
	v_lshlrev_b64 v[62:63], 3, v[68:69]
	v_mov_b32_e32 v64, s5
	v_add_co_u32_e32 v62, vcc, s4, v62
	v_ashrrev_i32_e32 v71, 31, v70
	v_addc_co_u32_e32 v63, vcc, v64, v63, vcc
	v_lshlrev_b64 v[64:65], 3, v[70:71]
	v_mov_b32_e32 v68, s5
	v_add_co_u32_e32 v64, vcc, s4, v64
	v_addc_co_u32_e32 v65, vcc, v68, v65, vcc
	global_load_dwordx2 v[68:69], v[60:61], off
	global_load_dwordx2 v[70:71], v[62:63], off
	s_cmpk_lg_i32 s13, 0x84
	s_waitcnt vmcnt(29)
	buffer_store_dword v73, off, s[0:3], 0 offset:20
	buffer_store_dword v72, off, s[0:3], 0 offset:16
	global_load_dwordx2 v[72:73], v[64:65], off
	s_waitcnt vmcnt(31)
	buffer_store_dword v75, off, s[0:3], 0 offset:28
	buffer_store_dword v74, off, s[0:3], 0 offset:24
	s_waitcnt vmcnt(32)
	buffer_store_dword v77, off, s[0:3], 0 offset:36
	buffer_store_dword v76, off, s[0:3], 0 offset:32
	;; [unrolled: 3-line block ×28, first 2 shown]
	buffer_store_dword v67, off, s[0:3], 0 offset:252
	buffer_store_dword v66, off, s[0:3], 0 offset:248
	v_mov_b32_e32 v66, 0
	s_cselect_b64 s[8:9], -1, 0
	s_cmpk_eq_i32 s13, 0x84
	v_mov_b32_e32 v67, 0xbff00000
	s_cbranch_scc1 .LBB31_3
; %bb.2:
	v_lshl_add_u32 v76, v0, 3, v97
	buffer_load_dword v66, v76, s[0:3], 0 offen
	buffer_load_dword v67, v76, s[0:3], 0 offen offset:4
	s_waitcnt vmcnt(0)
	v_div_scale_f64 v[68:69], s[4:5], v[66:67], v[66:67], 1.0
	v_rcp_f64_e32 v[70:71], v[68:69]
	v_div_scale_f64 v[72:73], vcc, 1.0, v[66:67], 1.0
	v_fma_f64 v[74:75], -v[68:69], v[70:71], 1.0
	v_fmac_f64_e32 v[70:71], v[70:71], v[74:75]
	v_fma_f64 v[74:75], -v[68:69], v[70:71], 1.0
	v_fmac_f64_e32 v[70:71], v[70:71], v[74:75]
	v_mul_f64 v[74:75], v[72:73], v[70:71]
	v_fma_f64 v[68:69], -v[68:69], v[74:75], v[72:73]
	v_div_fmas_f64 v[68:69], v[68:69], v[70:71], v[74:75]
	v_div_fixup_f64 v[66:67], v[68:69], v[66:67], 1.0
	buffer_store_dword v66, v76, s[0:3], 0 offen
	buffer_store_dword v67, v76, s[0:3], 0 offen offset:4
	v_xor_b32_e32 v67, 0x80000000, v67
.LBB31_3:
	s_cmpk_eq_i32 s12, 0x79
	v_add_u32_e32 v68, 0x100, v1
	v_add_u32_e32 v69, 0, v1
	s_mov_b64 s[4:5], -1
	ds_write_b64 v1, v[66:67]
	s_cbranch_scc1 .LBB31_307
; %bb.4:
	buffer_load_dword v66, off, s[0:3], 0 offset:240
	buffer_load_dword v67, off, s[0:3], 0 offset:244
	v_cmp_eq_u32_e64 s[4:5], 31, v0
	s_waitcnt vmcnt(0)
	ds_write_b64 v68, v[66:67]
	s_waitcnt lgkmcnt(0)
	; wave barrier
	s_waitcnt lgkmcnt(0)
	s_and_saveexec_b64 s[6:7], s[4:5]
	s_cbranch_execz .LBB31_10
; %bb.5:
	s_and_b64 vcc, exec, s[8:9]
	s_cbranch_vccz .LBB31_7
; %bb.6:
	buffer_load_dword v66, v69, s[0:3], 0 offen
	buffer_load_dword v67, v69, s[0:3], 0 offen offset:4
	ds_read_b64 v[70:71], v68
	s_waitcnt vmcnt(0) lgkmcnt(0)
	v_mul_f64 v[66:67], v[66:67], v[70:71]
	s_cbranch_execz .LBB31_8
	s_branch .LBB31_9
.LBB31_7:
                                        ; implicit-def: $vgpr66_vgpr67
.LBB31_8:
	ds_read_b64 v[66:67], v68
.LBB31_9:
	v_mov_b32_e32 v70, 0
	ds_read_b64 v[70:71], v70 offset:240
	s_waitcnt lgkmcnt(0)
	v_mul_f64 v[66:67], v[66:67], v[70:71]
	buffer_store_dword v67, off, s[0:3], 0 offset:244
	buffer_store_dword v66, off, s[0:3], 0 offset:240
.LBB31_10:
	s_or_b64 exec, exec, s[6:7]
	buffer_load_dword v66, off, s[0:3], 0 offset:232
	buffer_load_dword v67, off, s[0:3], 0 offset:236
	v_or_b32_e32 v70, 8, v97
	v_add_u32_e32 v71, 16, v97
	v_add_u32_e32 v72, 24, v97
	;; [unrolled: 1-line block ×28, first 2 shown]
	v_cmp_lt_u32_e64 s[6:7], 29, v0
	s_waitcnt vmcnt(0)
	ds_write_b64 v68, v[66:67]
	s_waitcnt lgkmcnt(0)
	; wave barrier
	s_waitcnt lgkmcnt(0)
	s_and_saveexec_b64 s[10:11], s[6:7]
	s_cbranch_execz .LBB31_16
; %bb.11:
	s_andn2_b64 vcc, exec, s[8:9]
	s_cbranch_vccnz .LBB31_13
; %bb.12:
	buffer_load_dword v66, v69, s[0:3], 0 offen
	buffer_load_dword v67, v69, s[0:3], 0 offen offset:4
	ds_read_b64 v[100:101], v68
	s_waitcnt vmcnt(0) lgkmcnt(0)
	v_mul_f64 v[66:67], v[66:67], v[100:101]
	s_cbranch_execz .LBB31_14
	s_branch .LBB31_15
.LBB31_13:
                                        ; implicit-def: $vgpr66_vgpr67
.LBB31_14:
	ds_read_b64 v[66:67], v68
.LBB31_15:
	buffer_load_dword v104, off, s[0:3], 0 offset:240
	buffer_load_dword v105, off, s[0:3], 0 offset:244
	v_mov_b32_e32 v99, 0
	ds_read2_b64 v[100:103], v99 offset0:29 offset1:62
	s_waitcnt vmcnt(0) lgkmcnt(0)
	v_fma_f64 v[102:103], v[104:105], v[102:103], v[66:67]
	v_cndmask_b32_e64 v67, v67, v103, s[4:5]
	v_cndmask_b32_e64 v66, v66, v102, s[4:5]
	v_mul_f64 v[66:67], v[66:67], v[100:101]
	buffer_store_dword v67, off, s[0:3], 0 offset:236
	buffer_store_dword v66, off, s[0:3], 0 offset:232
.LBB31_16:
	s_or_b64 exec, exec, s[10:11]
	buffer_load_dword v66, off, s[0:3], 0 offset:224
	buffer_load_dword v67, off, s[0:3], 0 offset:228
	v_cmp_lt_u32_e64 s[4:5], 28, v0
	s_waitcnt vmcnt(0)
	ds_write_b64 v68, v[66:67]
	s_waitcnt lgkmcnt(0)
	; wave barrier
	s_waitcnt lgkmcnt(0)
	s_and_saveexec_b64 s[10:11], s[4:5]
	s_cbranch_execz .LBB31_26
; %bb.17:
	s_andn2_b64 vcc, exec, s[8:9]
	s_cbranch_vccnz .LBB31_19
; %bb.18:
	buffer_load_dword v66, v69, s[0:3], 0 offen
	buffer_load_dword v67, v69, s[0:3], 0 offen offset:4
	ds_read_b64 v[100:101], v68
	s_waitcnt vmcnt(0) lgkmcnt(0)
	v_mul_f64 v[66:67], v[66:67], v[100:101]
	s_cbranch_execz .LBB31_20
	s_branch .LBB31_21
.LBB31_19:
                                        ; implicit-def: $vgpr66_vgpr67
.LBB31_20:
	ds_read_b64 v[66:67], v68
.LBB31_21:
	s_and_saveexec_b64 s[12:13], s[6:7]
	s_cbranch_execz .LBB31_25
; %bb.22:
	v_subrev_u32_e32 v99, 29, v0
	s_movk_i32 s14, 0x1e8
	s_mov_b64 s[6:7], 0
.LBB31_23:                              ; =>This Inner Loop Header: Depth=1
	buffer_load_dword v100, v97, s[0:3], 0 offen
	buffer_load_dword v101, v97, s[0:3], 0 offen offset:4
	v_mov_b32_e32 v102, s14
	ds_read_b64 v[102:103], v102
	v_add_u32_e32 v99, -1, v99
	s_add_i32 s14, s14, 8
	v_cmp_eq_u32_e32 vcc, 0, v99
	v_add_u32_e32 v97, 8, v97
	s_or_b64 s[6:7], vcc, s[6:7]
	s_waitcnt vmcnt(0) lgkmcnt(0)
	v_fmac_f64_e32 v[66:67], v[100:101], v[102:103]
	s_andn2_b64 exec, exec, s[6:7]
	s_cbranch_execnz .LBB31_23
; %bb.24:
	s_or_b64 exec, exec, s[6:7]
.LBB31_25:
	s_or_b64 exec, exec, s[12:13]
	v_mov_b32_e32 v97, 0
	ds_read_b64 v[100:101], v97 offset:224
	s_waitcnt lgkmcnt(0)
	v_mul_f64 v[66:67], v[66:67], v[100:101]
	buffer_store_dword v67, off, s[0:3], 0 offset:228
	buffer_store_dword v66, off, s[0:3], 0 offset:224
.LBB31_26:
	s_or_b64 exec, exec, s[10:11]
	buffer_load_dword v66, off, s[0:3], 0 offset:216
	buffer_load_dword v67, off, s[0:3], 0 offset:220
	v_cmp_lt_u32_e64 s[6:7], 27, v0
	s_waitcnt vmcnt(0)
	ds_write_b64 v68, v[66:67]
	s_waitcnt lgkmcnt(0)
	; wave barrier
	s_waitcnt lgkmcnt(0)
	s_and_saveexec_b64 s[10:11], s[6:7]
	s_cbranch_execz .LBB31_36
; %bb.27:
	s_andn2_b64 vcc, exec, s[8:9]
	s_cbranch_vccnz .LBB31_29
; %bb.28:
	buffer_load_dword v66, v69, s[0:3], 0 offen
	buffer_load_dword v67, v69, s[0:3], 0 offen offset:4
	ds_read_b64 v[100:101], v68
	s_waitcnt vmcnt(0) lgkmcnt(0)
	v_mul_f64 v[66:67], v[66:67], v[100:101]
	s_cbranch_execz .LBB31_30
	s_branch .LBB31_31
.LBB31_29:
                                        ; implicit-def: $vgpr66_vgpr67
.LBB31_30:
	ds_read_b64 v[66:67], v68
.LBB31_31:
	s_and_saveexec_b64 s[12:13], s[4:5]
	s_cbranch_execz .LBB31_35
; %bb.32:
	v_subrev_u32_e32 v97, 28, v0
	s_movk_i32 s14, 0x1e0
	s_mov_b64 s[4:5], 0
.LBB31_33:                              ; =>This Inner Loop Header: Depth=1
	buffer_load_dword v100, v98, s[0:3], 0 offen
	buffer_load_dword v101, v98, s[0:3], 0 offen offset:4
	v_mov_b32_e32 v99, s14
	ds_read_b64 v[102:103], v99
	v_add_u32_e32 v97, -1, v97
	s_add_i32 s14, s14, 8
	v_cmp_eq_u32_e32 vcc, 0, v97
	v_add_u32_e32 v98, 8, v98
	s_or_b64 s[4:5], vcc, s[4:5]
	s_waitcnt vmcnt(0) lgkmcnt(0)
	v_fmac_f64_e32 v[66:67], v[100:101], v[102:103]
	s_andn2_b64 exec, exec, s[4:5]
	s_cbranch_execnz .LBB31_33
; %bb.34:
	s_or_b64 exec, exec, s[4:5]
.LBB31_35:
	s_or_b64 exec, exec, s[12:13]
	v_mov_b32_e32 v97, 0
	ds_read_b64 v[98:99], v97 offset:216
	s_waitcnt lgkmcnt(0)
	v_mul_f64 v[66:67], v[66:67], v[98:99]
	buffer_store_dword v67, off, s[0:3], 0 offset:220
	buffer_store_dword v66, off, s[0:3], 0 offset:216
.LBB31_36:
	;; [unrolled: 58-line block ×8, first 2 shown]
	s_or_b64 exec, exec, s[10:11]
	buffer_load_dword v66, off, s[0:3], 0 offset:160
	buffer_load_dword v67, off, s[0:3], 0 offset:164
	v_cmp_lt_u32_e64 s[4:5], 20, v0
	s_waitcnt vmcnt(0)
	ds_write_b64 v68, v[66:67]
	s_waitcnt lgkmcnt(0)
	; wave barrier
	s_waitcnt lgkmcnt(0)
	s_and_saveexec_b64 s[10:11], s[4:5]
	s_cbranch_execz .LBB31_106
; %bb.97:
	s_andn2_b64 vcc, exec, s[8:9]
	s_cbranch_vccnz .LBB31_99
; %bb.98:
	buffer_load_dword v66, v69, s[0:3], 0 offen
	buffer_load_dword v67, v69, s[0:3], 0 offen offset:4
	ds_read_b64 v[92:93], v68
	s_waitcnt vmcnt(0) lgkmcnt(0)
	v_mul_f64 v[66:67], v[66:67], v[92:93]
	s_cbranch_execz .LBB31_100
	s_branch .LBB31_101
.LBB31_99:
                                        ; implicit-def: $vgpr66_vgpr67
.LBB31_100:
	ds_read_b64 v[66:67], v68
.LBB31_101:
	s_and_saveexec_b64 s[12:13], s[6:7]
	s_cbranch_execz .LBB31_105
; %bb.102:
	v_subrev_u32_e32 v91, 21, v0
	s_movk_i32 s14, 0x1a8
	s_mov_b64 s[6:7], 0
.LBB31_103:                             ; =>This Inner Loop Header: Depth=1
	buffer_load_dword v92, v90, s[0:3], 0 offen
	buffer_load_dword v93, v90, s[0:3], 0 offen offset:4
	v_mov_b32_e32 v94, s14
	ds_read_b64 v[94:95], v94
	v_add_u32_e32 v91, -1, v91
	s_add_i32 s14, s14, 8
	v_cmp_eq_u32_e32 vcc, 0, v91
	v_add_u32_e32 v90, 8, v90
	s_or_b64 s[6:7], vcc, s[6:7]
	s_waitcnt vmcnt(0) lgkmcnt(0)
	v_fmac_f64_e32 v[66:67], v[92:93], v[94:95]
	s_andn2_b64 exec, exec, s[6:7]
	s_cbranch_execnz .LBB31_103
; %bb.104:
	s_or_b64 exec, exec, s[6:7]
.LBB31_105:
	s_or_b64 exec, exec, s[12:13]
	v_mov_b32_e32 v90, 0
	ds_read_b64 v[90:91], v90 offset:160
	s_waitcnt lgkmcnt(0)
	v_mul_f64 v[66:67], v[66:67], v[90:91]
	buffer_store_dword v67, off, s[0:3], 0 offset:164
	buffer_store_dword v66, off, s[0:3], 0 offset:160
.LBB31_106:
	s_or_b64 exec, exec, s[10:11]
	buffer_load_dword v66, off, s[0:3], 0 offset:152
	buffer_load_dword v67, off, s[0:3], 0 offset:156
	v_cmp_lt_u32_e64 s[6:7], 19, v0
	s_waitcnt vmcnt(0)
	ds_write_b64 v68, v[66:67]
	s_waitcnt lgkmcnt(0)
	; wave barrier
	s_waitcnt lgkmcnt(0)
	s_and_saveexec_b64 s[10:11], s[6:7]
	s_cbranch_execz .LBB31_116
; %bb.107:
	s_andn2_b64 vcc, exec, s[8:9]
	s_cbranch_vccnz .LBB31_109
; %bb.108:
	buffer_load_dword v66, v69, s[0:3], 0 offen
	buffer_load_dword v67, v69, s[0:3], 0 offen offset:4
	ds_read_b64 v[90:91], v68
	s_waitcnt vmcnt(0) lgkmcnt(0)
	v_mul_f64 v[66:67], v[66:67], v[90:91]
	s_cbranch_execz .LBB31_110
	s_branch .LBB31_111
.LBB31_109:
                                        ; implicit-def: $vgpr66_vgpr67
.LBB31_110:
	ds_read_b64 v[66:67], v68
.LBB31_111:
	s_and_saveexec_b64 s[12:13], s[4:5]
	s_cbranch_execz .LBB31_115
; %bb.112:
	v_subrev_u32_e32 v90, 20, v0
	s_movk_i32 s14, 0x1a0
	s_mov_b64 s[4:5], 0
.LBB31_113:                             ; =>This Inner Loop Header: Depth=1
	buffer_load_dword v92, v89, s[0:3], 0 offen
	buffer_load_dword v93, v89, s[0:3], 0 offen offset:4
	v_mov_b32_e32 v91, s14
	ds_read_b64 v[94:95], v91
	v_add_u32_e32 v90, -1, v90
	s_add_i32 s14, s14, 8
	v_cmp_eq_u32_e32 vcc, 0, v90
	v_add_u32_e32 v89, 8, v89
	s_or_b64 s[4:5], vcc, s[4:5]
	s_waitcnt vmcnt(0) lgkmcnt(0)
	v_fmac_f64_e32 v[66:67], v[92:93], v[94:95]
	s_andn2_b64 exec, exec, s[4:5]
	s_cbranch_execnz .LBB31_113
; %bb.114:
	s_or_b64 exec, exec, s[4:5]
.LBB31_115:
	s_or_b64 exec, exec, s[12:13]
	v_mov_b32_e32 v89, 0
	ds_read_b64 v[90:91], v89 offset:152
	s_waitcnt lgkmcnt(0)
	v_mul_f64 v[66:67], v[66:67], v[90:91]
	buffer_store_dword v67, off, s[0:3], 0 offset:156
	buffer_store_dword v66, off, s[0:3], 0 offset:152
.LBB31_116:
	;; [unrolled: 58-line block ×5, first 2 shown]
	s_or_b64 exec, exec, s[10:11]
	buffer_load_dword v66, off, s[0:3], 0 offset:120
	buffer_load_dword v67, off, s[0:3], 0 offset:124
	v_cmp_lt_u32_e64 s[6:7], 15, v0
	s_waitcnt vmcnt(0)
	ds_write_b64 v68, v[66:67]
	s_waitcnt lgkmcnt(0)
	; wave barrier
	s_waitcnt lgkmcnt(0)
	s_and_saveexec_b64 s[10:11], s[6:7]
	s_cbranch_execz .LBB31_156
; %bb.147:
	s_andn2_b64 vcc, exec, s[8:9]
	s_cbranch_vccnz .LBB31_149
; %bb.148:
	buffer_load_dword v66, v69, s[0:3], 0 offen
	buffer_load_dword v67, v69, s[0:3], 0 offen offset:4
	ds_read_b64 v[86:87], v68
	s_waitcnt vmcnt(0) lgkmcnt(0)
	v_mul_f64 v[66:67], v[66:67], v[86:87]
	s_cbranch_execz .LBB31_150
	s_branch .LBB31_151
.LBB31_149:
                                        ; implicit-def: $vgpr66_vgpr67
.LBB31_150:
	ds_read_b64 v[66:67], v68
.LBB31_151:
	s_and_saveexec_b64 s[12:13], s[4:5]
	s_cbranch_execz .LBB31_155
; %bb.152:
	v_add_u32_e32 v86, -16, v0
	s_movk_i32 s14, 0x180
	s_mov_b64 s[4:5], 0
.LBB31_153:                             ; =>This Inner Loop Header: Depth=1
	buffer_load_dword v88, v85, s[0:3], 0 offen
	buffer_load_dword v89, v85, s[0:3], 0 offen offset:4
	v_mov_b32_e32 v87, s14
	ds_read_b64 v[90:91], v87
	v_add_u32_e32 v86, -1, v86
	s_add_i32 s14, s14, 8
	v_cmp_eq_u32_e32 vcc, 0, v86
	v_add_u32_e32 v85, 8, v85
	s_or_b64 s[4:5], vcc, s[4:5]
	s_waitcnt vmcnt(0) lgkmcnt(0)
	v_fmac_f64_e32 v[66:67], v[88:89], v[90:91]
	s_andn2_b64 exec, exec, s[4:5]
	s_cbranch_execnz .LBB31_153
; %bb.154:
	s_or_b64 exec, exec, s[4:5]
.LBB31_155:
	s_or_b64 exec, exec, s[12:13]
	v_mov_b32_e32 v85, 0
	ds_read_b64 v[86:87], v85 offset:120
	s_waitcnt lgkmcnt(0)
	v_mul_f64 v[66:67], v[66:67], v[86:87]
	buffer_store_dword v67, off, s[0:3], 0 offset:124
	buffer_store_dword v66, off, s[0:3], 0 offset:120
.LBB31_156:
	s_or_b64 exec, exec, s[10:11]
	buffer_load_dword v66, off, s[0:3], 0 offset:112
	buffer_load_dword v67, off, s[0:3], 0 offset:116
	v_cmp_lt_u32_e64 s[4:5], 14, v0
	s_waitcnt vmcnt(0)
	ds_write_b64 v68, v[66:67]
	s_waitcnt lgkmcnt(0)
	; wave barrier
	s_waitcnt lgkmcnt(0)
	s_and_saveexec_b64 s[10:11], s[4:5]
	s_cbranch_execz .LBB31_166
; %bb.157:
	s_andn2_b64 vcc, exec, s[8:9]
	s_cbranch_vccnz .LBB31_159
; %bb.158:
	buffer_load_dword v66, v69, s[0:3], 0 offen
	buffer_load_dword v67, v69, s[0:3], 0 offen offset:4
	ds_read_b64 v[86:87], v68
	s_waitcnt vmcnt(0) lgkmcnt(0)
	v_mul_f64 v[66:67], v[66:67], v[86:87]
	s_cbranch_execz .LBB31_160
	s_branch .LBB31_161
.LBB31_159:
                                        ; implicit-def: $vgpr66_vgpr67
.LBB31_160:
	ds_read_b64 v[66:67], v68
.LBB31_161:
	s_and_saveexec_b64 s[12:13], s[6:7]
	s_cbranch_execz .LBB31_165
; %bb.162:
	v_add_u32_e32 v85, -15, v0
	s_movk_i32 s14, 0x178
	s_mov_b64 s[6:7], 0
.LBB31_163:                             ; =>This Inner Loop Header: Depth=1
	buffer_load_dword v86, v84, s[0:3], 0 offen
	buffer_load_dword v87, v84, s[0:3], 0 offen offset:4
	v_mov_b32_e32 v88, s14
	ds_read_b64 v[88:89], v88
	v_add_u32_e32 v85, -1, v85
	s_add_i32 s14, s14, 8
	v_cmp_eq_u32_e32 vcc, 0, v85
	v_add_u32_e32 v84, 8, v84
	s_or_b64 s[6:7], vcc, s[6:7]
	s_waitcnt vmcnt(0) lgkmcnt(0)
	v_fmac_f64_e32 v[66:67], v[86:87], v[88:89]
	s_andn2_b64 exec, exec, s[6:7]
	s_cbranch_execnz .LBB31_163
; %bb.164:
	s_or_b64 exec, exec, s[6:7]
.LBB31_165:
	s_or_b64 exec, exec, s[12:13]
	v_mov_b32_e32 v84, 0
	ds_read_b64 v[84:85], v84 offset:112
	s_waitcnt lgkmcnt(0)
	v_mul_f64 v[66:67], v[66:67], v[84:85]
	buffer_store_dword v67, off, s[0:3], 0 offset:116
	buffer_store_dword v66, off, s[0:3], 0 offset:112
.LBB31_166:
	;; [unrolled: 58-line block ×15, first 2 shown]
	s_or_b64 exec, exec, s[10:11]
	buffer_load_dword v66, off, s[0:3], 0
	buffer_load_dword v67, off, s[0:3], 0 offset:4
	v_cmp_ne_u32_e32 vcc, 0, v0
	s_waitcnt vmcnt(0)
	ds_write_b64 v68, v[66:67]
	s_waitcnt lgkmcnt(0)
	; wave barrier
	s_waitcnt lgkmcnt(0)
	s_and_saveexec_b64 s[4:5], vcc
	s_cbranch_execz .LBB31_306
; %bb.297:
	s_andn2_b64 vcc, exec, s[8:9]
	s_cbranch_vccnz .LBB31_299
; %bb.298:
	buffer_load_dword v66, v69, s[0:3], 0 offen
	buffer_load_dword v67, v69, s[0:3], 0 offen offset:4
	ds_read_b64 v[72:73], v68
	s_waitcnt vmcnt(0) lgkmcnt(0)
	v_mul_f64 v[66:67], v[66:67], v[72:73]
	s_cbranch_execz .LBB31_300
	s_branch .LBB31_301
.LBB31_299:
                                        ; implicit-def: $vgpr66_vgpr67
.LBB31_300:
	ds_read_b64 v[66:67], v68
.LBB31_301:
	s_and_saveexec_b64 s[10:11], s[6:7]
	s_cbranch_execz .LBB31_305
; %bb.302:
	v_add_u32_e32 v71, -1, v0
	s_movk_i32 s12, 0x108
	s_mov_b64 s[6:7], 0
.LBB31_303:                             ; =>This Inner Loop Header: Depth=1
	buffer_load_dword v72, v70, s[0:3], 0 offen
	buffer_load_dword v73, v70, s[0:3], 0 offen offset:4
	v_mov_b32_e32 v74, s12
	ds_read_b64 v[74:75], v74
	v_add_u32_e32 v71, -1, v71
	s_add_i32 s12, s12, 8
	v_cmp_eq_u32_e32 vcc, 0, v71
	v_add_u32_e32 v70, 8, v70
	s_or_b64 s[6:7], vcc, s[6:7]
	s_waitcnt vmcnt(0) lgkmcnt(0)
	v_fmac_f64_e32 v[66:67], v[72:73], v[74:75]
	s_andn2_b64 exec, exec, s[6:7]
	s_cbranch_execnz .LBB31_303
; %bb.304:
	s_or_b64 exec, exec, s[6:7]
.LBB31_305:
	s_or_b64 exec, exec, s[10:11]
	v_mov_b32_e32 v70, 0
	ds_read_b64 v[70:71], v70
	s_waitcnt lgkmcnt(0)
	v_mul_f64 v[66:67], v[66:67], v[70:71]
	buffer_store_dword v67, off, s[0:3], 0 offset:4
	buffer_store_dword v66, off, s[0:3], 0
.LBB31_306:
	s_or_b64 exec, exec, s[4:5]
	s_mov_b64 s[4:5], 0
.LBB31_307:
	s_and_b64 vcc, exec, s[4:5]
	s_cbranch_vccz .LBB31_611
; %bb.308:
	buffer_load_dword v66, off, s[0:3], 0 offset:8
	buffer_load_dword v67, off, s[0:3], 0 offset:12
	v_cmp_eq_u32_e64 s[6:7], 0, v0
	s_waitcnt vmcnt(0)
	ds_write_b64 v68, v[66:67]
	s_waitcnt lgkmcnt(0)
	; wave barrier
	s_waitcnt lgkmcnt(0)
	s_and_saveexec_b64 s[4:5], s[6:7]
	s_cbranch_execz .LBB31_314
; %bb.309:
	s_and_b64 vcc, exec, s[8:9]
	s_cbranch_vccz .LBB31_311
; %bb.310:
	buffer_load_dword v66, v69, s[0:3], 0 offen
	buffer_load_dword v67, v69, s[0:3], 0 offen offset:4
	ds_read_b64 v[70:71], v68
	s_waitcnt vmcnt(0) lgkmcnt(0)
	v_mul_f64 v[66:67], v[66:67], v[70:71]
	s_cbranch_execz .LBB31_312
	s_branch .LBB31_313
.LBB31_311:
                                        ; implicit-def: $vgpr66_vgpr67
.LBB31_312:
	ds_read_b64 v[66:67], v68
.LBB31_313:
	v_mov_b32_e32 v70, 0
	ds_read_b64 v[70:71], v70 offset:8
	s_waitcnt lgkmcnt(0)
	v_mul_f64 v[66:67], v[66:67], v[70:71]
	buffer_store_dword v67, off, s[0:3], 0 offset:12
	buffer_store_dword v66, off, s[0:3], 0 offset:8
.LBB31_314:
	s_or_b64 exec, exec, s[4:5]
	buffer_load_dword v66, off, s[0:3], 0 offset:16
	buffer_load_dword v67, off, s[0:3], 0 offset:20
	v_cndmask_b32_e64 v70, 0, 1, s[8:9]
	v_cmp_gt_u32_e32 vcc, 2, v0
	v_cmp_ne_u32_e64 s[4:5], 1, v70
	s_waitcnt vmcnt(0)
	ds_write_b64 v68, v[66:67]
	s_waitcnt lgkmcnt(0)
	; wave barrier
	s_waitcnt lgkmcnt(0)
	s_and_saveexec_b64 s[8:9], vcc
	s_cbranch_execz .LBB31_322
; %bb.315:
	s_and_b64 vcc, exec, s[4:5]
	s_cbranch_vccnz .LBB31_317
; %bb.316:
	buffer_load_dword v66, v69, s[0:3], 0 offen
	buffer_load_dword v67, v69, s[0:3], 0 offen offset:4
	ds_read_b64 v[70:71], v68
	s_waitcnt vmcnt(0) lgkmcnt(0)
	v_mul_f64 v[66:67], v[66:67], v[70:71]
	s_cbranch_execz .LBB31_318
	s_branch .LBB31_319
.LBB31_317:
                                        ; implicit-def: $vgpr66_vgpr67
.LBB31_318:
	ds_read_b64 v[66:67], v68
.LBB31_319:
	s_and_saveexec_b64 s[10:11], s[6:7]
	s_cbranch_execz .LBB31_321
; %bb.320:
	buffer_load_dword v70, v69, s[0:3], 0 offen offset:8
	buffer_load_dword v71, v69, s[0:3], 0 offen offset:12
	ds_read_b64 v[72:73], v68 offset:8
	s_waitcnt vmcnt(0) lgkmcnt(0)
	v_fmac_f64_e32 v[66:67], v[70:71], v[72:73]
.LBB31_321:
	s_or_b64 exec, exec, s[10:11]
	v_mov_b32_e32 v70, 0
	ds_read_b64 v[70:71], v70 offset:16
	s_waitcnt lgkmcnt(0)
	v_mul_f64 v[66:67], v[66:67], v[70:71]
	buffer_store_dword v67, off, s[0:3], 0 offset:20
	buffer_store_dword v66, off, s[0:3], 0 offset:16
.LBB31_322:
	s_or_b64 exec, exec, s[8:9]
	buffer_load_dword v66, off, s[0:3], 0 offset:24
	buffer_load_dword v67, off, s[0:3], 0 offset:28
	v_cmp_gt_u32_e32 vcc, 3, v0
	s_waitcnt vmcnt(0)
	ds_write_b64 v68, v[66:67]
	s_waitcnt lgkmcnt(0)
	; wave barrier
	s_waitcnt lgkmcnt(0)
	s_and_saveexec_b64 s[8:9], vcc
	s_cbranch_execz .LBB31_330
; %bb.323:
	s_and_b64 vcc, exec, s[4:5]
	s_cbranch_vccnz .LBB31_325
; %bb.324:
	buffer_load_dword v66, v69, s[0:3], 0 offen
	buffer_load_dword v67, v69, s[0:3], 0 offen offset:4
	ds_read_b64 v[70:71], v68
	s_waitcnt vmcnt(0) lgkmcnt(0)
	v_mul_f64 v[66:67], v[66:67], v[70:71]
	s_cbranch_execz .LBB31_326
	s_branch .LBB31_327
.LBB31_325:
                                        ; implicit-def: $vgpr66_vgpr67
.LBB31_326:
	ds_read_b64 v[66:67], v68
.LBB31_327:
	v_cmp_ne_u32_e32 vcc, 2, v0
	s_and_saveexec_b64 s[10:11], vcc
	s_cbranch_execz .LBB31_329
; %bb.328:
	buffer_load_dword v71, v69, s[0:3], 0 offen offset:12
	buffer_load_dword v72, off, s[0:3], 0 offset:16
	buffer_load_dword v70, v69, s[0:3], 0 offen offset:8
	buffer_load_dword v73, off, s[0:3], 0 offset:20
	v_mov_b32_e32 v76, 0
	ds_read_b64 v[74:75], v68 offset:8
	ds_read_b64 v[76:77], v76 offset:272
	s_waitcnt vmcnt(1) lgkmcnt(1)
	v_fmac_f64_e32 v[66:67], v[70:71], v[74:75]
	s_waitcnt vmcnt(0) lgkmcnt(0)
	v_fma_f64 v[70:71], v[72:73], v[76:77], v[66:67]
	v_cndmask_b32_e64 v67, v67, v71, s[6:7]
	v_cndmask_b32_e64 v66, v66, v70, s[6:7]
.LBB31_329:
	s_or_b64 exec, exec, s[10:11]
	v_mov_b32_e32 v70, 0
	ds_read_b64 v[70:71], v70 offset:24
	s_waitcnt lgkmcnt(0)
	v_mul_f64 v[66:67], v[66:67], v[70:71]
	buffer_store_dword v67, off, s[0:3], 0 offset:28
	buffer_store_dword v66, off, s[0:3], 0 offset:24
.LBB31_330:
	s_or_b64 exec, exec, s[8:9]
	buffer_load_dword v66, off, s[0:3], 0 offset:32
	buffer_load_dword v67, off, s[0:3], 0 offset:36
	v_cmp_gt_u32_e32 vcc, 4, v0
	s_waitcnt vmcnt(0)
	ds_write_b64 v68, v[66:67]
	s_waitcnt lgkmcnt(0)
	; wave barrier
	s_waitcnt lgkmcnt(0)
	s_and_saveexec_b64 s[6:7], vcc
	s_cbranch_execz .LBB31_340
; %bb.331:
	s_and_b64 vcc, exec, s[4:5]
	s_cbranch_vccnz .LBB31_333
; %bb.332:
	buffer_load_dword v66, v69, s[0:3], 0 offen
	buffer_load_dword v67, v69, s[0:3], 0 offen offset:4
	ds_read_b64 v[70:71], v68
	s_waitcnt vmcnt(0) lgkmcnt(0)
	v_mul_f64 v[66:67], v[66:67], v[70:71]
	s_cbranch_execz .LBB31_334
	s_branch .LBB31_335
.LBB31_333:
                                        ; implicit-def: $vgpr66_vgpr67
.LBB31_334:
	ds_read_b64 v[66:67], v68
.LBB31_335:
	v_cmp_ne_u32_e32 vcc, 3, v0
	s_and_saveexec_b64 s[8:9], vcc
	s_cbranch_execz .LBB31_339
; %bb.336:
	v_mov_b32_e32 v71, 0
	v_add_u32_e32 v70, 0x108, v1
	v_add3_u32 v71, v1, v71, 8
	s_mov_b64 s[10:11], 0
	v_mov_b32_e32 v72, v0
.LBB31_337:                             ; =>This Inner Loop Header: Depth=1
	buffer_load_dword v74, v71, s[0:3], 0 offen
	buffer_load_dword v75, v71, s[0:3], 0 offen offset:4
	ds_read_b64 v[76:77], v70
	v_add_u32_e32 v72, 1, v72
	v_cmp_lt_u32_e32 vcc, 2, v72
	v_add_u32_e32 v70, 8, v70
	v_add_u32_e32 v71, 8, v71
	s_or_b64 s[10:11], vcc, s[10:11]
	s_waitcnt vmcnt(0) lgkmcnt(0)
	v_fmac_f64_e32 v[66:67], v[74:75], v[76:77]
	s_andn2_b64 exec, exec, s[10:11]
	s_cbranch_execnz .LBB31_337
; %bb.338:
	s_or_b64 exec, exec, s[10:11]
.LBB31_339:
	s_or_b64 exec, exec, s[8:9]
	v_mov_b32_e32 v70, 0
	ds_read_b64 v[70:71], v70 offset:32
	s_waitcnt lgkmcnt(0)
	v_mul_f64 v[66:67], v[66:67], v[70:71]
	buffer_store_dword v67, off, s[0:3], 0 offset:36
	buffer_store_dword v66, off, s[0:3], 0 offset:32
.LBB31_340:
	s_or_b64 exec, exec, s[6:7]
	buffer_load_dword v66, off, s[0:3], 0 offset:40
	buffer_load_dword v67, off, s[0:3], 0 offset:44
	v_cmp_gt_u32_e32 vcc, 5, v0
	s_waitcnt vmcnt(0)
	ds_write_b64 v68, v[66:67]
	s_waitcnt lgkmcnt(0)
	; wave barrier
	s_waitcnt lgkmcnt(0)
	s_and_saveexec_b64 s[6:7], vcc
	s_cbranch_execz .LBB31_350
; %bb.341:
	s_and_b64 vcc, exec, s[4:5]
	s_cbranch_vccnz .LBB31_343
; %bb.342:
	buffer_load_dword v66, v69, s[0:3], 0 offen
	buffer_load_dword v67, v69, s[0:3], 0 offen offset:4
	ds_read_b64 v[70:71], v68
	s_waitcnt vmcnt(0) lgkmcnt(0)
	v_mul_f64 v[66:67], v[66:67], v[70:71]
	s_cbranch_execz .LBB31_344
	s_branch .LBB31_345
.LBB31_343:
                                        ; implicit-def: $vgpr66_vgpr67
.LBB31_344:
	ds_read_b64 v[66:67], v68
.LBB31_345:
	v_cmp_ne_u32_e32 vcc, 4, v0
	s_and_saveexec_b64 s[8:9], vcc
	s_cbranch_execz .LBB31_349
; %bb.346:
	v_mov_b32_e32 v71, 0
	v_add_u32_e32 v70, 0x108, v1
	v_add3_u32 v71, v1, v71, 8
	s_mov_b64 s[10:11], 0
	v_mov_b32_e32 v72, v0
.LBB31_347:                             ; =>This Inner Loop Header: Depth=1
	buffer_load_dword v74, v71, s[0:3], 0 offen
	buffer_load_dword v75, v71, s[0:3], 0 offen offset:4
	ds_read_b64 v[76:77], v70
	v_add_u32_e32 v72, 1, v72
	v_cmp_lt_u32_e32 vcc, 3, v72
	v_add_u32_e32 v70, 8, v70
	v_add_u32_e32 v71, 8, v71
	s_or_b64 s[10:11], vcc, s[10:11]
	s_waitcnt vmcnt(0) lgkmcnt(0)
	v_fmac_f64_e32 v[66:67], v[74:75], v[76:77]
	s_andn2_b64 exec, exec, s[10:11]
	s_cbranch_execnz .LBB31_347
; %bb.348:
	s_or_b64 exec, exec, s[10:11]
.LBB31_349:
	s_or_b64 exec, exec, s[8:9]
	v_mov_b32_e32 v70, 0
	ds_read_b64 v[70:71], v70 offset:40
	s_waitcnt lgkmcnt(0)
	v_mul_f64 v[66:67], v[66:67], v[70:71]
	buffer_store_dword v67, off, s[0:3], 0 offset:44
	buffer_store_dword v66, off, s[0:3], 0 offset:40
.LBB31_350:
	;; [unrolled: 60-line block ×26, first 2 shown]
	s_or_b64 exec, exec, s[6:7]
	buffer_load_dword v66, off, s[0:3], 0 offset:240
	buffer_load_dword v67, off, s[0:3], 0 offset:244
	v_cmp_gt_u32_e64 s[6:7], 30, v0
	s_waitcnt vmcnt(0)
	ds_write_b64 v68, v[66:67]
	s_waitcnt lgkmcnt(0)
	; wave barrier
	s_waitcnt lgkmcnt(0)
	s_and_saveexec_b64 s[8:9], s[6:7]
	s_cbranch_execz .LBB31_600
; %bb.591:
	s_and_b64 vcc, exec, s[4:5]
	s_cbranch_vccnz .LBB31_593
; %bb.592:
	buffer_load_dword v66, v69, s[0:3], 0 offen
	buffer_load_dword v67, v69, s[0:3], 0 offen offset:4
	ds_read_b64 v[70:71], v68
	s_waitcnt vmcnt(0) lgkmcnt(0)
	v_mul_f64 v[66:67], v[66:67], v[70:71]
	s_cbranch_execz .LBB31_594
	s_branch .LBB31_595
.LBB31_593:
                                        ; implicit-def: $vgpr66_vgpr67
.LBB31_594:
	ds_read_b64 v[66:67], v68
.LBB31_595:
	v_cmp_ne_u32_e32 vcc, 29, v0
	s_and_saveexec_b64 s[10:11], vcc
	s_cbranch_execz .LBB31_599
; %bb.596:
	v_mov_b32_e32 v71, 0
	v_add_u32_e32 v70, 0x108, v1
	v_add3_u32 v71, v1, v71, 8
	s_mov_b64 s[12:13], 0
	v_mov_b32_e32 v72, v0
.LBB31_597:                             ; =>This Inner Loop Header: Depth=1
	buffer_load_dword v74, v71, s[0:3], 0 offen
	buffer_load_dword v75, v71, s[0:3], 0 offen offset:4
	ds_read_b64 v[76:77], v70
	v_add_u32_e32 v72, 1, v72
	v_cmp_lt_u32_e32 vcc, 28, v72
	v_add_u32_e32 v70, 8, v70
	v_add_u32_e32 v71, 8, v71
	s_or_b64 s[12:13], vcc, s[12:13]
	s_waitcnt vmcnt(0) lgkmcnt(0)
	v_fmac_f64_e32 v[66:67], v[74:75], v[76:77]
	s_andn2_b64 exec, exec, s[12:13]
	s_cbranch_execnz .LBB31_597
; %bb.598:
	s_or_b64 exec, exec, s[12:13]
.LBB31_599:
	s_or_b64 exec, exec, s[10:11]
	v_mov_b32_e32 v70, 0
	ds_read_b64 v[70:71], v70 offset:240
	s_waitcnt lgkmcnt(0)
	v_mul_f64 v[66:67], v[66:67], v[70:71]
	buffer_store_dword v67, off, s[0:3], 0 offset:244
	buffer_store_dword v66, off, s[0:3], 0 offset:240
.LBB31_600:
	s_or_b64 exec, exec, s[8:9]
	buffer_load_dword v66, off, s[0:3], 0 offset:248
	buffer_load_dword v67, off, s[0:3], 0 offset:252
	v_cmp_ne_u32_e32 vcc, 31, v0
	s_waitcnt vmcnt(0)
	ds_write_b64 v68, v[66:67]
	s_waitcnt lgkmcnt(0)
	; wave barrier
	s_waitcnt lgkmcnt(0)
	s_and_saveexec_b64 s[8:9], vcc
	s_cbranch_execz .LBB31_610
; %bb.601:
	s_and_b64 vcc, exec, s[4:5]
	s_cbranch_vccnz .LBB31_603
; %bb.602:
	buffer_load_dword v66, v69, s[0:3], 0 offen
	buffer_load_dword v67, v69, s[0:3], 0 offen offset:4
	ds_read_b64 v[70:71], v68
	s_waitcnt vmcnt(0) lgkmcnt(0)
	v_mul_f64 v[66:67], v[66:67], v[70:71]
	s_cbranch_execz .LBB31_604
	s_branch .LBB31_605
.LBB31_603:
                                        ; implicit-def: $vgpr66_vgpr67
.LBB31_604:
	ds_read_b64 v[66:67], v68
.LBB31_605:
	s_and_saveexec_b64 s[4:5], s[6:7]
	s_cbranch_execz .LBB31_609
; %bb.606:
	v_mov_b32_e32 v69, 0
	v_add_u32_e32 v68, 0x108, v1
	v_add3_u32 v1, v1, v69, 8
	s_mov_b64 s[6:7], 0
.LBB31_607:                             ; =>This Inner Loop Header: Depth=1
	buffer_load_dword v70, v1, s[0:3], 0 offen
	buffer_load_dword v71, v1, s[0:3], 0 offen offset:4
	ds_read_b64 v[72:73], v68
	v_add_u32_e32 v0, 1, v0
	v_cmp_lt_u32_e32 vcc, 29, v0
	v_add_u32_e32 v68, 8, v68
	v_add_u32_e32 v1, 8, v1
	s_or_b64 s[6:7], vcc, s[6:7]
	s_waitcnt vmcnt(0) lgkmcnt(0)
	v_fmac_f64_e32 v[66:67], v[70:71], v[72:73]
	s_andn2_b64 exec, exec, s[6:7]
	s_cbranch_execnz .LBB31_607
; %bb.608:
	s_or_b64 exec, exec, s[6:7]
.LBB31_609:
	s_or_b64 exec, exec, s[4:5]
	v_mov_b32_e32 v0, 0
	ds_read_b64 v[0:1], v0 offset:248
	s_waitcnt lgkmcnt(0)
	v_mul_f64 v[0:1], v[66:67], v[0:1]
	buffer_store_dword v1, off, s[0:3], 0 offset:252
	buffer_store_dword v0, off, s[0:3], 0 offset:248
.LBB31_610:
	s_or_b64 exec, exec, s[8:9]
.LBB31_611:
	buffer_load_dword v0, off, s[0:3], 0
	buffer_load_dword v1, off, s[0:3], 0 offset:4
	buffer_load_dword v66, off, s[0:3], 0 offset:8
	;; [unrolled: 1-line block ×63, first 2 shown]
	s_waitcnt vmcnt(62)
	global_store_dwordx2 v[2:3], v[0:1], off
	s_waitcnt vmcnt(61)
	global_store_dwordx2 v[4:5], v[66:67], off
	;; [unrolled: 2-line block ×9, first 2 shown]
	global_store_dwordx2 v[22:23], v[80:81], off
	global_store_dwordx2 v[24:25], v[82:83], off
	;; [unrolled: 1-line block ×3, first 2 shown]
	s_waitcnt vmcnt(50)
	global_store_dwordx2 v[28:29], v[88:89], off
	s_waitcnt vmcnt(49)
	global_store_dwordx2 v[30:31], v[90:91], off
	;; [unrolled: 2-line block ×20, first 2 shown]
.LBB31_612:
	s_endpgm
	.section	.rodata,"a",@progbits
	.p2align	6, 0x0
	.amdhsa_kernel _ZN9rocsolver6v33100L18trti2_kernel_smallILi32EdPdEEv13rocblas_fill_17rocblas_diagonal_T1_iil
		.amdhsa_group_segment_fixed_size 512
		.amdhsa_private_segment_fixed_size 272
		.amdhsa_kernarg_size 32
		.amdhsa_user_sgpr_count 8
		.amdhsa_user_sgpr_private_segment_buffer 1
		.amdhsa_user_sgpr_dispatch_ptr 0
		.amdhsa_user_sgpr_queue_ptr 0
		.amdhsa_user_sgpr_kernarg_segment_ptr 1
		.amdhsa_user_sgpr_dispatch_id 0
		.amdhsa_user_sgpr_flat_scratch_init 1
		.amdhsa_user_sgpr_kernarg_preload_length 0
		.amdhsa_user_sgpr_kernarg_preload_offset 0
		.amdhsa_user_sgpr_private_segment_size 0
		.amdhsa_uses_dynamic_stack 0
		.amdhsa_system_sgpr_private_segment_wavefront_offset 1
		.amdhsa_system_sgpr_workgroup_id_x 1
		.amdhsa_system_sgpr_workgroup_id_y 0
		.amdhsa_system_sgpr_workgroup_id_z 0
		.amdhsa_system_sgpr_workgroup_info 0
		.amdhsa_system_vgpr_workitem_id 0
		.amdhsa_next_free_vgpr 128
		.amdhsa_next_free_sgpr 20
		.amdhsa_accum_offset 128
		.amdhsa_reserve_vcc 1
		.amdhsa_reserve_flat_scratch 0
		.amdhsa_float_round_mode_32 0
		.amdhsa_float_round_mode_16_64 0
		.amdhsa_float_denorm_mode_32 3
		.amdhsa_float_denorm_mode_16_64 3
		.amdhsa_dx10_clamp 1
		.amdhsa_ieee_mode 1
		.amdhsa_fp16_overflow 0
		.amdhsa_tg_split 0
		.amdhsa_exception_fp_ieee_invalid_op 0
		.amdhsa_exception_fp_denorm_src 0
		.amdhsa_exception_fp_ieee_div_zero 0
		.amdhsa_exception_fp_ieee_overflow 0
		.amdhsa_exception_fp_ieee_underflow 0
		.amdhsa_exception_fp_ieee_inexact 0
		.amdhsa_exception_int_div_zero 0
	.end_amdhsa_kernel
	.section	.text._ZN9rocsolver6v33100L18trti2_kernel_smallILi32EdPdEEv13rocblas_fill_17rocblas_diagonal_T1_iil,"axG",@progbits,_ZN9rocsolver6v33100L18trti2_kernel_smallILi32EdPdEEv13rocblas_fill_17rocblas_diagonal_T1_iil,comdat
.Lfunc_end31:
	.size	_ZN9rocsolver6v33100L18trti2_kernel_smallILi32EdPdEEv13rocblas_fill_17rocblas_diagonal_T1_iil, .Lfunc_end31-_ZN9rocsolver6v33100L18trti2_kernel_smallILi32EdPdEEv13rocblas_fill_17rocblas_diagonal_T1_iil
                                        ; -- End function
	.section	.AMDGPU.csdata,"",@progbits
; Kernel info:
; codeLenInByte = 18600
; NumSgprs: 24
; NumVgprs: 128
; NumAgprs: 0
; TotalNumVgprs: 128
; ScratchSize: 272
; MemoryBound: 0
; FloatMode: 240
; IeeeMode: 1
; LDSByteSize: 512 bytes/workgroup (compile time only)
; SGPRBlocks: 2
; VGPRBlocks: 15
; NumSGPRsForWavesPerEU: 24
; NumVGPRsForWavesPerEU: 128
; AccumOffset: 128
; Occupancy: 4
; WaveLimiterHint : 0
; COMPUTE_PGM_RSRC2:SCRATCH_EN: 1
; COMPUTE_PGM_RSRC2:USER_SGPR: 8
; COMPUTE_PGM_RSRC2:TRAP_HANDLER: 0
; COMPUTE_PGM_RSRC2:TGID_X_EN: 1
; COMPUTE_PGM_RSRC2:TGID_Y_EN: 0
; COMPUTE_PGM_RSRC2:TGID_Z_EN: 0
; COMPUTE_PGM_RSRC2:TIDIG_COMP_CNT: 0
; COMPUTE_PGM_RSRC3_GFX90A:ACCUM_OFFSET: 31
; COMPUTE_PGM_RSRC3_GFX90A:TG_SPLIT: 0
	.section	.text._ZN9rocsolver6v33100L18trti2_kernel_smallILi33EdPdEEv13rocblas_fill_17rocblas_diagonal_T1_iil,"axG",@progbits,_ZN9rocsolver6v33100L18trti2_kernel_smallILi33EdPdEEv13rocblas_fill_17rocblas_diagonal_T1_iil,comdat
	.globl	_ZN9rocsolver6v33100L18trti2_kernel_smallILi33EdPdEEv13rocblas_fill_17rocblas_diagonal_T1_iil ; -- Begin function _ZN9rocsolver6v33100L18trti2_kernel_smallILi33EdPdEEv13rocblas_fill_17rocblas_diagonal_T1_iil
	.p2align	8
	.type	_ZN9rocsolver6v33100L18trti2_kernel_smallILi33EdPdEEv13rocblas_fill_17rocblas_diagonal_T1_iil,@function
_ZN9rocsolver6v33100L18trti2_kernel_smallILi33EdPdEEv13rocblas_fill_17rocblas_diagonal_T1_iil: ; @_ZN9rocsolver6v33100L18trti2_kernel_smallILi33EdPdEEv13rocblas_fill_17rocblas_diagonal_T1_iil
; %bb.0:
	s_add_u32 s0, s0, s9
	s_addc_u32 s1, s1, 0
	v_cmp_gt_u32_e32 vcc, 33, v0
	s_and_saveexec_b64 s[6:7], vcc
	s_cbranch_execz .LBB32_632
; %bb.1:
	s_load_dwordx8 s[12:19], s[4:5], 0x0
	s_ashr_i32 s6, s8, 31
	v_lshlrev_b32_e32 v1, 3, v0
	s_waitcnt lgkmcnt(0)
	s_mul_i32 s7, s8, s19
	s_mul_hi_u32 s9, s8, s18
	s_add_i32 s7, s9, s7
	s_mul_i32 s6, s6, s18
	s_add_i32 s7, s7, s6
	s_mul_i32 s6, s8, s18
	s_ashr_i32 s5, s16, 31
	s_lshl_b64 s[6:7], s[6:7], 3
	s_mov_b32 s4, s16
	s_add_u32 s6, s14, s6
	s_addc_u32 s7, s15, s7
	s_lshl_b64 s[4:5], s[4:5], 3
	s_add_u32 s4, s6, s4
	s_addc_u32 s5, s7, s5
	v_mov_b32_e32 v3, s5
	v_add_co_u32_e32 v2, vcc, s4, v1
	s_ashr_i32 s7, s17, 31
	s_mov_b32 s6, s17
	v_addc_co_u32_e32 v3, vcc, 0, v3, vcc
	s_lshl_b64 s[6:7], s[6:7], 3
	v_add_co_u32_e32 v4, vcc, s6, v2
	s_add_i32 s6, s17, s17
	v_add_u32_e32 v8, s6, v0
	v_mov_b32_e32 v5, s7
	v_ashrrev_i32_e32 v9, 31, v8
	v_addc_co_u32_e32 v5, vcc, v3, v5, vcc
	v_lshlrev_b64 v[6:7], 3, v[8:9]
	v_mov_b32_e32 v9, s5
	v_add_co_u32_e32 v6, vcc, s4, v6
	global_load_dwordx2 v[16:17], v1, s[4:5]
	v_addc_co_u32_e32 v7, vcc, v9, v7, vcc
	global_load_dwordx2 v[20:21], v[4:5], off
	global_load_dwordx2 v[22:23], v[6:7], off
	v_add_u32_e32 v10, s17, v8
	v_ashrrev_i32_e32 v11, 31, v10
	v_lshlrev_b64 v[8:9], 3, v[10:11]
	v_mov_b32_e32 v11, s5
	v_add_co_u32_e32 v8, vcc, s4, v8
	v_addc_co_u32_e32 v9, vcc, v11, v9, vcc
	global_load_dwordx2 v[24:25], v[8:9], off
	v_add_u32_e32 v10, s17, v10
	v_ashrrev_i32_e32 v11, 31, v10
	v_add_u32_e32 v12, s17, v10
	v_lshlrev_b64 v[10:11], 3, v[10:11]
	v_mov_b32_e32 v15, s5
	v_ashrrev_i32_e32 v13, 31, v12
	v_add_co_u32_e32 v10, vcc, s4, v10
	v_add_u32_e32 v14, s17, v12
	v_addc_co_u32_e32 v11, vcc, v15, v11, vcc
	global_load_dwordx2 v[84:85], v[10:11], off
	v_lshlrev_b64 v[12:13], 3, v[12:13]
	v_mov_b32_e32 v19, s5
	v_ashrrev_i32_e32 v15, 31, v14
	v_add_co_u32_e32 v12, vcc, s4, v12
	v_add_u32_e32 v18, s17, v14
	v_addc_co_u32_e32 v13, vcc, v19, v13, vcc
	v_lshlrev_b64 v[14:15], 3, v[14:15]
	v_mov_b32_e32 v27, s5
	v_ashrrev_i32_e32 v19, 31, v18
	v_add_co_u32_e32 v14, vcc, s4, v14
	v_add_u32_e32 v26, s17, v18
	v_addc_co_u32_e32 v15, vcc, v27, v15, vcc
	v_lshlrev_b64 v[18:19], 3, v[18:19]
	v_mov_b32_e32 v28, s5
	v_ashrrev_i32_e32 v27, 31, v26
	v_add_co_u32_e32 v18, vcc, s4, v18
	v_addc_co_u32_e32 v19, vcc, v28, v19, vcc
	v_lshlrev_b64 v[28:29], 3, v[26:27]
	v_mov_b32_e32 v30, s5
	v_mov_b32_e32 v110, s5
	s_cmpk_lg_i32 s13, 0x84
	s_cselect_b64 s[8:9], -1, 0
	s_cmpk_eq_i32 s13, 0x84
	s_waitcnt vmcnt(4)
	buffer_store_dword v17, off, s[0:3], 0 offset:4
	buffer_store_dword v16, off, s[0:3], 0
	s_waitcnt vmcnt(5)
	buffer_store_dword v21, off, s[0:3], 0 offset:12
	buffer_store_dword v20, off, s[0:3], 0 offset:8
	s_waitcnt vmcnt(6)
	buffer_store_dword v23, off, s[0:3], 0 offset:20
	buffer_store_dword v22, off, s[0:3], 0 offset:16
	;; [unrolled: 3-line block ×3, first 2 shown]
	v_add_u32_e32 v22, s17, v26
	v_add_co_u32_e32 v20, vcc, s4, v28
	v_ashrrev_i32_e32 v23, 31, v22
	v_addc_co_u32_e32 v21, vcc, v30, v29, vcc
	v_lshlrev_b64 v[16:17], 3, v[22:23]
	v_add_u32_e32 v24, s17, v22
	v_mov_b32_e32 v23, s5
	v_add_co_u32_e32 v16, vcc, s4, v16
	v_ashrrev_i32_e32 v25, 31, v24
	v_addc_co_u32_e32 v17, vcc, v23, v17, vcc
	v_lshlrev_b64 v[22:23], 3, v[24:25]
	v_add_u32_e32 v26, s17, v24
	v_mov_b32_e32 v25, s5
	;; [unrolled: 6-line block ×19, first 2 shown]
	v_add_co_u32_e32 v56, vcc, s4, v56
	v_ashrrev_i32_e32 v61, 31, v60
	v_addc_co_u32_e32 v57, vcc, v59, v57, vcc
	v_lshlrev_b64 v[58:59], 3, v[60:61]
	v_mov_b32_e32 v61, s5
	v_add_co_u32_e32 v58, vcc, s4, v58
	global_load_dwordx2 v[74:75], v[12:13], off
	global_load_dwordx2 v[72:73], v[14:15], off
	global_load_dwordx2 v[70:71], v[18:19], off
	global_load_dwordx2 v[68:69], v[20:21], off
	global_load_dwordx2 v[82:83], v[16:17], off
	global_load_dwordx2 v[80:81], v[22:23], off
	global_load_dwordx2 v[78:79], v[24:25], off
	global_load_dwordx2 v[76:77], v[26:27], off
	global_load_dwordx2 v[92:93], v[28:29], off
	global_load_dwordx2 v[90:91], v[30:31], off
	global_load_dwordx2 v[88:89], v[32:33], off
	global_load_dwordx2 v[86:87], v[34:35], off
	global_load_dwordx2 v[100:101], v[36:37], off
	global_load_dwordx2 v[98:99], v[38:39], off
	global_load_dwordx2 v[96:97], v[40:41], off
	global_load_dwordx2 v[94:95], v[42:43], off
	global_load_dwordx2 v[108:109], v[44:45], off
	global_load_dwordx2 v[106:107], v[46:47], off
	global_load_dwordx2 v[104:105], v[48:49], off
	global_load_dwordx2 v[102:103], v[50:51], off
	v_addc_co_u32_e32 v59, vcc, v61, v59, vcc
	global_load_dwordx2 v[112:113], v[52:53], off
	global_load_dwordx2 v[114:115], v[54:55], off
	;; [unrolled: 1-line block ×4, first 2 shown]
	v_add_u32_e32 v62, s17, v60
	v_ashrrev_i32_e32 v63, 31, v62
	v_lshlrev_b64 v[60:61], 3, v[62:63]
	v_mov_b32_e32 v63, s5
	v_add_co_u32_e32 v60, vcc, s4, v60
	v_add_u32_e32 v62, s17, v62
	v_addc_co_u32_e32 v61, vcc, v63, v61, vcc
	v_ashrrev_i32_e32 v63, 31, v62
	v_lshlrev_b64 v[64:65], 3, v[62:63]
	v_mov_b32_e32 v63, s5
	v_add_co_u32_e32 v64, vcc, s4, v64
	v_add_u32_e32 v62, s17, v62
	v_addc_co_u32_e32 v65, vcc, v63, v65, vcc
	v_ashrrev_i32_e32 v63, 31, v62
	global_load_dwordx2 v[120:121], v[60:61], off
	v_lshlrev_b64 v[66:67], 3, v[62:63]
	v_mov_b32_e32 v63, s5
	v_add_co_u32_e32 v66, vcc, s4, v66
	v_add_u32_e32 v62, s17, v62
	v_addc_co_u32_e32 v67, vcc, v63, v67, vcc
	v_ashrrev_i32_e32 v63, 31, v62
	global_load_dwordx2 v[122:123], v[64:65], off
	global_load_dwordx2 v[124:125], v[66:67], off
	v_lshlrev_b64 v[62:63], 3, v[62:63]
	v_add_co_u32_e32 v62, vcc, s4, v62
	v_addc_co_u32_e32 v63, vcc, v110, v63, vcc
	s_waitcnt vmcnt(35)
	buffer_store_dword v85, off, s[0:3], 0 offset:36
	buffer_store_dword v84, off, s[0:3], 0 offset:32
	global_load_dwordx2 v[84:85], v[62:63], off
	s_waitcnt vmcnt(29)
	buffer_store_dword v75, off, s[0:3], 0 offset:44
	buffer_store_dword v74, off, s[0:3], 0 offset:40
	s_waitcnt vmcnt(30)
	buffer_store_dword v73, off, s[0:3], 0 offset:52
	buffer_store_dword v72, off, s[0:3], 0 offset:48
	;; [unrolled: 3-line block ×28, first 2 shown]
	v_mov_b32_e32 v68, 0
	v_mov_b32_e32 v110, 0
	;; [unrolled: 1-line block ×3, first 2 shown]
	s_cbranch_scc1 .LBB32_3
; %bb.2:
	v_lshl_add_u32 v78, v0, 3, v110
	buffer_load_dword v68, v78, s[0:3], 0 offen
	buffer_load_dword v69, v78, s[0:3], 0 offen offset:4
	s_waitcnt vmcnt(0)
	v_div_scale_f64 v[70:71], s[4:5], v[68:69], v[68:69], 1.0
	v_rcp_f64_e32 v[72:73], v[70:71]
	v_div_scale_f64 v[74:75], vcc, 1.0, v[68:69], 1.0
	v_fma_f64 v[76:77], -v[70:71], v[72:73], 1.0
	v_fmac_f64_e32 v[72:73], v[72:73], v[76:77]
	v_fma_f64 v[76:77], -v[70:71], v[72:73], 1.0
	v_fmac_f64_e32 v[72:73], v[72:73], v[76:77]
	v_mul_f64 v[76:77], v[74:75], v[72:73]
	v_fma_f64 v[70:71], -v[70:71], v[76:77], v[74:75]
	v_div_fmas_f64 v[70:71], v[70:71], v[72:73], v[76:77]
	v_div_fixup_f64 v[68:69], v[70:71], v[68:69], 1.0
	buffer_store_dword v68, v78, s[0:3], 0 offen
	buffer_store_dword v69, v78, s[0:3], 0 offen offset:4
	v_xor_b32_e32 v69, 0x80000000, v69
.LBB32_3:
	s_cmpk_eq_i32 s12, 0x79
	v_add_u32_e32 v70, 0x110, v1
	v_add_u32_e32 v71, 0, v1
	s_mov_b64 s[4:5], -1
	ds_write_b64 v1, v[68:69]
	s_cbranch_scc1 .LBB32_317
; %bb.4:
	buffer_load_dword v68, off, s[0:3], 0 offset:248
	buffer_load_dword v69, off, s[0:3], 0 offset:252
	v_cmp_eq_u32_e64 s[4:5], 32, v0
	s_waitcnt vmcnt(0)
	ds_write_b64 v70, v[68:69]
	s_waitcnt lgkmcnt(0)
	; wave barrier
	s_waitcnt lgkmcnt(0)
	s_and_saveexec_b64 s[6:7], s[4:5]
	s_cbranch_execz .LBB32_10
; %bb.5:
	s_and_b64 vcc, exec, s[8:9]
	s_cbranch_vccz .LBB32_7
; %bb.6:
	buffer_load_dword v68, v71, s[0:3], 0 offen
	buffer_load_dword v69, v71, s[0:3], 0 offen offset:4
	ds_read_b64 v[72:73], v70
	s_waitcnt vmcnt(0) lgkmcnt(0)
	v_mul_f64 v[68:69], v[68:69], v[72:73]
	s_cbranch_execz .LBB32_8
	s_branch .LBB32_9
.LBB32_7:
                                        ; implicit-def: $vgpr68_vgpr69
.LBB32_8:
	ds_read_b64 v[68:69], v70
.LBB32_9:
	v_mov_b32_e32 v72, 0
	ds_read_b64 v[72:73], v72 offset:248
	s_waitcnt lgkmcnt(0)
	v_mul_f64 v[68:69], v[68:69], v[72:73]
	buffer_store_dword v69, off, s[0:3], 0 offset:252
	buffer_store_dword v68, off, s[0:3], 0 offset:248
.LBB32_10:
	s_or_b64 exec, exec, s[6:7]
	buffer_load_dword v68, off, s[0:3], 0 offset:240
	buffer_load_dword v69, off, s[0:3], 0 offset:244
	v_or_b32_e32 v72, 8, v110
	v_add_u32_e32 v73, 16, v110
	v_add_u32_e32 v74, 24, v110
	;; [unrolled: 1-line block ×29, first 2 shown]
	v_cmp_lt_u32_e64 s[6:7], 30, v0
	s_waitcnt vmcnt(0)
	ds_write_b64 v70, v[68:69]
	s_waitcnt lgkmcnt(0)
	; wave barrier
	s_waitcnt lgkmcnt(0)
	s_and_saveexec_b64 s[10:11], s[6:7]
	s_cbranch_execz .LBB32_16
; %bb.11:
	s_andn2_b64 vcc, exec, s[8:9]
	s_cbranch_vccnz .LBB32_13
; %bb.12:
	buffer_load_dword v68, v71, s[0:3], 0 offen
	buffer_load_dword v69, v71, s[0:3], 0 offen offset:4
	ds_read_b64 v[102:103], v70
	s_waitcnt vmcnt(0) lgkmcnt(0)
	v_mul_f64 v[68:69], v[68:69], v[102:103]
	s_cbranch_execz .LBB32_14
	s_branch .LBB32_15
.LBB32_13:
                                        ; implicit-def: $vgpr68_vgpr69
.LBB32_14:
	ds_read_b64 v[68:69], v70
.LBB32_15:
	buffer_load_dword v106, off, s[0:3], 0 offset:248
	buffer_load_dword v107, off, s[0:3], 0 offset:252
	v_mov_b32_e32 v102, 0
	ds_read2_b64 v[102:105], v102 offset0:30 offset1:65
	s_waitcnt vmcnt(0) lgkmcnt(0)
	v_fma_f64 v[104:105], v[106:107], v[104:105], v[68:69]
	v_cndmask_b32_e64 v69, v69, v105, s[4:5]
	v_cndmask_b32_e64 v68, v68, v104, s[4:5]
	v_mul_f64 v[68:69], v[68:69], v[102:103]
	buffer_store_dword v69, off, s[0:3], 0 offset:244
	buffer_store_dword v68, off, s[0:3], 0 offset:240
.LBB32_16:
	s_or_b64 exec, exec, s[10:11]
	buffer_load_dword v68, off, s[0:3], 0 offset:232
	buffer_load_dword v69, off, s[0:3], 0 offset:236
	v_cmp_lt_u32_e64 s[4:5], 29, v0
	s_waitcnt vmcnt(0)
	ds_write_b64 v70, v[68:69]
	s_waitcnt lgkmcnt(0)
	; wave barrier
	s_waitcnt lgkmcnt(0)
	s_and_saveexec_b64 s[10:11], s[4:5]
	s_cbranch_execz .LBB32_26
; %bb.17:
	s_andn2_b64 vcc, exec, s[8:9]
	s_cbranch_vccnz .LBB32_19
; %bb.18:
	buffer_load_dword v68, v71, s[0:3], 0 offen
	buffer_load_dword v69, v71, s[0:3], 0 offen offset:4
	ds_read_b64 v[102:103], v70
	s_waitcnt vmcnt(0) lgkmcnt(0)
	v_mul_f64 v[68:69], v[68:69], v[102:103]
	s_cbranch_execz .LBB32_20
	s_branch .LBB32_21
.LBB32_19:
                                        ; implicit-def: $vgpr68_vgpr69
.LBB32_20:
	ds_read_b64 v[68:69], v70
.LBB32_21:
	s_and_saveexec_b64 s[12:13], s[6:7]
	s_cbranch_execz .LBB32_25
; %bb.22:
	v_subrev_u32_e32 v102, 30, v0
	s_movk_i32 s14, 0x200
	s_mov_b64 s[6:7], 0
.LBB32_23:                              ; =>This Inner Loop Header: Depth=1
	buffer_load_dword v104, v101, s[0:3], 0 offen
	buffer_load_dword v105, v101, s[0:3], 0 offen offset:4
	v_mov_b32_e32 v103, s14
	ds_read_b64 v[106:107], v103
	v_add_u32_e32 v102, -1, v102
	s_add_i32 s14, s14, 8
	v_cmp_eq_u32_e32 vcc, 0, v102
	v_add_u32_e32 v101, 8, v101
	s_or_b64 s[6:7], vcc, s[6:7]
	s_waitcnt vmcnt(0) lgkmcnt(0)
	v_fmac_f64_e32 v[68:69], v[104:105], v[106:107]
	s_andn2_b64 exec, exec, s[6:7]
	s_cbranch_execnz .LBB32_23
; %bb.24:
	s_or_b64 exec, exec, s[6:7]
.LBB32_25:
	s_or_b64 exec, exec, s[12:13]
	v_mov_b32_e32 v101, 0
	ds_read_b64 v[102:103], v101 offset:232
	s_waitcnt lgkmcnt(0)
	v_mul_f64 v[68:69], v[68:69], v[102:103]
	buffer_store_dword v69, off, s[0:3], 0 offset:236
	buffer_store_dword v68, off, s[0:3], 0 offset:232
.LBB32_26:
	s_or_b64 exec, exec, s[10:11]
	buffer_load_dword v68, off, s[0:3], 0 offset:224
	buffer_load_dword v69, off, s[0:3], 0 offset:228
	v_cmp_lt_u32_e64 s[6:7], 28, v0
	s_waitcnt vmcnt(0)
	ds_write_b64 v70, v[68:69]
	s_waitcnt lgkmcnt(0)
	; wave barrier
	s_waitcnt lgkmcnt(0)
	s_and_saveexec_b64 s[10:11], s[6:7]
	s_cbranch_execz .LBB32_36
; %bb.27:
	s_andn2_b64 vcc, exec, s[8:9]
	s_cbranch_vccnz .LBB32_29
; %bb.28:
	buffer_load_dword v68, v71, s[0:3], 0 offen
	buffer_load_dword v69, v71, s[0:3], 0 offen offset:4
	ds_read_b64 v[102:103], v70
	s_waitcnt vmcnt(0) lgkmcnt(0)
	v_mul_f64 v[68:69], v[68:69], v[102:103]
	s_cbranch_execz .LBB32_30
	s_branch .LBB32_31
.LBB32_29:
                                        ; implicit-def: $vgpr68_vgpr69
.LBB32_30:
	ds_read_b64 v[68:69], v70
.LBB32_31:
	s_and_saveexec_b64 s[12:13], s[4:5]
	s_cbranch_execz .LBB32_35
; %bb.32:
	v_subrev_u32_e32 v101, 29, v0
	s_movk_i32 s14, 0x1f8
	s_mov_b64 s[4:5], 0
.LBB32_33:                              ; =>This Inner Loop Header: Depth=1
	buffer_load_dword v102, v100, s[0:3], 0 offen
	buffer_load_dword v103, v100, s[0:3], 0 offen offset:4
	v_mov_b32_e32 v104, s14
	ds_read_b64 v[104:105], v104
	v_add_u32_e32 v101, -1, v101
	s_add_i32 s14, s14, 8
	v_cmp_eq_u32_e32 vcc, 0, v101
	v_add_u32_e32 v100, 8, v100
	s_or_b64 s[4:5], vcc, s[4:5]
	s_waitcnt vmcnt(0) lgkmcnt(0)
	v_fmac_f64_e32 v[68:69], v[102:103], v[104:105]
	s_andn2_b64 exec, exec, s[4:5]
	s_cbranch_execnz .LBB32_33
; %bb.34:
	s_or_b64 exec, exec, s[4:5]
.LBB32_35:
	s_or_b64 exec, exec, s[12:13]
	v_mov_b32_e32 v100, 0
	ds_read_b64 v[100:101], v100 offset:224
	s_waitcnt lgkmcnt(0)
	v_mul_f64 v[68:69], v[68:69], v[100:101]
	buffer_store_dword v69, off, s[0:3], 0 offset:228
	buffer_store_dword v68, off, s[0:3], 0 offset:224
.LBB32_36:
	;; [unrolled: 58-line block ×8, first 2 shown]
	s_or_b64 exec, exec, s[10:11]
	buffer_load_dword v68, off, s[0:3], 0 offset:168
	buffer_load_dword v69, off, s[0:3], 0 offset:172
	v_cmp_lt_u32_e64 s[4:5], 21, v0
	s_waitcnt vmcnt(0)
	ds_write_b64 v70, v[68:69]
	s_waitcnt lgkmcnt(0)
	; wave barrier
	s_waitcnt lgkmcnt(0)
	s_and_saveexec_b64 s[10:11], s[4:5]
	s_cbranch_execz .LBB32_106
; %bb.97:
	s_andn2_b64 vcc, exec, s[8:9]
	s_cbranch_vccnz .LBB32_99
; %bb.98:
	buffer_load_dword v68, v71, s[0:3], 0 offen
	buffer_load_dword v69, v71, s[0:3], 0 offen offset:4
	ds_read_b64 v[94:95], v70
	s_waitcnt vmcnt(0) lgkmcnt(0)
	v_mul_f64 v[68:69], v[68:69], v[94:95]
	s_cbranch_execz .LBB32_100
	s_branch .LBB32_101
.LBB32_99:
                                        ; implicit-def: $vgpr68_vgpr69
.LBB32_100:
	ds_read_b64 v[68:69], v70
.LBB32_101:
	s_and_saveexec_b64 s[12:13], s[6:7]
	s_cbranch_execz .LBB32_105
; %bb.102:
	v_subrev_u32_e32 v94, 22, v0
	s_movk_i32 s14, 0x1c0
	s_mov_b64 s[6:7], 0
.LBB32_103:                             ; =>This Inner Loop Header: Depth=1
	buffer_load_dword v96, v93, s[0:3], 0 offen
	buffer_load_dword v97, v93, s[0:3], 0 offen offset:4
	v_mov_b32_e32 v95, s14
	ds_read_b64 v[98:99], v95
	v_add_u32_e32 v94, -1, v94
	s_add_i32 s14, s14, 8
	v_cmp_eq_u32_e32 vcc, 0, v94
	v_add_u32_e32 v93, 8, v93
	s_or_b64 s[6:7], vcc, s[6:7]
	s_waitcnt vmcnt(0) lgkmcnt(0)
	v_fmac_f64_e32 v[68:69], v[96:97], v[98:99]
	s_andn2_b64 exec, exec, s[6:7]
	s_cbranch_execnz .LBB32_103
; %bb.104:
	s_or_b64 exec, exec, s[6:7]
.LBB32_105:
	s_or_b64 exec, exec, s[12:13]
	v_mov_b32_e32 v93, 0
	ds_read_b64 v[94:95], v93 offset:168
	s_waitcnt lgkmcnt(0)
	v_mul_f64 v[68:69], v[68:69], v[94:95]
	buffer_store_dword v69, off, s[0:3], 0 offset:172
	buffer_store_dword v68, off, s[0:3], 0 offset:168
.LBB32_106:
	s_or_b64 exec, exec, s[10:11]
	buffer_load_dword v68, off, s[0:3], 0 offset:160
	buffer_load_dword v69, off, s[0:3], 0 offset:164
	v_cmp_lt_u32_e64 s[6:7], 20, v0
	s_waitcnt vmcnt(0)
	ds_write_b64 v70, v[68:69]
	s_waitcnt lgkmcnt(0)
	; wave barrier
	s_waitcnt lgkmcnt(0)
	s_and_saveexec_b64 s[10:11], s[6:7]
	s_cbranch_execz .LBB32_116
; %bb.107:
	s_andn2_b64 vcc, exec, s[8:9]
	s_cbranch_vccnz .LBB32_109
; %bb.108:
	buffer_load_dword v68, v71, s[0:3], 0 offen
	buffer_load_dword v69, v71, s[0:3], 0 offen offset:4
	ds_read_b64 v[94:95], v70
	s_waitcnt vmcnt(0) lgkmcnt(0)
	v_mul_f64 v[68:69], v[68:69], v[94:95]
	s_cbranch_execz .LBB32_110
	s_branch .LBB32_111
.LBB32_109:
                                        ; implicit-def: $vgpr68_vgpr69
.LBB32_110:
	ds_read_b64 v[68:69], v70
.LBB32_111:
	s_and_saveexec_b64 s[12:13], s[4:5]
	s_cbranch_execz .LBB32_115
; %bb.112:
	v_subrev_u32_e32 v93, 21, v0
	s_movk_i32 s14, 0x1b8
	s_mov_b64 s[4:5], 0
.LBB32_113:                             ; =>This Inner Loop Header: Depth=1
	buffer_load_dword v94, v92, s[0:3], 0 offen
	buffer_load_dword v95, v92, s[0:3], 0 offen offset:4
	v_mov_b32_e32 v96, s14
	ds_read_b64 v[96:97], v96
	v_add_u32_e32 v93, -1, v93
	s_add_i32 s14, s14, 8
	v_cmp_eq_u32_e32 vcc, 0, v93
	v_add_u32_e32 v92, 8, v92
	s_or_b64 s[4:5], vcc, s[4:5]
	s_waitcnt vmcnt(0) lgkmcnt(0)
	v_fmac_f64_e32 v[68:69], v[94:95], v[96:97]
	s_andn2_b64 exec, exec, s[4:5]
	s_cbranch_execnz .LBB32_113
; %bb.114:
	s_or_b64 exec, exec, s[4:5]
.LBB32_115:
	s_or_b64 exec, exec, s[12:13]
	v_mov_b32_e32 v92, 0
	ds_read_b64 v[92:93], v92 offset:160
	s_waitcnt lgkmcnt(0)
	v_mul_f64 v[68:69], v[68:69], v[92:93]
	buffer_store_dword v69, off, s[0:3], 0 offset:164
	buffer_store_dword v68, off, s[0:3], 0 offset:160
.LBB32_116:
	s_or_b64 exec, exec, s[10:11]
	buffer_load_dword v68, off, s[0:3], 0 offset:152
	buffer_load_dword v69, off, s[0:3], 0 offset:156
	v_cmp_lt_u32_e64 s[4:5], 19, v0
	s_waitcnt vmcnt(0)
	ds_write_b64 v70, v[68:69]
	s_waitcnt lgkmcnt(0)
	; wave barrier
	s_waitcnt lgkmcnt(0)
	s_and_saveexec_b64 s[10:11], s[4:5]
	s_cbranch_execz .LBB32_126
; %bb.117:
	s_andn2_b64 vcc, exec, s[8:9]
	s_cbranch_vccnz .LBB32_119
; %bb.118:
	buffer_load_dword v68, v71, s[0:3], 0 offen
	buffer_load_dword v69, v71, s[0:3], 0 offen offset:4
	ds_read_b64 v[92:93], v70
	s_waitcnt vmcnt(0) lgkmcnt(0)
	v_mul_f64 v[68:69], v[68:69], v[92:93]
	s_cbranch_execz .LBB32_120
	s_branch .LBB32_121
.LBB32_119:
                                        ; implicit-def: $vgpr68_vgpr69
.LBB32_120:
	ds_read_b64 v[68:69], v70
.LBB32_121:
	s_and_saveexec_b64 s[12:13], s[6:7]
	s_cbranch_execz .LBB32_125
; %bb.122:
	v_subrev_u32_e32 v92, 20, v0
	s_movk_i32 s14, 0x1b0
	s_mov_b64 s[6:7], 0
.LBB32_123:                             ; =>This Inner Loop Header: Depth=1
	buffer_load_dword v94, v91, s[0:3], 0 offen
	buffer_load_dword v95, v91, s[0:3], 0 offen offset:4
	v_mov_b32_e32 v93, s14
	ds_read_b64 v[96:97], v93
	v_add_u32_e32 v92, -1, v92
	s_add_i32 s14, s14, 8
	v_cmp_eq_u32_e32 vcc, 0, v92
	v_add_u32_e32 v91, 8, v91
	s_or_b64 s[6:7], vcc, s[6:7]
	s_waitcnt vmcnt(0) lgkmcnt(0)
	v_fmac_f64_e32 v[68:69], v[94:95], v[96:97]
	s_andn2_b64 exec, exec, s[6:7]
	s_cbranch_execnz .LBB32_123
; %bb.124:
	s_or_b64 exec, exec, s[6:7]
.LBB32_125:
	s_or_b64 exec, exec, s[12:13]
	v_mov_b32_e32 v91, 0
	ds_read_b64 v[92:93], v91 offset:152
	s_waitcnt lgkmcnt(0)
	v_mul_f64 v[68:69], v[68:69], v[92:93]
	buffer_store_dword v69, off, s[0:3], 0 offset:156
	buffer_store_dword v68, off, s[0:3], 0 offset:152
.LBB32_126:
	s_or_b64 exec, exec, s[10:11]
	buffer_load_dword v68, off, s[0:3], 0 offset:144
	buffer_load_dword v69, off, s[0:3], 0 offset:148
	v_cmp_lt_u32_e64 s[6:7], 18, v0
	s_waitcnt vmcnt(0)
	ds_write_b64 v70, v[68:69]
	s_waitcnt lgkmcnt(0)
	; wave barrier
	s_waitcnt lgkmcnt(0)
	s_and_saveexec_b64 s[10:11], s[6:7]
	s_cbranch_execz .LBB32_136
; %bb.127:
	s_andn2_b64 vcc, exec, s[8:9]
	s_cbranch_vccnz .LBB32_129
; %bb.128:
	buffer_load_dword v68, v71, s[0:3], 0 offen
	buffer_load_dword v69, v71, s[0:3], 0 offen offset:4
	ds_read_b64 v[92:93], v70
	s_waitcnt vmcnt(0) lgkmcnt(0)
	v_mul_f64 v[68:69], v[68:69], v[92:93]
	s_cbranch_execz .LBB32_130
	s_branch .LBB32_131
.LBB32_129:
                                        ; implicit-def: $vgpr68_vgpr69
.LBB32_130:
	ds_read_b64 v[68:69], v70
.LBB32_131:
	s_and_saveexec_b64 s[12:13], s[4:5]
	s_cbranch_execz .LBB32_135
; %bb.132:
	v_subrev_u32_e32 v91, 19, v0
	s_movk_i32 s14, 0x1a8
	s_mov_b64 s[4:5], 0
.LBB32_133:                             ; =>This Inner Loop Header: Depth=1
	buffer_load_dword v92, v90, s[0:3], 0 offen
	buffer_load_dword v93, v90, s[0:3], 0 offen offset:4
	v_mov_b32_e32 v94, s14
	ds_read_b64 v[94:95], v94
	v_add_u32_e32 v91, -1, v91
	s_add_i32 s14, s14, 8
	v_cmp_eq_u32_e32 vcc, 0, v91
	v_add_u32_e32 v90, 8, v90
	s_or_b64 s[4:5], vcc, s[4:5]
	s_waitcnt vmcnt(0) lgkmcnt(0)
	v_fmac_f64_e32 v[68:69], v[92:93], v[94:95]
	s_andn2_b64 exec, exec, s[4:5]
	s_cbranch_execnz .LBB32_133
; %bb.134:
	s_or_b64 exec, exec, s[4:5]
.LBB32_135:
	s_or_b64 exec, exec, s[12:13]
	v_mov_b32_e32 v90, 0
	ds_read_b64 v[90:91], v90 offset:144
	s_waitcnt lgkmcnt(0)
	v_mul_f64 v[68:69], v[68:69], v[90:91]
	buffer_store_dword v69, off, s[0:3], 0 offset:148
	buffer_store_dword v68, off, s[0:3], 0 offset:144
.LBB32_136:
	s_or_b64 exec, exec, s[10:11]
	buffer_load_dword v68, off, s[0:3], 0 offset:136
	buffer_load_dword v69, off, s[0:3], 0 offset:140
	v_cmp_lt_u32_e64 s[4:5], 17, v0
	s_waitcnt vmcnt(0)
	ds_write_b64 v70, v[68:69]
	s_waitcnt lgkmcnt(0)
	; wave barrier
	s_waitcnt lgkmcnt(0)
	s_and_saveexec_b64 s[10:11], s[4:5]
	s_cbranch_execz .LBB32_146
; %bb.137:
	s_andn2_b64 vcc, exec, s[8:9]
	s_cbranch_vccnz .LBB32_139
; %bb.138:
	buffer_load_dword v68, v71, s[0:3], 0 offen
	buffer_load_dword v69, v71, s[0:3], 0 offen offset:4
	ds_read_b64 v[90:91], v70
	s_waitcnt vmcnt(0) lgkmcnt(0)
	v_mul_f64 v[68:69], v[68:69], v[90:91]
	s_cbranch_execz .LBB32_140
	s_branch .LBB32_141
.LBB32_139:
                                        ; implicit-def: $vgpr68_vgpr69
.LBB32_140:
	ds_read_b64 v[68:69], v70
.LBB32_141:
	s_and_saveexec_b64 s[12:13], s[6:7]
	s_cbranch_execz .LBB32_145
; %bb.142:
	v_subrev_u32_e32 v90, 18, v0
	s_movk_i32 s14, 0x1a0
	s_mov_b64 s[6:7], 0
.LBB32_143:                             ; =>This Inner Loop Header: Depth=1
	buffer_load_dword v92, v89, s[0:3], 0 offen
	buffer_load_dword v93, v89, s[0:3], 0 offen offset:4
	v_mov_b32_e32 v91, s14
	ds_read_b64 v[94:95], v91
	v_add_u32_e32 v90, -1, v90
	s_add_i32 s14, s14, 8
	v_cmp_eq_u32_e32 vcc, 0, v90
	v_add_u32_e32 v89, 8, v89
	s_or_b64 s[6:7], vcc, s[6:7]
	s_waitcnt vmcnt(0) lgkmcnt(0)
	v_fmac_f64_e32 v[68:69], v[92:93], v[94:95]
	s_andn2_b64 exec, exec, s[6:7]
	s_cbranch_execnz .LBB32_143
; %bb.144:
	s_or_b64 exec, exec, s[6:7]
.LBB32_145:
	s_or_b64 exec, exec, s[12:13]
	v_mov_b32_e32 v89, 0
	ds_read_b64 v[90:91], v89 offset:136
	s_waitcnt lgkmcnt(0)
	v_mul_f64 v[68:69], v[68:69], v[90:91]
	buffer_store_dword v69, off, s[0:3], 0 offset:140
	buffer_store_dword v68, off, s[0:3], 0 offset:136
.LBB32_146:
	s_or_b64 exec, exec, s[10:11]
	buffer_load_dword v68, off, s[0:3], 0 offset:128
	buffer_load_dword v69, off, s[0:3], 0 offset:132
	v_cmp_lt_u32_e64 s[6:7], 16, v0
	s_waitcnt vmcnt(0)
	ds_write_b64 v70, v[68:69]
	s_waitcnt lgkmcnt(0)
	; wave barrier
	s_waitcnt lgkmcnt(0)
	s_and_saveexec_b64 s[10:11], s[6:7]
	s_cbranch_execz .LBB32_156
; %bb.147:
	s_andn2_b64 vcc, exec, s[8:9]
	s_cbranch_vccnz .LBB32_149
; %bb.148:
	buffer_load_dword v68, v71, s[0:3], 0 offen
	buffer_load_dword v69, v71, s[0:3], 0 offen offset:4
	ds_read_b64 v[90:91], v70
	s_waitcnt vmcnt(0) lgkmcnt(0)
	v_mul_f64 v[68:69], v[68:69], v[90:91]
	s_cbranch_execz .LBB32_150
	s_branch .LBB32_151
.LBB32_149:
                                        ; implicit-def: $vgpr68_vgpr69
.LBB32_150:
	ds_read_b64 v[68:69], v70
.LBB32_151:
	s_and_saveexec_b64 s[12:13], s[4:5]
	s_cbranch_execz .LBB32_155
; %bb.152:
	v_subrev_u32_e32 v89, 17, v0
	s_movk_i32 s14, 0x198
	s_mov_b64 s[4:5], 0
.LBB32_153:                             ; =>This Inner Loop Header: Depth=1
	buffer_load_dword v90, v88, s[0:3], 0 offen
	buffer_load_dword v91, v88, s[0:3], 0 offen offset:4
	v_mov_b32_e32 v92, s14
	ds_read_b64 v[92:93], v92
	v_add_u32_e32 v89, -1, v89
	s_add_i32 s14, s14, 8
	v_cmp_eq_u32_e32 vcc, 0, v89
	v_add_u32_e32 v88, 8, v88
	s_or_b64 s[4:5], vcc, s[4:5]
	s_waitcnt vmcnt(0) lgkmcnt(0)
	v_fmac_f64_e32 v[68:69], v[90:91], v[92:93]
	s_andn2_b64 exec, exec, s[4:5]
	s_cbranch_execnz .LBB32_153
; %bb.154:
	s_or_b64 exec, exec, s[4:5]
.LBB32_155:
	s_or_b64 exec, exec, s[12:13]
	v_mov_b32_e32 v88, 0
	ds_read_b64 v[88:89], v88 offset:128
	s_waitcnt lgkmcnt(0)
	v_mul_f64 v[68:69], v[68:69], v[88:89]
	buffer_store_dword v69, off, s[0:3], 0 offset:132
	buffer_store_dword v68, off, s[0:3], 0 offset:128
.LBB32_156:
	s_or_b64 exec, exec, s[10:11]
	buffer_load_dword v68, off, s[0:3], 0 offset:120
	buffer_load_dword v69, off, s[0:3], 0 offset:124
	v_cmp_lt_u32_e64 s[4:5], 15, v0
	s_waitcnt vmcnt(0)
	ds_write_b64 v70, v[68:69]
	s_waitcnt lgkmcnt(0)
	; wave barrier
	s_waitcnt lgkmcnt(0)
	s_and_saveexec_b64 s[10:11], s[4:5]
	s_cbranch_execz .LBB32_166
; %bb.157:
	s_andn2_b64 vcc, exec, s[8:9]
	s_cbranch_vccnz .LBB32_159
; %bb.158:
	buffer_load_dword v68, v71, s[0:3], 0 offen
	buffer_load_dword v69, v71, s[0:3], 0 offen offset:4
	ds_read_b64 v[88:89], v70
	s_waitcnt vmcnt(0) lgkmcnt(0)
	v_mul_f64 v[68:69], v[68:69], v[88:89]
	s_cbranch_execz .LBB32_160
	s_branch .LBB32_161
.LBB32_159:
                                        ; implicit-def: $vgpr68_vgpr69
.LBB32_160:
	ds_read_b64 v[68:69], v70
.LBB32_161:
	s_and_saveexec_b64 s[12:13], s[6:7]
	s_cbranch_execz .LBB32_165
; %bb.162:
	v_add_u32_e32 v88, -16, v0
	s_movk_i32 s14, 0x190
	s_mov_b64 s[6:7], 0
.LBB32_163:                             ; =>This Inner Loop Header: Depth=1
	buffer_load_dword v90, v87, s[0:3], 0 offen
	buffer_load_dword v91, v87, s[0:3], 0 offen offset:4
	v_mov_b32_e32 v89, s14
	ds_read_b64 v[92:93], v89
	v_add_u32_e32 v88, -1, v88
	s_add_i32 s14, s14, 8
	v_cmp_eq_u32_e32 vcc, 0, v88
	v_add_u32_e32 v87, 8, v87
	s_or_b64 s[6:7], vcc, s[6:7]
	s_waitcnt vmcnt(0) lgkmcnt(0)
	v_fmac_f64_e32 v[68:69], v[90:91], v[92:93]
	s_andn2_b64 exec, exec, s[6:7]
	s_cbranch_execnz .LBB32_163
; %bb.164:
	s_or_b64 exec, exec, s[6:7]
.LBB32_165:
	s_or_b64 exec, exec, s[12:13]
	v_mov_b32_e32 v87, 0
	ds_read_b64 v[88:89], v87 offset:120
	s_waitcnt lgkmcnt(0)
	v_mul_f64 v[68:69], v[68:69], v[88:89]
	buffer_store_dword v69, off, s[0:3], 0 offset:124
	buffer_store_dword v68, off, s[0:3], 0 offset:120
.LBB32_166:
	s_or_b64 exec, exec, s[10:11]
	buffer_load_dword v68, off, s[0:3], 0 offset:112
	buffer_load_dword v69, off, s[0:3], 0 offset:116
	v_cmp_lt_u32_e64 s[6:7], 14, v0
	s_waitcnt vmcnt(0)
	ds_write_b64 v70, v[68:69]
	s_waitcnt lgkmcnt(0)
	; wave barrier
	s_waitcnt lgkmcnt(0)
	s_and_saveexec_b64 s[10:11], s[6:7]
	s_cbranch_execz .LBB32_176
; %bb.167:
	s_andn2_b64 vcc, exec, s[8:9]
	s_cbranch_vccnz .LBB32_169
; %bb.168:
	buffer_load_dword v68, v71, s[0:3], 0 offen
	buffer_load_dword v69, v71, s[0:3], 0 offen offset:4
	ds_read_b64 v[88:89], v70
	s_waitcnt vmcnt(0) lgkmcnt(0)
	v_mul_f64 v[68:69], v[68:69], v[88:89]
	s_cbranch_execz .LBB32_170
	s_branch .LBB32_171
.LBB32_169:
                                        ; implicit-def: $vgpr68_vgpr69
.LBB32_170:
	ds_read_b64 v[68:69], v70
.LBB32_171:
	s_and_saveexec_b64 s[12:13], s[4:5]
	s_cbranch_execz .LBB32_175
; %bb.172:
	v_add_u32_e32 v87, -15, v0
	s_movk_i32 s14, 0x188
	s_mov_b64 s[4:5], 0
.LBB32_173:                             ; =>This Inner Loop Header: Depth=1
	buffer_load_dword v88, v86, s[0:3], 0 offen
	buffer_load_dword v89, v86, s[0:3], 0 offen offset:4
	v_mov_b32_e32 v90, s14
	ds_read_b64 v[90:91], v90
	v_add_u32_e32 v87, -1, v87
	s_add_i32 s14, s14, 8
	v_cmp_eq_u32_e32 vcc, 0, v87
	v_add_u32_e32 v86, 8, v86
	s_or_b64 s[4:5], vcc, s[4:5]
	s_waitcnt vmcnt(0) lgkmcnt(0)
	v_fmac_f64_e32 v[68:69], v[88:89], v[90:91]
	s_andn2_b64 exec, exec, s[4:5]
	s_cbranch_execnz .LBB32_173
; %bb.174:
	s_or_b64 exec, exec, s[4:5]
.LBB32_175:
	s_or_b64 exec, exec, s[12:13]
	v_mov_b32_e32 v86, 0
	ds_read_b64 v[86:87], v86 offset:112
	s_waitcnt lgkmcnt(0)
	v_mul_f64 v[68:69], v[68:69], v[86:87]
	buffer_store_dword v69, off, s[0:3], 0 offset:116
	buffer_store_dword v68, off, s[0:3], 0 offset:112
.LBB32_176:
	s_or_b64 exec, exec, s[10:11]
	buffer_load_dword v68, off, s[0:3], 0 offset:104
	buffer_load_dword v69, off, s[0:3], 0 offset:108
	v_cmp_lt_u32_e64 s[4:5], 13, v0
	s_waitcnt vmcnt(0)
	ds_write_b64 v70, v[68:69]
	s_waitcnt lgkmcnt(0)
	; wave barrier
	s_waitcnt lgkmcnt(0)
	s_and_saveexec_b64 s[10:11], s[4:5]
	s_cbranch_execz .LBB32_186
; %bb.177:
	s_andn2_b64 vcc, exec, s[8:9]
	s_cbranch_vccnz .LBB32_179
; %bb.178:
	buffer_load_dword v68, v71, s[0:3], 0 offen
	buffer_load_dword v69, v71, s[0:3], 0 offen offset:4
	ds_read_b64 v[86:87], v70
	s_waitcnt vmcnt(0) lgkmcnt(0)
	v_mul_f64 v[68:69], v[68:69], v[86:87]
	s_cbranch_execz .LBB32_180
	s_branch .LBB32_181
.LBB32_179:
                                        ; implicit-def: $vgpr68_vgpr69
.LBB32_180:
	ds_read_b64 v[68:69], v70
.LBB32_181:
	s_and_saveexec_b64 s[12:13], s[6:7]
	s_cbranch_execz .LBB32_185
; %bb.182:
	v_add_u32_e32 v86, -14, v0
	s_movk_i32 s14, 0x180
	s_mov_b64 s[6:7], 0
.LBB32_183:                             ; =>This Inner Loop Header: Depth=1
	buffer_load_dword v88, v85, s[0:3], 0 offen
	buffer_load_dword v89, v85, s[0:3], 0 offen offset:4
	v_mov_b32_e32 v87, s14
	ds_read_b64 v[90:91], v87
	v_add_u32_e32 v86, -1, v86
	s_add_i32 s14, s14, 8
	v_cmp_eq_u32_e32 vcc, 0, v86
	v_add_u32_e32 v85, 8, v85
	s_or_b64 s[6:7], vcc, s[6:7]
	s_waitcnt vmcnt(0) lgkmcnt(0)
	v_fmac_f64_e32 v[68:69], v[88:89], v[90:91]
	s_andn2_b64 exec, exec, s[6:7]
	s_cbranch_execnz .LBB32_183
; %bb.184:
	s_or_b64 exec, exec, s[6:7]
.LBB32_185:
	s_or_b64 exec, exec, s[12:13]
	v_mov_b32_e32 v85, 0
	ds_read_b64 v[86:87], v85 offset:104
	s_waitcnt lgkmcnt(0)
	v_mul_f64 v[68:69], v[68:69], v[86:87]
	buffer_store_dword v69, off, s[0:3], 0 offset:108
	buffer_store_dword v68, off, s[0:3], 0 offset:104
.LBB32_186:
	s_or_b64 exec, exec, s[10:11]
	buffer_load_dword v68, off, s[0:3], 0 offset:96
	buffer_load_dword v69, off, s[0:3], 0 offset:100
	v_cmp_lt_u32_e64 s[6:7], 12, v0
	s_waitcnt vmcnt(0)
	ds_write_b64 v70, v[68:69]
	s_waitcnt lgkmcnt(0)
	; wave barrier
	s_waitcnt lgkmcnt(0)
	s_and_saveexec_b64 s[10:11], s[6:7]
	s_cbranch_execz .LBB32_196
; %bb.187:
	s_andn2_b64 vcc, exec, s[8:9]
	s_cbranch_vccnz .LBB32_189
; %bb.188:
	buffer_load_dword v68, v71, s[0:3], 0 offen
	buffer_load_dword v69, v71, s[0:3], 0 offen offset:4
	ds_read_b64 v[86:87], v70
	s_waitcnt vmcnt(0) lgkmcnt(0)
	v_mul_f64 v[68:69], v[68:69], v[86:87]
	s_cbranch_execz .LBB32_190
	s_branch .LBB32_191
.LBB32_189:
                                        ; implicit-def: $vgpr68_vgpr69
.LBB32_190:
	ds_read_b64 v[68:69], v70
.LBB32_191:
	s_and_saveexec_b64 s[12:13], s[4:5]
	s_cbranch_execz .LBB32_195
; %bb.192:
	v_add_u32_e32 v85, -13, v0
	s_movk_i32 s14, 0x178
	s_mov_b64 s[4:5], 0
.LBB32_193:                             ; =>This Inner Loop Header: Depth=1
	buffer_load_dword v86, v84, s[0:3], 0 offen
	buffer_load_dword v87, v84, s[0:3], 0 offen offset:4
	v_mov_b32_e32 v88, s14
	ds_read_b64 v[88:89], v88
	v_add_u32_e32 v85, -1, v85
	s_add_i32 s14, s14, 8
	v_cmp_eq_u32_e32 vcc, 0, v85
	v_add_u32_e32 v84, 8, v84
	s_or_b64 s[4:5], vcc, s[4:5]
	s_waitcnt vmcnt(0) lgkmcnt(0)
	v_fmac_f64_e32 v[68:69], v[86:87], v[88:89]
	s_andn2_b64 exec, exec, s[4:5]
	s_cbranch_execnz .LBB32_193
; %bb.194:
	s_or_b64 exec, exec, s[4:5]
.LBB32_195:
	s_or_b64 exec, exec, s[12:13]
	v_mov_b32_e32 v84, 0
	ds_read_b64 v[84:85], v84 offset:96
	s_waitcnt lgkmcnt(0)
	v_mul_f64 v[68:69], v[68:69], v[84:85]
	buffer_store_dword v69, off, s[0:3], 0 offset:100
	buffer_store_dword v68, off, s[0:3], 0 offset:96
.LBB32_196:
	s_or_b64 exec, exec, s[10:11]
	buffer_load_dword v68, off, s[0:3], 0 offset:88
	buffer_load_dword v69, off, s[0:3], 0 offset:92
	v_cmp_lt_u32_e64 s[4:5], 11, v0
	s_waitcnt vmcnt(0)
	ds_write_b64 v70, v[68:69]
	s_waitcnt lgkmcnt(0)
	; wave barrier
	s_waitcnt lgkmcnt(0)
	s_and_saveexec_b64 s[10:11], s[4:5]
	s_cbranch_execz .LBB32_206
; %bb.197:
	s_andn2_b64 vcc, exec, s[8:9]
	s_cbranch_vccnz .LBB32_199
; %bb.198:
	buffer_load_dword v68, v71, s[0:3], 0 offen
	buffer_load_dword v69, v71, s[0:3], 0 offen offset:4
	ds_read_b64 v[84:85], v70
	s_waitcnt vmcnt(0) lgkmcnt(0)
	v_mul_f64 v[68:69], v[68:69], v[84:85]
	s_cbranch_execz .LBB32_200
	s_branch .LBB32_201
.LBB32_199:
                                        ; implicit-def: $vgpr68_vgpr69
.LBB32_200:
	ds_read_b64 v[68:69], v70
.LBB32_201:
	s_and_saveexec_b64 s[12:13], s[6:7]
	s_cbranch_execz .LBB32_205
; %bb.202:
	v_add_u32_e32 v84, -12, v0
	s_movk_i32 s14, 0x170
	s_mov_b64 s[6:7], 0
.LBB32_203:                             ; =>This Inner Loop Header: Depth=1
	buffer_load_dword v86, v83, s[0:3], 0 offen
	buffer_load_dword v87, v83, s[0:3], 0 offen offset:4
	v_mov_b32_e32 v85, s14
	ds_read_b64 v[88:89], v85
	v_add_u32_e32 v84, -1, v84
	s_add_i32 s14, s14, 8
	v_cmp_eq_u32_e32 vcc, 0, v84
	v_add_u32_e32 v83, 8, v83
	s_or_b64 s[6:7], vcc, s[6:7]
	s_waitcnt vmcnt(0) lgkmcnt(0)
	v_fmac_f64_e32 v[68:69], v[86:87], v[88:89]
	s_andn2_b64 exec, exec, s[6:7]
	s_cbranch_execnz .LBB32_203
; %bb.204:
	s_or_b64 exec, exec, s[6:7]
.LBB32_205:
	s_or_b64 exec, exec, s[12:13]
	v_mov_b32_e32 v83, 0
	ds_read_b64 v[84:85], v83 offset:88
	s_waitcnt lgkmcnt(0)
	v_mul_f64 v[68:69], v[68:69], v[84:85]
	buffer_store_dword v69, off, s[0:3], 0 offset:92
	buffer_store_dword v68, off, s[0:3], 0 offset:88
.LBB32_206:
	s_or_b64 exec, exec, s[10:11]
	buffer_load_dword v68, off, s[0:3], 0 offset:80
	buffer_load_dword v69, off, s[0:3], 0 offset:84
	v_cmp_lt_u32_e64 s[6:7], 10, v0
	s_waitcnt vmcnt(0)
	ds_write_b64 v70, v[68:69]
	s_waitcnt lgkmcnt(0)
	; wave barrier
	s_waitcnt lgkmcnt(0)
	s_and_saveexec_b64 s[10:11], s[6:7]
	s_cbranch_execz .LBB32_216
; %bb.207:
	s_andn2_b64 vcc, exec, s[8:9]
	s_cbranch_vccnz .LBB32_209
; %bb.208:
	buffer_load_dword v68, v71, s[0:3], 0 offen
	buffer_load_dword v69, v71, s[0:3], 0 offen offset:4
	ds_read_b64 v[84:85], v70
	s_waitcnt vmcnt(0) lgkmcnt(0)
	v_mul_f64 v[68:69], v[68:69], v[84:85]
	s_cbranch_execz .LBB32_210
	s_branch .LBB32_211
.LBB32_209:
                                        ; implicit-def: $vgpr68_vgpr69
.LBB32_210:
	ds_read_b64 v[68:69], v70
.LBB32_211:
	s_and_saveexec_b64 s[12:13], s[4:5]
	s_cbranch_execz .LBB32_215
; %bb.212:
	v_add_u32_e32 v83, -11, v0
	s_movk_i32 s14, 0x168
	s_mov_b64 s[4:5], 0
.LBB32_213:                             ; =>This Inner Loop Header: Depth=1
	buffer_load_dword v84, v82, s[0:3], 0 offen
	buffer_load_dword v85, v82, s[0:3], 0 offen offset:4
	v_mov_b32_e32 v86, s14
	ds_read_b64 v[86:87], v86
	v_add_u32_e32 v83, -1, v83
	s_add_i32 s14, s14, 8
	v_cmp_eq_u32_e32 vcc, 0, v83
	v_add_u32_e32 v82, 8, v82
	s_or_b64 s[4:5], vcc, s[4:5]
	s_waitcnt vmcnt(0) lgkmcnt(0)
	v_fmac_f64_e32 v[68:69], v[84:85], v[86:87]
	s_andn2_b64 exec, exec, s[4:5]
	s_cbranch_execnz .LBB32_213
; %bb.214:
	s_or_b64 exec, exec, s[4:5]
.LBB32_215:
	s_or_b64 exec, exec, s[12:13]
	v_mov_b32_e32 v82, 0
	ds_read_b64 v[82:83], v82 offset:80
	s_waitcnt lgkmcnt(0)
	v_mul_f64 v[68:69], v[68:69], v[82:83]
	buffer_store_dword v69, off, s[0:3], 0 offset:84
	buffer_store_dword v68, off, s[0:3], 0 offset:80
.LBB32_216:
	s_or_b64 exec, exec, s[10:11]
	buffer_load_dword v68, off, s[0:3], 0 offset:72
	buffer_load_dword v69, off, s[0:3], 0 offset:76
	v_cmp_lt_u32_e64 s[4:5], 9, v0
	s_waitcnt vmcnt(0)
	ds_write_b64 v70, v[68:69]
	s_waitcnt lgkmcnt(0)
	; wave barrier
	s_waitcnt lgkmcnt(0)
	s_and_saveexec_b64 s[10:11], s[4:5]
	s_cbranch_execz .LBB32_226
; %bb.217:
	s_andn2_b64 vcc, exec, s[8:9]
	s_cbranch_vccnz .LBB32_219
; %bb.218:
	buffer_load_dword v68, v71, s[0:3], 0 offen
	buffer_load_dword v69, v71, s[0:3], 0 offen offset:4
	ds_read_b64 v[82:83], v70
	s_waitcnt vmcnt(0) lgkmcnt(0)
	v_mul_f64 v[68:69], v[68:69], v[82:83]
	s_cbranch_execz .LBB32_220
	s_branch .LBB32_221
.LBB32_219:
                                        ; implicit-def: $vgpr68_vgpr69
.LBB32_220:
	ds_read_b64 v[68:69], v70
.LBB32_221:
	s_and_saveexec_b64 s[12:13], s[6:7]
	s_cbranch_execz .LBB32_225
; %bb.222:
	v_add_u32_e32 v82, -10, v0
	s_movk_i32 s14, 0x160
	s_mov_b64 s[6:7], 0
.LBB32_223:                             ; =>This Inner Loop Header: Depth=1
	buffer_load_dword v84, v81, s[0:3], 0 offen
	buffer_load_dword v85, v81, s[0:3], 0 offen offset:4
	v_mov_b32_e32 v83, s14
	ds_read_b64 v[86:87], v83
	v_add_u32_e32 v82, -1, v82
	s_add_i32 s14, s14, 8
	v_cmp_eq_u32_e32 vcc, 0, v82
	v_add_u32_e32 v81, 8, v81
	s_or_b64 s[6:7], vcc, s[6:7]
	s_waitcnt vmcnt(0) lgkmcnt(0)
	v_fmac_f64_e32 v[68:69], v[84:85], v[86:87]
	s_andn2_b64 exec, exec, s[6:7]
	s_cbranch_execnz .LBB32_223
; %bb.224:
	s_or_b64 exec, exec, s[6:7]
.LBB32_225:
	s_or_b64 exec, exec, s[12:13]
	v_mov_b32_e32 v81, 0
	ds_read_b64 v[82:83], v81 offset:72
	s_waitcnt lgkmcnt(0)
	v_mul_f64 v[68:69], v[68:69], v[82:83]
	buffer_store_dword v69, off, s[0:3], 0 offset:76
	buffer_store_dword v68, off, s[0:3], 0 offset:72
.LBB32_226:
	s_or_b64 exec, exec, s[10:11]
	buffer_load_dword v68, off, s[0:3], 0 offset:64
	buffer_load_dword v69, off, s[0:3], 0 offset:68
	v_cmp_lt_u32_e64 s[6:7], 8, v0
	s_waitcnt vmcnt(0)
	ds_write_b64 v70, v[68:69]
	s_waitcnt lgkmcnt(0)
	; wave barrier
	s_waitcnt lgkmcnt(0)
	s_and_saveexec_b64 s[10:11], s[6:7]
	s_cbranch_execz .LBB32_236
; %bb.227:
	s_andn2_b64 vcc, exec, s[8:9]
	s_cbranch_vccnz .LBB32_229
; %bb.228:
	buffer_load_dword v68, v71, s[0:3], 0 offen
	buffer_load_dword v69, v71, s[0:3], 0 offen offset:4
	ds_read_b64 v[82:83], v70
	s_waitcnt vmcnt(0) lgkmcnt(0)
	v_mul_f64 v[68:69], v[68:69], v[82:83]
	s_cbranch_execz .LBB32_230
	s_branch .LBB32_231
.LBB32_229:
                                        ; implicit-def: $vgpr68_vgpr69
.LBB32_230:
	ds_read_b64 v[68:69], v70
.LBB32_231:
	s_and_saveexec_b64 s[12:13], s[4:5]
	s_cbranch_execz .LBB32_235
; %bb.232:
	v_add_u32_e32 v81, -9, v0
	s_movk_i32 s14, 0x158
	s_mov_b64 s[4:5], 0
.LBB32_233:                             ; =>This Inner Loop Header: Depth=1
	buffer_load_dword v82, v80, s[0:3], 0 offen
	buffer_load_dword v83, v80, s[0:3], 0 offen offset:4
	v_mov_b32_e32 v84, s14
	ds_read_b64 v[84:85], v84
	v_add_u32_e32 v81, -1, v81
	s_add_i32 s14, s14, 8
	v_cmp_eq_u32_e32 vcc, 0, v81
	v_add_u32_e32 v80, 8, v80
	s_or_b64 s[4:5], vcc, s[4:5]
	s_waitcnt vmcnt(0) lgkmcnt(0)
	v_fmac_f64_e32 v[68:69], v[82:83], v[84:85]
	s_andn2_b64 exec, exec, s[4:5]
	s_cbranch_execnz .LBB32_233
; %bb.234:
	s_or_b64 exec, exec, s[4:5]
.LBB32_235:
	s_or_b64 exec, exec, s[12:13]
	v_mov_b32_e32 v80, 0
	ds_read_b64 v[80:81], v80 offset:64
	s_waitcnt lgkmcnt(0)
	v_mul_f64 v[68:69], v[68:69], v[80:81]
	buffer_store_dword v69, off, s[0:3], 0 offset:68
	buffer_store_dword v68, off, s[0:3], 0 offset:64
.LBB32_236:
	s_or_b64 exec, exec, s[10:11]
	buffer_load_dword v68, off, s[0:3], 0 offset:56
	buffer_load_dword v69, off, s[0:3], 0 offset:60
	v_cmp_lt_u32_e64 s[4:5], 7, v0
	s_waitcnt vmcnt(0)
	ds_write_b64 v70, v[68:69]
	s_waitcnt lgkmcnt(0)
	; wave barrier
	s_waitcnt lgkmcnt(0)
	s_and_saveexec_b64 s[10:11], s[4:5]
	s_cbranch_execz .LBB32_246
; %bb.237:
	s_andn2_b64 vcc, exec, s[8:9]
	s_cbranch_vccnz .LBB32_239
; %bb.238:
	buffer_load_dword v68, v71, s[0:3], 0 offen
	buffer_load_dword v69, v71, s[0:3], 0 offen offset:4
	ds_read_b64 v[80:81], v70
	s_waitcnt vmcnt(0) lgkmcnt(0)
	v_mul_f64 v[68:69], v[68:69], v[80:81]
	s_cbranch_execz .LBB32_240
	s_branch .LBB32_241
.LBB32_239:
                                        ; implicit-def: $vgpr68_vgpr69
.LBB32_240:
	ds_read_b64 v[68:69], v70
.LBB32_241:
	s_and_saveexec_b64 s[12:13], s[6:7]
	s_cbranch_execz .LBB32_245
; %bb.242:
	v_add_u32_e32 v80, -8, v0
	s_movk_i32 s14, 0x150
	s_mov_b64 s[6:7], 0
.LBB32_243:                             ; =>This Inner Loop Header: Depth=1
	buffer_load_dword v82, v79, s[0:3], 0 offen
	buffer_load_dword v83, v79, s[0:3], 0 offen offset:4
	v_mov_b32_e32 v81, s14
	ds_read_b64 v[84:85], v81
	v_add_u32_e32 v80, -1, v80
	s_add_i32 s14, s14, 8
	v_cmp_eq_u32_e32 vcc, 0, v80
	v_add_u32_e32 v79, 8, v79
	s_or_b64 s[6:7], vcc, s[6:7]
	s_waitcnt vmcnt(0) lgkmcnt(0)
	v_fmac_f64_e32 v[68:69], v[82:83], v[84:85]
	s_andn2_b64 exec, exec, s[6:7]
	s_cbranch_execnz .LBB32_243
; %bb.244:
	s_or_b64 exec, exec, s[6:7]
.LBB32_245:
	s_or_b64 exec, exec, s[12:13]
	v_mov_b32_e32 v79, 0
	ds_read_b64 v[80:81], v79 offset:56
	s_waitcnt lgkmcnt(0)
	v_mul_f64 v[68:69], v[68:69], v[80:81]
	buffer_store_dword v69, off, s[0:3], 0 offset:60
	buffer_store_dword v68, off, s[0:3], 0 offset:56
.LBB32_246:
	s_or_b64 exec, exec, s[10:11]
	buffer_load_dword v68, off, s[0:3], 0 offset:48
	buffer_load_dword v69, off, s[0:3], 0 offset:52
	v_cmp_lt_u32_e64 s[6:7], 6, v0
	s_waitcnt vmcnt(0)
	ds_write_b64 v70, v[68:69]
	s_waitcnt lgkmcnt(0)
	; wave barrier
	s_waitcnt lgkmcnt(0)
	s_and_saveexec_b64 s[10:11], s[6:7]
	s_cbranch_execz .LBB32_256
; %bb.247:
	s_andn2_b64 vcc, exec, s[8:9]
	s_cbranch_vccnz .LBB32_249
; %bb.248:
	buffer_load_dword v68, v71, s[0:3], 0 offen
	buffer_load_dword v69, v71, s[0:3], 0 offen offset:4
	ds_read_b64 v[80:81], v70
	s_waitcnt vmcnt(0) lgkmcnt(0)
	v_mul_f64 v[68:69], v[68:69], v[80:81]
	s_cbranch_execz .LBB32_250
	s_branch .LBB32_251
.LBB32_249:
                                        ; implicit-def: $vgpr68_vgpr69
.LBB32_250:
	ds_read_b64 v[68:69], v70
.LBB32_251:
	s_and_saveexec_b64 s[12:13], s[4:5]
	s_cbranch_execz .LBB32_255
; %bb.252:
	v_add_u32_e32 v79, -7, v0
	s_movk_i32 s14, 0x148
	s_mov_b64 s[4:5], 0
.LBB32_253:                             ; =>This Inner Loop Header: Depth=1
	buffer_load_dword v80, v78, s[0:3], 0 offen
	buffer_load_dword v81, v78, s[0:3], 0 offen offset:4
	v_mov_b32_e32 v82, s14
	ds_read_b64 v[82:83], v82
	v_add_u32_e32 v79, -1, v79
	s_add_i32 s14, s14, 8
	v_cmp_eq_u32_e32 vcc, 0, v79
	v_add_u32_e32 v78, 8, v78
	s_or_b64 s[4:5], vcc, s[4:5]
	s_waitcnt vmcnt(0) lgkmcnt(0)
	v_fmac_f64_e32 v[68:69], v[80:81], v[82:83]
	s_andn2_b64 exec, exec, s[4:5]
	s_cbranch_execnz .LBB32_253
; %bb.254:
	s_or_b64 exec, exec, s[4:5]
.LBB32_255:
	s_or_b64 exec, exec, s[12:13]
	v_mov_b32_e32 v78, 0
	ds_read_b64 v[78:79], v78 offset:48
	s_waitcnt lgkmcnt(0)
	v_mul_f64 v[68:69], v[68:69], v[78:79]
	buffer_store_dword v69, off, s[0:3], 0 offset:52
	buffer_store_dword v68, off, s[0:3], 0 offset:48
.LBB32_256:
	s_or_b64 exec, exec, s[10:11]
	buffer_load_dword v68, off, s[0:3], 0 offset:40
	buffer_load_dword v69, off, s[0:3], 0 offset:44
	v_cmp_lt_u32_e64 s[4:5], 5, v0
	s_waitcnt vmcnt(0)
	ds_write_b64 v70, v[68:69]
	s_waitcnt lgkmcnt(0)
	; wave barrier
	s_waitcnt lgkmcnt(0)
	s_and_saveexec_b64 s[10:11], s[4:5]
	s_cbranch_execz .LBB32_266
; %bb.257:
	s_andn2_b64 vcc, exec, s[8:9]
	s_cbranch_vccnz .LBB32_259
; %bb.258:
	buffer_load_dword v68, v71, s[0:3], 0 offen
	buffer_load_dword v69, v71, s[0:3], 0 offen offset:4
	ds_read_b64 v[78:79], v70
	s_waitcnt vmcnt(0) lgkmcnt(0)
	v_mul_f64 v[68:69], v[68:69], v[78:79]
	s_cbranch_execz .LBB32_260
	s_branch .LBB32_261
.LBB32_259:
                                        ; implicit-def: $vgpr68_vgpr69
.LBB32_260:
	ds_read_b64 v[68:69], v70
.LBB32_261:
	s_and_saveexec_b64 s[12:13], s[6:7]
	s_cbranch_execz .LBB32_265
; %bb.262:
	v_add_u32_e32 v78, -6, v0
	s_movk_i32 s14, 0x140
	s_mov_b64 s[6:7], 0
.LBB32_263:                             ; =>This Inner Loop Header: Depth=1
	buffer_load_dword v80, v77, s[0:3], 0 offen
	buffer_load_dword v81, v77, s[0:3], 0 offen offset:4
	v_mov_b32_e32 v79, s14
	ds_read_b64 v[82:83], v79
	v_add_u32_e32 v78, -1, v78
	s_add_i32 s14, s14, 8
	v_cmp_eq_u32_e32 vcc, 0, v78
	v_add_u32_e32 v77, 8, v77
	s_or_b64 s[6:7], vcc, s[6:7]
	s_waitcnt vmcnt(0) lgkmcnt(0)
	v_fmac_f64_e32 v[68:69], v[80:81], v[82:83]
	s_andn2_b64 exec, exec, s[6:7]
	s_cbranch_execnz .LBB32_263
; %bb.264:
	s_or_b64 exec, exec, s[6:7]
.LBB32_265:
	s_or_b64 exec, exec, s[12:13]
	v_mov_b32_e32 v77, 0
	ds_read_b64 v[78:79], v77 offset:40
	s_waitcnt lgkmcnt(0)
	v_mul_f64 v[68:69], v[68:69], v[78:79]
	buffer_store_dword v69, off, s[0:3], 0 offset:44
	buffer_store_dword v68, off, s[0:3], 0 offset:40
.LBB32_266:
	s_or_b64 exec, exec, s[10:11]
	buffer_load_dword v68, off, s[0:3], 0 offset:32
	buffer_load_dword v69, off, s[0:3], 0 offset:36
	v_cmp_lt_u32_e64 s[6:7], 4, v0
	s_waitcnt vmcnt(0)
	ds_write_b64 v70, v[68:69]
	s_waitcnt lgkmcnt(0)
	; wave barrier
	s_waitcnt lgkmcnt(0)
	s_and_saveexec_b64 s[10:11], s[6:7]
	s_cbranch_execz .LBB32_276
; %bb.267:
	s_andn2_b64 vcc, exec, s[8:9]
	s_cbranch_vccnz .LBB32_269
; %bb.268:
	buffer_load_dword v68, v71, s[0:3], 0 offen
	buffer_load_dword v69, v71, s[0:3], 0 offen offset:4
	ds_read_b64 v[78:79], v70
	s_waitcnt vmcnt(0) lgkmcnt(0)
	v_mul_f64 v[68:69], v[68:69], v[78:79]
	s_cbranch_execz .LBB32_270
	s_branch .LBB32_271
.LBB32_269:
                                        ; implicit-def: $vgpr68_vgpr69
.LBB32_270:
	ds_read_b64 v[68:69], v70
.LBB32_271:
	s_and_saveexec_b64 s[12:13], s[4:5]
	s_cbranch_execz .LBB32_275
; %bb.272:
	v_add_u32_e32 v77, -5, v0
	s_movk_i32 s14, 0x138
	s_mov_b64 s[4:5], 0
.LBB32_273:                             ; =>This Inner Loop Header: Depth=1
	buffer_load_dword v78, v76, s[0:3], 0 offen
	buffer_load_dword v79, v76, s[0:3], 0 offen offset:4
	v_mov_b32_e32 v80, s14
	ds_read_b64 v[80:81], v80
	v_add_u32_e32 v77, -1, v77
	s_add_i32 s14, s14, 8
	v_cmp_eq_u32_e32 vcc, 0, v77
	v_add_u32_e32 v76, 8, v76
	s_or_b64 s[4:5], vcc, s[4:5]
	s_waitcnt vmcnt(0) lgkmcnt(0)
	v_fmac_f64_e32 v[68:69], v[78:79], v[80:81]
	s_andn2_b64 exec, exec, s[4:5]
	s_cbranch_execnz .LBB32_273
; %bb.274:
	s_or_b64 exec, exec, s[4:5]
.LBB32_275:
	s_or_b64 exec, exec, s[12:13]
	v_mov_b32_e32 v76, 0
	ds_read_b64 v[76:77], v76 offset:32
	s_waitcnt lgkmcnt(0)
	v_mul_f64 v[68:69], v[68:69], v[76:77]
	buffer_store_dword v69, off, s[0:3], 0 offset:36
	buffer_store_dword v68, off, s[0:3], 0 offset:32
.LBB32_276:
	s_or_b64 exec, exec, s[10:11]
	buffer_load_dword v68, off, s[0:3], 0 offset:24
	buffer_load_dword v69, off, s[0:3], 0 offset:28
	v_cmp_lt_u32_e64 s[4:5], 3, v0
	s_waitcnt vmcnt(0)
	ds_write_b64 v70, v[68:69]
	s_waitcnt lgkmcnt(0)
	; wave barrier
	s_waitcnt lgkmcnt(0)
	s_and_saveexec_b64 s[10:11], s[4:5]
	s_cbranch_execz .LBB32_286
; %bb.277:
	s_andn2_b64 vcc, exec, s[8:9]
	s_cbranch_vccnz .LBB32_279
; %bb.278:
	buffer_load_dword v68, v71, s[0:3], 0 offen
	buffer_load_dword v69, v71, s[0:3], 0 offen offset:4
	ds_read_b64 v[76:77], v70
	s_waitcnt vmcnt(0) lgkmcnt(0)
	v_mul_f64 v[68:69], v[68:69], v[76:77]
	s_cbranch_execz .LBB32_280
	s_branch .LBB32_281
.LBB32_279:
                                        ; implicit-def: $vgpr68_vgpr69
.LBB32_280:
	ds_read_b64 v[68:69], v70
.LBB32_281:
	s_and_saveexec_b64 s[12:13], s[6:7]
	s_cbranch_execz .LBB32_285
; %bb.282:
	v_add_u32_e32 v76, -4, v0
	s_movk_i32 s14, 0x130
	s_mov_b64 s[6:7], 0
.LBB32_283:                             ; =>This Inner Loop Header: Depth=1
	buffer_load_dword v78, v75, s[0:3], 0 offen
	buffer_load_dword v79, v75, s[0:3], 0 offen offset:4
	v_mov_b32_e32 v77, s14
	ds_read_b64 v[80:81], v77
	v_add_u32_e32 v76, -1, v76
	s_add_i32 s14, s14, 8
	v_cmp_eq_u32_e32 vcc, 0, v76
	v_add_u32_e32 v75, 8, v75
	s_or_b64 s[6:7], vcc, s[6:7]
	s_waitcnt vmcnt(0) lgkmcnt(0)
	v_fmac_f64_e32 v[68:69], v[78:79], v[80:81]
	s_andn2_b64 exec, exec, s[6:7]
	s_cbranch_execnz .LBB32_283
; %bb.284:
	s_or_b64 exec, exec, s[6:7]
.LBB32_285:
	s_or_b64 exec, exec, s[12:13]
	v_mov_b32_e32 v75, 0
	ds_read_b64 v[76:77], v75 offset:24
	s_waitcnt lgkmcnt(0)
	v_mul_f64 v[68:69], v[68:69], v[76:77]
	buffer_store_dword v69, off, s[0:3], 0 offset:28
	buffer_store_dword v68, off, s[0:3], 0 offset:24
.LBB32_286:
	s_or_b64 exec, exec, s[10:11]
	buffer_load_dword v68, off, s[0:3], 0 offset:16
	buffer_load_dword v69, off, s[0:3], 0 offset:20
	v_cmp_lt_u32_e64 s[6:7], 2, v0
	s_waitcnt vmcnt(0)
	ds_write_b64 v70, v[68:69]
	s_waitcnt lgkmcnt(0)
	; wave barrier
	s_waitcnt lgkmcnt(0)
	s_and_saveexec_b64 s[10:11], s[6:7]
	s_cbranch_execz .LBB32_296
; %bb.287:
	s_andn2_b64 vcc, exec, s[8:9]
	s_cbranch_vccnz .LBB32_289
; %bb.288:
	buffer_load_dword v68, v71, s[0:3], 0 offen
	buffer_load_dword v69, v71, s[0:3], 0 offen offset:4
	ds_read_b64 v[76:77], v70
	s_waitcnt vmcnt(0) lgkmcnt(0)
	v_mul_f64 v[68:69], v[68:69], v[76:77]
	s_cbranch_execz .LBB32_290
	s_branch .LBB32_291
.LBB32_289:
                                        ; implicit-def: $vgpr68_vgpr69
.LBB32_290:
	ds_read_b64 v[68:69], v70
.LBB32_291:
	s_and_saveexec_b64 s[12:13], s[4:5]
	s_cbranch_execz .LBB32_295
; %bb.292:
	v_add_u32_e32 v75, -3, v0
	s_movk_i32 s14, 0x128
	s_mov_b64 s[4:5], 0
.LBB32_293:                             ; =>This Inner Loop Header: Depth=1
	buffer_load_dword v76, v74, s[0:3], 0 offen
	buffer_load_dword v77, v74, s[0:3], 0 offen offset:4
	v_mov_b32_e32 v78, s14
	ds_read_b64 v[78:79], v78
	v_add_u32_e32 v75, -1, v75
	s_add_i32 s14, s14, 8
	v_cmp_eq_u32_e32 vcc, 0, v75
	v_add_u32_e32 v74, 8, v74
	s_or_b64 s[4:5], vcc, s[4:5]
	s_waitcnt vmcnt(0) lgkmcnt(0)
	v_fmac_f64_e32 v[68:69], v[76:77], v[78:79]
	s_andn2_b64 exec, exec, s[4:5]
	s_cbranch_execnz .LBB32_293
; %bb.294:
	s_or_b64 exec, exec, s[4:5]
.LBB32_295:
	s_or_b64 exec, exec, s[12:13]
	v_mov_b32_e32 v74, 0
	ds_read_b64 v[74:75], v74 offset:16
	s_waitcnt lgkmcnt(0)
	v_mul_f64 v[68:69], v[68:69], v[74:75]
	buffer_store_dword v69, off, s[0:3], 0 offset:20
	buffer_store_dword v68, off, s[0:3], 0 offset:16
.LBB32_296:
	s_or_b64 exec, exec, s[10:11]
	buffer_load_dword v68, off, s[0:3], 0 offset:8
	buffer_load_dword v69, off, s[0:3], 0 offset:12
	v_cmp_lt_u32_e64 s[4:5], 1, v0
	s_waitcnt vmcnt(0)
	ds_write_b64 v70, v[68:69]
	s_waitcnt lgkmcnt(0)
	; wave barrier
	s_waitcnt lgkmcnt(0)
	s_and_saveexec_b64 s[10:11], s[4:5]
	s_cbranch_execz .LBB32_306
; %bb.297:
	s_andn2_b64 vcc, exec, s[8:9]
	s_cbranch_vccnz .LBB32_299
; %bb.298:
	buffer_load_dword v68, v71, s[0:3], 0 offen
	buffer_load_dword v69, v71, s[0:3], 0 offen offset:4
	ds_read_b64 v[74:75], v70
	s_waitcnt vmcnt(0) lgkmcnt(0)
	v_mul_f64 v[68:69], v[68:69], v[74:75]
	s_cbranch_execz .LBB32_300
	s_branch .LBB32_301
.LBB32_299:
                                        ; implicit-def: $vgpr68_vgpr69
.LBB32_300:
	ds_read_b64 v[68:69], v70
.LBB32_301:
	s_and_saveexec_b64 s[12:13], s[6:7]
	s_cbranch_execz .LBB32_305
; %bb.302:
	v_add_u32_e32 v74, -2, v0
	s_movk_i32 s14, 0x120
	s_mov_b64 s[6:7], 0
.LBB32_303:                             ; =>This Inner Loop Header: Depth=1
	buffer_load_dword v76, v73, s[0:3], 0 offen
	buffer_load_dword v77, v73, s[0:3], 0 offen offset:4
	v_mov_b32_e32 v75, s14
	ds_read_b64 v[78:79], v75
	v_add_u32_e32 v74, -1, v74
	s_add_i32 s14, s14, 8
	v_cmp_eq_u32_e32 vcc, 0, v74
	v_add_u32_e32 v73, 8, v73
	s_or_b64 s[6:7], vcc, s[6:7]
	s_waitcnt vmcnt(0) lgkmcnt(0)
	v_fmac_f64_e32 v[68:69], v[76:77], v[78:79]
	s_andn2_b64 exec, exec, s[6:7]
	s_cbranch_execnz .LBB32_303
; %bb.304:
	s_or_b64 exec, exec, s[6:7]
.LBB32_305:
	s_or_b64 exec, exec, s[12:13]
	v_mov_b32_e32 v73, 0
	ds_read_b64 v[74:75], v73 offset:8
	s_waitcnt lgkmcnt(0)
	v_mul_f64 v[68:69], v[68:69], v[74:75]
	buffer_store_dword v69, off, s[0:3], 0 offset:12
	buffer_store_dword v68, off, s[0:3], 0 offset:8
.LBB32_306:
	s_or_b64 exec, exec, s[10:11]
	buffer_load_dword v68, off, s[0:3], 0
	buffer_load_dword v69, off, s[0:3], 0 offset:4
	v_cmp_ne_u32_e32 vcc, 0, v0
	s_waitcnt vmcnt(0)
	ds_write_b64 v70, v[68:69]
	s_waitcnt lgkmcnt(0)
	; wave barrier
	s_waitcnt lgkmcnt(0)
	s_and_saveexec_b64 s[6:7], vcc
	s_cbranch_execz .LBB32_316
; %bb.307:
	s_andn2_b64 vcc, exec, s[8:9]
	s_cbranch_vccnz .LBB32_309
; %bb.308:
	buffer_load_dword v68, v71, s[0:3], 0 offen
	buffer_load_dword v69, v71, s[0:3], 0 offen offset:4
	ds_read_b64 v[74:75], v70
	s_waitcnt vmcnt(0) lgkmcnt(0)
	v_mul_f64 v[68:69], v[68:69], v[74:75]
	s_cbranch_execz .LBB32_310
	s_branch .LBB32_311
.LBB32_309:
                                        ; implicit-def: $vgpr68_vgpr69
.LBB32_310:
	ds_read_b64 v[68:69], v70
.LBB32_311:
	s_and_saveexec_b64 s[10:11], s[4:5]
	s_cbranch_execz .LBB32_315
; %bb.312:
	v_add_u32_e32 v73, -1, v0
	s_movk_i32 s12, 0x118
	s_mov_b64 s[4:5], 0
.LBB32_313:                             ; =>This Inner Loop Header: Depth=1
	buffer_load_dword v74, v72, s[0:3], 0 offen
	buffer_load_dword v75, v72, s[0:3], 0 offen offset:4
	v_mov_b32_e32 v76, s12
	ds_read_b64 v[76:77], v76
	v_add_u32_e32 v73, -1, v73
	s_add_i32 s12, s12, 8
	v_cmp_eq_u32_e32 vcc, 0, v73
	v_add_u32_e32 v72, 8, v72
	s_or_b64 s[4:5], vcc, s[4:5]
	s_waitcnt vmcnt(0) lgkmcnt(0)
	v_fmac_f64_e32 v[68:69], v[74:75], v[76:77]
	s_andn2_b64 exec, exec, s[4:5]
	s_cbranch_execnz .LBB32_313
; %bb.314:
	s_or_b64 exec, exec, s[4:5]
.LBB32_315:
	s_or_b64 exec, exec, s[10:11]
	v_mov_b32_e32 v72, 0
	ds_read_b64 v[72:73], v72
	s_waitcnt lgkmcnt(0)
	v_mul_f64 v[68:69], v[68:69], v[72:73]
	buffer_store_dword v69, off, s[0:3], 0 offset:4
	buffer_store_dword v68, off, s[0:3], 0
.LBB32_316:
	s_or_b64 exec, exec, s[6:7]
	s_mov_b64 s[4:5], 0
.LBB32_317:
	s_and_b64 vcc, exec, s[4:5]
	s_cbranch_vccz .LBB32_631
; %bb.318:
	buffer_load_dword v68, off, s[0:3], 0 offset:8
	buffer_load_dword v69, off, s[0:3], 0 offset:12
	v_cmp_eq_u32_e64 s[6:7], 0, v0
	s_waitcnt vmcnt(0)
	ds_write_b64 v70, v[68:69]
	s_waitcnt lgkmcnt(0)
	; wave barrier
	s_waitcnt lgkmcnt(0)
	s_and_saveexec_b64 s[4:5], s[6:7]
	s_cbranch_execz .LBB32_324
; %bb.319:
	s_and_b64 vcc, exec, s[8:9]
	s_cbranch_vccz .LBB32_321
; %bb.320:
	buffer_load_dword v68, v71, s[0:3], 0 offen
	buffer_load_dword v69, v71, s[0:3], 0 offen offset:4
	ds_read_b64 v[72:73], v70
	s_waitcnt vmcnt(0) lgkmcnt(0)
	v_mul_f64 v[68:69], v[68:69], v[72:73]
	s_cbranch_execz .LBB32_322
	s_branch .LBB32_323
.LBB32_321:
                                        ; implicit-def: $vgpr68_vgpr69
.LBB32_322:
	ds_read_b64 v[68:69], v70
.LBB32_323:
	v_mov_b32_e32 v72, 0
	ds_read_b64 v[72:73], v72 offset:8
	s_waitcnt lgkmcnt(0)
	v_mul_f64 v[68:69], v[68:69], v[72:73]
	buffer_store_dword v69, off, s[0:3], 0 offset:12
	buffer_store_dword v68, off, s[0:3], 0 offset:8
.LBB32_324:
	s_or_b64 exec, exec, s[4:5]
	buffer_load_dword v68, off, s[0:3], 0 offset:16
	buffer_load_dword v69, off, s[0:3], 0 offset:20
	v_cndmask_b32_e64 v72, 0, 1, s[8:9]
	v_cmp_gt_u32_e32 vcc, 2, v0
	v_cmp_ne_u32_e64 s[4:5], 1, v72
	s_waitcnt vmcnt(0)
	ds_write_b64 v70, v[68:69]
	s_waitcnt lgkmcnt(0)
	; wave barrier
	s_waitcnt lgkmcnt(0)
	s_and_saveexec_b64 s[8:9], vcc
	s_cbranch_execz .LBB32_332
; %bb.325:
	s_and_b64 vcc, exec, s[4:5]
	s_cbranch_vccnz .LBB32_327
; %bb.326:
	buffer_load_dword v68, v71, s[0:3], 0 offen
	buffer_load_dword v69, v71, s[0:3], 0 offen offset:4
	ds_read_b64 v[72:73], v70
	s_waitcnt vmcnt(0) lgkmcnt(0)
	v_mul_f64 v[68:69], v[68:69], v[72:73]
	s_cbranch_execz .LBB32_328
	s_branch .LBB32_329
.LBB32_327:
                                        ; implicit-def: $vgpr68_vgpr69
.LBB32_328:
	ds_read_b64 v[68:69], v70
.LBB32_329:
	s_and_saveexec_b64 s[10:11], s[6:7]
	s_cbranch_execz .LBB32_331
; %bb.330:
	buffer_load_dword v72, v71, s[0:3], 0 offen offset:8
	buffer_load_dword v73, v71, s[0:3], 0 offen offset:12
	ds_read_b64 v[74:75], v70 offset:8
	s_waitcnt vmcnt(0) lgkmcnt(0)
	v_fmac_f64_e32 v[68:69], v[72:73], v[74:75]
.LBB32_331:
	s_or_b64 exec, exec, s[10:11]
	v_mov_b32_e32 v72, 0
	ds_read_b64 v[72:73], v72 offset:16
	s_waitcnt lgkmcnt(0)
	v_mul_f64 v[68:69], v[68:69], v[72:73]
	buffer_store_dword v69, off, s[0:3], 0 offset:20
	buffer_store_dword v68, off, s[0:3], 0 offset:16
.LBB32_332:
	s_or_b64 exec, exec, s[8:9]
	buffer_load_dword v68, off, s[0:3], 0 offset:24
	buffer_load_dword v69, off, s[0:3], 0 offset:28
	v_cmp_gt_u32_e32 vcc, 3, v0
	s_waitcnt vmcnt(0)
	ds_write_b64 v70, v[68:69]
	s_waitcnt lgkmcnt(0)
	; wave barrier
	s_waitcnt lgkmcnt(0)
	s_and_saveexec_b64 s[8:9], vcc
	s_cbranch_execz .LBB32_340
; %bb.333:
	s_and_b64 vcc, exec, s[4:5]
	s_cbranch_vccnz .LBB32_335
; %bb.334:
	buffer_load_dword v68, v71, s[0:3], 0 offen
	buffer_load_dword v69, v71, s[0:3], 0 offen offset:4
	ds_read_b64 v[72:73], v70
	s_waitcnt vmcnt(0) lgkmcnt(0)
	v_mul_f64 v[68:69], v[68:69], v[72:73]
	s_cbranch_execz .LBB32_336
	s_branch .LBB32_337
.LBB32_335:
                                        ; implicit-def: $vgpr68_vgpr69
.LBB32_336:
	ds_read_b64 v[68:69], v70
.LBB32_337:
	v_cmp_ne_u32_e32 vcc, 2, v0
	s_and_saveexec_b64 s[10:11], vcc
	s_cbranch_execz .LBB32_339
; %bb.338:
	buffer_load_dword v73, v71, s[0:3], 0 offen offset:12
	buffer_load_dword v74, off, s[0:3], 0 offset:16
	buffer_load_dword v72, v71, s[0:3], 0 offen offset:8
	buffer_load_dword v75, off, s[0:3], 0 offset:20
	v_mov_b32_e32 v78, 0
	ds_read_b64 v[76:77], v70 offset:8
	ds_read_b64 v[78:79], v78 offset:288
	s_waitcnt vmcnt(1) lgkmcnt(1)
	v_fmac_f64_e32 v[68:69], v[72:73], v[76:77]
	s_waitcnt vmcnt(0) lgkmcnt(0)
	v_fma_f64 v[72:73], v[74:75], v[78:79], v[68:69]
	v_cndmask_b32_e64 v69, v69, v73, s[6:7]
	v_cndmask_b32_e64 v68, v68, v72, s[6:7]
.LBB32_339:
	s_or_b64 exec, exec, s[10:11]
	v_mov_b32_e32 v72, 0
	ds_read_b64 v[72:73], v72 offset:24
	s_waitcnt lgkmcnt(0)
	v_mul_f64 v[68:69], v[68:69], v[72:73]
	buffer_store_dword v69, off, s[0:3], 0 offset:28
	buffer_store_dword v68, off, s[0:3], 0 offset:24
.LBB32_340:
	s_or_b64 exec, exec, s[8:9]
	buffer_load_dword v68, off, s[0:3], 0 offset:32
	buffer_load_dword v69, off, s[0:3], 0 offset:36
	v_cmp_gt_u32_e32 vcc, 4, v0
	s_waitcnt vmcnt(0)
	ds_write_b64 v70, v[68:69]
	s_waitcnt lgkmcnt(0)
	; wave barrier
	s_waitcnt lgkmcnt(0)
	s_and_saveexec_b64 s[6:7], vcc
	s_cbranch_execz .LBB32_350
; %bb.341:
	s_and_b64 vcc, exec, s[4:5]
	s_cbranch_vccnz .LBB32_343
; %bb.342:
	buffer_load_dword v68, v71, s[0:3], 0 offen
	buffer_load_dword v69, v71, s[0:3], 0 offen offset:4
	ds_read_b64 v[72:73], v70
	s_waitcnt vmcnt(0) lgkmcnt(0)
	v_mul_f64 v[68:69], v[68:69], v[72:73]
	s_cbranch_execz .LBB32_344
	s_branch .LBB32_345
.LBB32_343:
                                        ; implicit-def: $vgpr68_vgpr69
.LBB32_344:
	ds_read_b64 v[68:69], v70
.LBB32_345:
	v_cmp_ne_u32_e32 vcc, 3, v0
	s_and_saveexec_b64 s[8:9], vcc
	s_cbranch_execz .LBB32_349
; %bb.346:
	v_mov_b32_e32 v73, 0
	v_add_u32_e32 v72, 0x118, v1
	v_add3_u32 v73, v1, v73, 8
	s_mov_b64 s[10:11], 0
	v_mov_b32_e32 v74, v0
.LBB32_347:                             ; =>This Inner Loop Header: Depth=1
	buffer_load_dword v76, v73, s[0:3], 0 offen
	buffer_load_dword v77, v73, s[0:3], 0 offen offset:4
	ds_read_b64 v[78:79], v72
	v_add_u32_e32 v74, 1, v74
	v_cmp_lt_u32_e32 vcc, 2, v74
	v_add_u32_e32 v72, 8, v72
	v_add_u32_e32 v73, 8, v73
	s_or_b64 s[10:11], vcc, s[10:11]
	s_waitcnt vmcnt(0) lgkmcnt(0)
	v_fmac_f64_e32 v[68:69], v[76:77], v[78:79]
	s_andn2_b64 exec, exec, s[10:11]
	s_cbranch_execnz .LBB32_347
; %bb.348:
	s_or_b64 exec, exec, s[10:11]
.LBB32_349:
	s_or_b64 exec, exec, s[8:9]
	v_mov_b32_e32 v72, 0
	ds_read_b64 v[72:73], v72 offset:32
	s_waitcnt lgkmcnt(0)
	v_mul_f64 v[68:69], v[68:69], v[72:73]
	buffer_store_dword v69, off, s[0:3], 0 offset:36
	buffer_store_dword v68, off, s[0:3], 0 offset:32
.LBB32_350:
	s_or_b64 exec, exec, s[6:7]
	buffer_load_dword v68, off, s[0:3], 0 offset:40
	buffer_load_dword v69, off, s[0:3], 0 offset:44
	v_cmp_gt_u32_e32 vcc, 5, v0
	s_waitcnt vmcnt(0)
	ds_write_b64 v70, v[68:69]
	s_waitcnt lgkmcnt(0)
	; wave barrier
	s_waitcnt lgkmcnt(0)
	s_and_saveexec_b64 s[6:7], vcc
	s_cbranch_execz .LBB32_360
; %bb.351:
	s_and_b64 vcc, exec, s[4:5]
	s_cbranch_vccnz .LBB32_353
; %bb.352:
	buffer_load_dword v68, v71, s[0:3], 0 offen
	buffer_load_dword v69, v71, s[0:3], 0 offen offset:4
	ds_read_b64 v[72:73], v70
	s_waitcnt vmcnt(0) lgkmcnt(0)
	v_mul_f64 v[68:69], v[68:69], v[72:73]
	s_cbranch_execz .LBB32_354
	s_branch .LBB32_355
.LBB32_353:
                                        ; implicit-def: $vgpr68_vgpr69
.LBB32_354:
	ds_read_b64 v[68:69], v70
.LBB32_355:
	v_cmp_ne_u32_e32 vcc, 4, v0
	s_and_saveexec_b64 s[8:9], vcc
	s_cbranch_execz .LBB32_359
; %bb.356:
	v_mov_b32_e32 v73, 0
	v_add_u32_e32 v72, 0x118, v1
	v_add3_u32 v73, v1, v73, 8
	s_mov_b64 s[10:11], 0
	v_mov_b32_e32 v74, v0
.LBB32_357:                             ; =>This Inner Loop Header: Depth=1
	buffer_load_dword v76, v73, s[0:3], 0 offen
	buffer_load_dword v77, v73, s[0:3], 0 offen offset:4
	ds_read_b64 v[78:79], v72
	v_add_u32_e32 v74, 1, v74
	v_cmp_lt_u32_e32 vcc, 3, v74
	v_add_u32_e32 v72, 8, v72
	v_add_u32_e32 v73, 8, v73
	s_or_b64 s[10:11], vcc, s[10:11]
	s_waitcnt vmcnt(0) lgkmcnt(0)
	v_fmac_f64_e32 v[68:69], v[76:77], v[78:79]
	s_andn2_b64 exec, exec, s[10:11]
	s_cbranch_execnz .LBB32_357
; %bb.358:
	s_or_b64 exec, exec, s[10:11]
.LBB32_359:
	s_or_b64 exec, exec, s[8:9]
	v_mov_b32_e32 v72, 0
	ds_read_b64 v[72:73], v72 offset:40
	s_waitcnt lgkmcnt(0)
	v_mul_f64 v[68:69], v[68:69], v[72:73]
	buffer_store_dword v69, off, s[0:3], 0 offset:44
	buffer_store_dword v68, off, s[0:3], 0 offset:40
.LBB32_360:
	;; [unrolled: 60-line block ×27, first 2 shown]
	s_or_b64 exec, exec, s[6:7]
	buffer_load_dword v68, off, s[0:3], 0 offset:248
	buffer_load_dword v69, off, s[0:3], 0 offset:252
	v_cmp_gt_u32_e64 s[6:7], 31, v0
	s_waitcnt vmcnt(0)
	ds_write_b64 v70, v[68:69]
	s_waitcnt lgkmcnt(0)
	; wave barrier
	s_waitcnt lgkmcnt(0)
	s_and_saveexec_b64 s[8:9], s[6:7]
	s_cbranch_execz .LBB32_620
; %bb.611:
	s_and_b64 vcc, exec, s[4:5]
	s_cbranch_vccnz .LBB32_613
; %bb.612:
	buffer_load_dword v68, v71, s[0:3], 0 offen
	buffer_load_dword v69, v71, s[0:3], 0 offen offset:4
	ds_read_b64 v[72:73], v70
	s_waitcnt vmcnt(0) lgkmcnt(0)
	v_mul_f64 v[68:69], v[68:69], v[72:73]
	s_cbranch_execz .LBB32_614
	s_branch .LBB32_615
.LBB32_613:
                                        ; implicit-def: $vgpr68_vgpr69
.LBB32_614:
	ds_read_b64 v[68:69], v70
.LBB32_615:
	v_cmp_ne_u32_e32 vcc, 30, v0
	s_and_saveexec_b64 s[10:11], vcc
	s_cbranch_execz .LBB32_619
; %bb.616:
	v_mov_b32_e32 v73, 0
	v_add_u32_e32 v72, 0x118, v1
	v_add3_u32 v73, v1, v73, 8
	s_mov_b64 s[12:13], 0
	v_mov_b32_e32 v74, v0
.LBB32_617:                             ; =>This Inner Loop Header: Depth=1
	buffer_load_dword v76, v73, s[0:3], 0 offen
	buffer_load_dword v77, v73, s[0:3], 0 offen offset:4
	ds_read_b64 v[78:79], v72
	v_add_u32_e32 v74, 1, v74
	v_cmp_lt_u32_e32 vcc, 29, v74
	v_add_u32_e32 v72, 8, v72
	v_add_u32_e32 v73, 8, v73
	s_or_b64 s[12:13], vcc, s[12:13]
	s_waitcnt vmcnt(0) lgkmcnt(0)
	v_fmac_f64_e32 v[68:69], v[76:77], v[78:79]
	s_andn2_b64 exec, exec, s[12:13]
	s_cbranch_execnz .LBB32_617
; %bb.618:
	s_or_b64 exec, exec, s[12:13]
.LBB32_619:
	s_or_b64 exec, exec, s[10:11]
	v_mov_b32_e32 v72, 0
	ds_read_b64 v[72:73], v72 offset:248
	s_waitcnt lgkmcnt(0)
	v_mul_f64 v[68:69], v[68:69], v[72:73]
	buffer_store_dword v69, off, s[0:3], 0 offset:252
	buffer_store_dword v68, off, s[0:3], 0 offset:248
.LBB32_620:
	s_or_b64 exec, exec, s[8:9]
	buffer_load_dword v68, off, s[0:3], 0 offset:256
	buffer_load_dword v69, off, s[0:3], 0 offset:260
	v_cmp_ne_u32_e32 vcc, 32, v0
	s_waitcnt vmcnt(0)
	ds_write_b64 v70, v[68:69]
	s_waitcnt lgkmcnt(0)
	; wave barrier
	s_waitcnt lgkmcnt(0)
	s_and_saveexec_b64 s[8:9], vcc
	s_cbranch_execz .LBB32_630
; %bb.621:
	s_and_b64 vcc, exec, s[4:5]
	s_cbranch_vccnz .LBB32_623
; %bb.622:
	buffer_load_dword v68, v71, s[0:3], 0 offen
	buffer_load_dword v69, v71, s[0:3], 0 offen offset:4
	ds_read_b64 v[72:73], v70
	s_waitcnt vmcnt(0) lgkmcnt(0)
	v_mul_f64 v[68:69], v[68:69], v[72:73]
	s_cbranch_execz .LBB32_624
	s_branch .LBB32_625
.LBB32_623:
                                        ; implicit-def: $vgpr68_vgpr69
.LBB32_624:
	ds_read_b64 v[68:69], v70
.LBB32_625:
	s_and_saveexec_b64 s[4:5], s[6:7]
	s_cbranch_execz .LBB32_629
; %bb.626:
	v_mov_b32_e32 v71, 0
	v_add_u32_e32 v70, 0x118, v1
	v_add3_u32 v1, v1, v71, 8
	s_mov_b64 s[6:7], 0
.LBB32_627:                             ; =>This Inner Loop Header: Depth=1
	buffer_load_dword v72, v1, s[0:3], 0 offen
	buffer_load_dword v73, v1, s[0:3], 0 offen offset:4
	ds_read_b64 v[74:75], v70
	v_add_u32_e32 v0, 1, v0
	v_cmp_lt_u32_e32 vcc, 30, v0
	v_add_u32_e32 v70, 8, v70
	v_add_u32_e32 v1, 8, v1
	s_or_b64 s[6:7], vcc, s[6:7]
	s_waitcnt vmcnt(0) lgkmcnt(0)
	v_fmac_f64_e32 v[68:69], v[72:73], v[74:75]
	s_andn2_b64 exec, exec, s[6:7]
	s_cbranch_execnz .LBB32_627
; %bb.628:
	s_or_b64 exec, exec, s[6:7]
.LBB32_629:
	s_or_b64 exec, exec, s[4:5]
	v_mov_b32_e32 v0, 0
	ds_read_b64 v[0:1], v0 offset:256
	s_waitcnt lgkmcnt(0)
	v_mul_f64 v[0:1], v[68:69], v[0:1]
	buffer_store_dword v1, off, s[0:3], 0 offset:260
	buffer_store_dword v0, off, s[0:3], 0 offset:256
.LBB32_630:
	s_or_b64 exec, exec, s[8:9]
.LBB32_631:
	buffer_load_dword v0, off, s[0:3], 0
	buffer_load_dword v1, off, s[0:3], 0 offset:4
	buffer_load_dword v68, off, s[0:3], 0 offset:8
	;; [unrolled: 1-line block ×15, first 2 shown]
	s_waitcnt vmcnt(14)
	global_store_dwordx2 v[2:3], v[0:1], off
	s_waitcnt vmcnt(13)
	global_store_dwordx2 v[4:5], v[68:69], off
	;; [unrolled: 2-line block ×8, first 2 shown]
	buffer_load_dword v1, off, s[0:3], 0 offset:68
	buffer_load_dword v0, off, s[0:3], 0 offset:64
	s_waitcnt vmcnt(0)
	global_store_dwordx2 v[20:21], v[0:1], off
	buffer_load_dword v0, off, s[0:3], 0 offset:72
	s_nop 0
	buffer_load_dword v1, off, s[0:3], 0 offset:76
	s_waitcnt vmcnt(0)
	global_store_dwordx2 v[16:17], v[0:1], off
	buffer_load_dword v0, off, s[0:3], 0 offset:80
	s_nop 0
	;; [unrolled: 5-line block ×24, first 2 shown]
	buffer_load_dword v1, off, s[0:3], 0 offset:260
	s_waitcnt vmcnt(0)
	global_store_dwordx2 v[62:63], v[0:1], off
.LBB32_632:
	s_endpgm
	.section	.rodata,"a",@progbits
	.p2align	6, 0x0
	.amdhsa_kernel _ZN9rocsolver6v33100L18trti2_kernel_smallILi33EdPdEEv13rocblas_fill_17rocblas_diagonal_T1_iil
		.amdhsa_group_segment_fixed_size 536
		.amdhsa_private_segment_fixed_size 272
		.amdhsa_kernarg_size 32
		.amdhsa_user_sgpr_count 8
		.amdhsa_user_sgpr_private_segment_buffer 1
		.amdhsa_user_sgpr_dispatch_ptr 0
		.amdhsa_user_sgpr_queue_ptr 0
		.amdhsa_user_sgpr_kernarg_segment_ptr 1
		.amdhsa_user_sgpr_dispatch_id 0
		.amdhsa_user_sgpr_flat_scratch_init 1
		.amdhsa_user_sgpr_kernarg_preload_length 0
		.amdhsa_user_sgpr_kernarg_preload_offset 0
		.amdhsa_user_sgpr_private_segment_size 0
		.amdhsa_uses_dynamic_stack 0
		.amdhsa_system_sgpr_private_segment_wavefront_offset 1
		.amdhsa_system_sgpr_workgroup_id_x 1
		.amdhsa_system_sgpr_workgroup_id_y 0
		.amdhsa_system_sgpr_workgroup_id_z 0
		.amdhsa_system_sgpr_workgroup_info 0
		.amdhsa_system_vgpr_workitem_id 0
		.amdhsa_next_free_vgpr 126
		.amdhsa_next_free_sgpr 20
		.amdhsa_accum_offset 128
		.amdhsa_reserve_vcc 1
		.amdhsa_reserve_flat_scratch 0
		.amdhsa_float_round_mode_32 0
		.amdhsa_float_round_mode_16_64 0
		.amdhsa_float_denorm_mode_32 3
		.amdhsa_float_denorm_mode_16_64 3
		.amdhsa_dx10_clamp 1
		.amdhsa_ieee_mode 1
		.amdhsa_fp16_overflow 0
		.amdhsa_tg_split 0
		.amdhsa_exception_fp_ieee_invalid_op 0
		.amdhsa_exception_fp_denorm_src 0
		.amdhsa_exception_fp_ieee_div_zero 0
		.amdhsa_exception_fp_ieee_overflow 0
		.amdhsa_exception_fp_ieee_underflow 0
		.amdhsa_exception_fp_ieee_inexact 0
		.amdhsa_exception_int_div_zero 0
	.end_amdhsa_kernel
	.section	.text._ZN9rocsolver6v33100L18trti2_kernel_smallILi33EdPdEEv13rocblas_fill_17rocblas_diagonal_T1_iil,"axG",@progbits,_ZN9rocsolver6v33100L18trti2_kernel_smallILi33EdPdEEv13rocblas_fill_17rocblas_diagonal_T1_iil,comdat
.Lfunc_end32:
	.size	_ZN9rocsolver6v33100L18trti2_kernel_smallILi33EdPdEEv13rocblas_fill_17rocblas_diagonal_T1_iil, .Lfunc_end32-_ZN9rocsolver6v33100L18trti2_kernel_smallILi33EdPdEEv13rocblas_fill_17rocblas_diagonal_T1_iil
                                        ; -- End function
	.section	.AMDGPU.csdata,"",@progbits
; Kernel info:
; codeLenInByte = 19312
; NumSgprs: 24
; NumVgprs: 126
; NumAgprs: 0
; TotalNumVgprs: 126
; ScratchSize: 272
; MemoryBound: 0
; FloatMode: 240
; IeeeMode: 1
; LDSByteSize: 536 bytes/workgroup (compile time only)
; SGPRBlocks: 2
; VGPRBlocks: 15
; NumSGPRsForWavesPerEU: 24
; NumVGPRsForWavesPerEU: 126
; AccumOffset: 128
; Occupancy: 4
; WaveLimiterHint : 0
; COMPUTE_PGM_RSRC2:SCRATCH_EN: 1
; COMPUTE_PGM_RSRC2:USER_SGPR: 8
; COMPUTE_PGM_RSRC2:TRAP_HANDLER: 0
; COMPUTE_PGM_RSRC2:TGID_X_EN: 1
; COMPUTE_PGM_RSRC2:TGID_Y_EN: 0
; COMPUTE_PGM_RSRC2:TGID_Z_EN: 0
; COMPUTE_PGM_RSRC2:TIDIG_COMP_CNT: 0
; COMPUTE_PGM_RSRC3_GFX90A:ACCUM_OFFSET: 31
; COMPUTE_PGM_RSRC3_GFX90A:TG_SPLIT: 0
	.section	.text._ZN9rocsolver6v33100L18trti2_kernel_smallILi34EdPdEEv13rocblas_fill_17rocblas_diagonal_T1_iil,"axG",@progbits,_ZN9rocsolver6v33100L18trti2_kernel_smallILi34EdPdEEv13rocblas_fill_17rocblas_diagonal_T1_iil,comdat
	.globl	_ZN9rocsolver6v33100L18trti2_kernel_smallILi34EdPdEEv13rocblas_fill_17rocblas_diagonal_T1_iil ; -- Begin function _ZN9rocsolver6v33100L18trti2_kernel_smallILi34EdPdEEv13rocblas_fill_17rocblas_diagonal_T1_iil
	.p2align	8
	.type	_ZN9rocsolver6v33100L18trti2_kernel_smallILi34EdPdEEv13rocblas_fill_17rocblas_diagonal_T1_iil,@function
_ZN9rocsolver6v33100L18trti2_kernel_smallILi34EdPdEEv13rocblas_fill_17rocblas_diagonal_T1_iil: ; @_ZN9rocsolver6v33100L18trti2_kernel_smallILi34EdPdEEv13rocblas_fill_17rocblas_diagonal_T1_iil
; %bb.0:
	s_add_u32 s0, s0, s9
	s_addc_u32 s1, s1, 0
	v_cmp_gt_u32_e32 vcc, 34, v0
	s_and_saveexec_b64 s[6:7], vcc
	s_cbranch_execz .LBB33_652
; %bb.1:
	s_load_dwordx8 s[12:19], s[4:5], 0x0
	s_ashr_i32 s6, s8, 31
	s_waitcnt lgkmcnt(0)
	s_mul_i32 s7, s8, s19
	s_mul_hi_u32 s9, s8, s18
	s_add_i32 s7, s9, s7
	s_mul_i32 s6, s6, s18
	s_add_i32 s7, s7, s6
	s_mul_i32 s6, s8, s18
	s_ashr_i32 s5, s16, 31
	s_lshl_b64 s[6:7], s[6:7], 3
	s_mov_b32 s4, s16
	s_add_u32 s6, s14, s6
	s_addc_u32 s7, s15, s7
	s_lshl_b64 s[4:5], s[4:5], 3
	s_add_u32 s4, s6, s4
	s_addc_u32 s5, s7, s5
	s_add_i32 s6, s17, s17
	v_add_u32_e32 v4, s6, v0
	v_ashrrev_i32_e32 v5, 31, v4
	v_lshlrev_b64 v[2:3], 3, v[4:5]
	v_add_u32_e32 v6, s17, v4
	v_mov_b32_e32 v1, s5
	v_add_co_u32_e32 v2, vcc, s4, v2
	v_ashrrev_i32_e32 v7, 31, v6
	v_addc_co_u32_e32 v3, vcc, v1, v3, vcc
	v_lshlrev_b64 v[4:5], 3, v[6:7]
	v_add_u32_e32 v8, s17, v6
	v_add_co_u32_e32 v4, vcc, s4, v4
	v_ashrrev_i32_e32 v9, 31, v8
	v_addc_co_u32_e32 v5, vcc, v1, v5, vcc
	v_lshlrev_b64 v[6:7], 3, v[8:9]
	v_add_u32_e32 v10, s17, v8
	v_add_co_u32_e32 v6, vcc, s4, v6
	v_ashrrev_i32_e32 v11, 31, v10
	v_addc_co_u32_e32 v7, vcc, v1, v7, vcc
	v_lshlrev_b64 v[8:9], 3, v[10:11]
	v_add_u32_e32 v12, s17, v10
	v_add_co_u32_e32 v8, vcc, s4, v8
	v_ashrrev_i32_e32 v13, 31, v12
	v_addc_co_u32_e32 v9, vcc, v1, v9, vcc
	v_lshlrev_b64 v[10:11], 3, v[12:13]
	v_add_u32_e32 v12, s17, v12
	v_add_co_u32_e32 v10, vcc, s4, v10
	v_ashrrev_i32_e32 v13, 31, v12
	v_addc_co_u32_e32 v11, vcc, v1, v11, vcc
	v_lshlrev_b64 v[14:15], 3, v[12:13]
	v_add_u32_e32 v12, s17, v12
	v_add_co_u32_e32 v14, vcc, s4, v14
	v_ashrrev_i32_e32 v13, 31, v12
	v_addc_co_u32_e32 v15, vcc, v1, v15, vcc
	v_lshlrev_b64 v[16:17], 3, v[12:13]
	v_add_co_u32_e32 v20, vcc, s4, v16
	v_add_u32_e32 v16, s17, v12
	v_addc_co_u32_e32 v21, vcc, v1, v17, vcc
	v_ashrrev_i32_e32 v17, 31, v16
	v_lshlrev_b64 v[12:13], 3, v[16:17]
	v_add_u32_e32 v18, s17, v16
	v_add_co_u32_e32 v12, vcc, s4, v12
	v_ashrrev_i32_e32 v19, 31, v18
	v_addc_co_u32_e32 v13, vcc, v1, v13, vcc
	v_lshlrev_b64 v[16:17], 3, v[18:19]
	v_add_u32_e32 v22, s17, v18
	v_add_co_u32_e32 v16, vcc, s4, v16
	v_ashrrev_i32_e32 v23, 31, v22
	v_addc_co_u32_e32 v17, vcc, v1, v17, vcc
	;; [unrolled: 5-line block ×16, first 2 shown]
	v_lshlrev_b64 v[48:49], 3, v[50:51]
	v_add_co_u32_e32 v48, vcc, s4, v48
	v_addc_co_u32_e32 v49, vcc, v1, v49, vcc
	v_lshlrev_b32_e32 v1, 3, v0
	global_load_dwordx2 v[70:71], v1, s[4:5]
	global_load_dwordx2 v[74:75], v[2:3], off
	global_load_dwordx2 v[76:77], v[4:5], off
	;; [unrolled: 1-line block ×3, first 2 shown]
	v_mov_b32_e32 v54, s5
	v_add_co_u32_e32 v66, vcc, s4, v1
	s_ashr_i32 s7, s17, 31
	s_mov_b32 s6, s17
	v_addc_co_u32_e32 v67, vcc, 0, v54, vcc
	s_lshl_b64 s[6:7], s[6:7], 3
	v_mov_b32_e32 v54, s7
	v_add_co_u32_e32 v68, vcc, s6, v66
	v_addc_co_u32_e32 v69, vcc, v67, v54, vcc
	global_load_dwordx2 v[72:73], v[68:69], off
	global_load_dwordx2 v[82:83], v[10:11], off
	;; [unrolled: 1-line block ×3, first 2 shown]
	v_add_u32_e32 v52, s17, v50
	v_ashrrev_i32_e32 v53, 31, v52
	v_lshlrev_b64 v[50:51], 3, v[52:53]
	v_add_u32_e32 v54, s17, v52
	v_mov_b32_e32 v53, s5
	v_add_co_u32_e32 v50, vcc, s4, v50
	v_ashrrev_i32_e32 v55, 31, v54
	v_addc_co_u32_e32 v51, vcc, v53, v51, vcc
	v_lshlrev_b64 v[52:53], 3, v[54:55]
	v_mov_b32_e32 v55, s5
	v_add_co_u32_e32 v52, vcc, s4, v52
	v_add_u32_e32 v54, s17, v54
	v_addc_co_u32_e32 v53, vcc, v55, v53, vcc
	v_ashrrev_i32_e32 v55, 31, v54
	v_lshlrev_b64 v[56:57], 3, v[54:55]
	v_mov_b32_e32 v55, s5
	v_add_co_u32_e32 v56, vcc, s4, v56
	v_add_u32_e32 v54, s17, v54
	v_addc_co_u32_e32 v57, vcc, v55, v57, vcc
	v_ashrrev_i32_e32 v55, 31, v54
	v_lshlrev_b64 v[58:59], 3, v[54:55]
	v_mov_b32_e32 v55, s5
	v_add_co_u32_e32 v58, vcc, s4, v58
	v_add_u32_e32 v54, s17, v54
	v_addc_co_u32_e32 v59, vcc, v55, v59, vcc
	v_ashrrev_i32_e32 v55, 31, v54
	v_lshlrev_b64 v[60:61], 3, v[54:55]
	v_add_u32_e32 v54, s17, v54
	v_mov_b32_e32 v62, s5
	v_add_co_u32_e32 v60, vcc, s4, v60
	v_ashrrev_i32_e32 v55, 31, v54
	v_addc_co_u32_e32 v61, vcc, v62, v61, vcc
	v_lshlrev_b64 v[62:63], 3, v[54:55]
	v_add_u32_e32 v54, s17, v54
	v_mov_b32_e32 v64, s5
	v_add_co_u32_e32 v62, vcc, s4, v62
	v_ashrrev_i32_e32 v55, 31, v54
	v_addc_co_u32_e32 v63, vcc, v64, v63, vcc
	;; [unrolled: 6-line block ×3, first 2 shown]
	v_lshlrev_b64 v[54:55], 3, v[54:55]
	v_mov_b32_e32 v104, s5
	v_add_co_u32_e32 v54, vcc, s4, v54
	global_load_dwordx2 v[84:85], v[14:15], off
	global_load_dwordx2 v[86:87], v[20:21], off
	;; [unrolled: 1-line block ×10, first 2 shown]
	v_addc_co_u32_e32 v55, vcc, v104, v55, vcc
	global_load_dwordx2 v[104:105], v[32:33], off
	global_load_dwordx2 v[106:107], v[54:55], off
	;; [unrolled: 1-line block ×10, first 2 shown]
	s_cmpk_lg_i32 s13, 0x84
	s_waitcnt vmcnt(26)
	buffer_store_dword v71, off, s[0:3], 0 offset:4
	buffer_store_dword v70, off, s[0:3], 0
	global_load_dwordx2 v[70:71], v[38:39], off
	s_cselect_b64 s[8:9], -1, 0
	s_waitcnt vmcnt(25)
	buffer_store_dword v73, off, s[0:3], 0 offset:12
	buffer_store_dword v72, off, s[0:3], 0 offset:8
	global_load_dwordx2 v[72:73], v[42:43], off
	s_cmpk_eq_i32 s13, 0x84
	buffer_store_dword v75, off, s[0:3], 0 offset:20
	buffer_store_dword v74, off, s[0:3], 0 offset:16
	global_load_dwordx2 v[74:75], v[46:47], off
	s_nop 0
	buffer_store_dword v77, off, s[0:3], 0 offset:28
	buffer_store_dword v76, off, s[0:3], 0 offset:24
	global_load_dwordx2 v[76:77], v[50:51], off
	s_nop 0
	buffer_store_dword v79, off, s[0:3], 0 offset:36
	buffer_store_dword v78, off, s[0:3], 0 offset:32
	global_load_dwordx2 v[78:79], v[56:57], off
	s_waitcnt vmcnt(35)
	buffer_store_dword v81, off, s[0:3], 0 offset:44
	buffer_store_dword v80, off, s[0:3], 0 offset:40
	global_load_dwordx2 v[80:81], v[60:61], off
	s_nop 0
	buffer_store_dword v83, off, s[0:3], 0 offset:52
	buffer_store_dword v82, off, s[0:3], 0 offset:48
	global_load_dwordx2 v[82:83], v[64:65], off
	s_waitcnt vmcnt(40)
	buffer_store_dword v85, off, s[0:3], 0 offset:60
	buffer_store_dword v84, off, s[0:3], 0 offset:56
	s_waitcnt vmcnt(41)
	buffer_store_dword v87, off, s[0:3], 0 offset:68
	buffer_store_dword v86, off, s[0:3], 0 offset:64
	;; [unrolled: 3-line block ×14, first 2 shown]
	buffer_store_dword v112, off, s[0:3], 0 offset:168
	buffer_store_dword v113, off, s[0:3], 0 offset:172
	s_waitcnt vmcnt(45)
	buffer_store_dword v72, off, s[0:3], 0 offset:176
	buffer_store_dword v73, off, s[0:3], 0 offset:180
	buffer_store_dword v114, off, s[0:3], 0 offset:184
	buffer_store_dword v115, off, s[0:3], 0 offset:188
	s_waitcnt vmcnt(46)
	buffer_store_dword v74, off, s[0:3], 0 offset:192
	buffer_store_dword v75, off, s[0:3], 0 offset:196
	;; [unrolled: 5-line block ×6, first 2 shown]
	buffer_store_dword v106, off, s[0:3], 0 offset:264
	buffer_store_dword v107, off, s[0:3], 0 offset:268
	v_mov_b32_e32 v70, 0
	v_mov_b32_e32 v104, 0
	;; [unrolled: 1-line block ×3, first 2 shown]
	s_cbranch_scc1 .LBB33_3
; %bb.2:
	v_lshl_add_u32 v80, v0, 3, v104
	buffer_load_dword v70, v80, s[0:3], 0 offen
	buffer_load_dword v71, v80, s[0:3], 0 offen offset:4
	s_waitcnt vmcnt(0)
	v_div_scale_f64 v[72:73], s[4:5], v[70:71], v[70:71], 1.0
	v_rcp_f64_e32 v[74:75], v[72:73]
	v_div_scale_f64 v[76:77], vcc, 1.0, v[70:71], 1.0
	v_fma_f64 v[78:79], -v[72:73], v[74:75], 1.0
	v_fmac_f64_e32 v[74:75], v[74:75], v[78:79]
	v_fma_f64 v[78:79], -v[72:73], v[74:75], 1.0
	v_fmac_f64_e32 v[74:75], v[74:75], v[78:79]
	v_mul_f64 v[78:79], v[76:77], v[74:75]
	v_fma_f64 v[72:73], -v[72:73], v[78:79], v[76:77]
	v_div_fmas_f64 v[72:73], v[72:73], v[74:75], v[78:79]
	v_div_fixup_f64 v[70:71], v[72:73], v[70:71], 1.0
	buffer_store_dword v70, v80, s[0:3], 0 offen
	buffer_store_dword v71, v80, s[0:3], 0 offen offset:4
	v_xor_b32_e32 v71, 0x80000000, v71
.LBB33_3:
	s_cmpk_eq_i32 s12, 0x79
	v_add_u32_e32 v72, 0x110, v1
	v_add_u32_e32 v73, 0, v1
	s_mov_b64 s[4:5], -1
	ds_write_b64 v1, v[70:71]
	s_cbranch_scc1 .LBB33_327
; %bb.4:
	buffer_load_dword v70, off, s[0:3], 0 offset:256
	buffer_load_dword v71, off, s[0:3], 0 offset:260
	v_cmp_eq_u32_e64 s[4:5], 33, v0
	s_waitcnt vmcnt(0)
	ds_write_b64 v72, v[70:71]
	s_waitcnt lgkmcnt(0)
	; wave barrier
	s_waitcnt lgkmcnt(0)
	s_and_saveexec_b64 s[6:7], s[4:5]
	s_cbranch_execz .LBB33_10
; %bb.5:
	s_and_b64 vcc, exec, s[8:9]
	s_cbranch_vccz .LBB33_7
; %bb.6:
	buffer_load_dword v70, v73, s[0:3], 0 offen
	buffer_load_dword v71, v73, s[0:3], 0 offen offset:4
	ds_read_b64 v[74:75], v72
	s_waitcnt vmcnt(0) lgkmcnt(0)
	v_mul_f64 v[70:71], v[70:71], v[74:75]
	s_cbranch_execz .LBB33_8
	s_branch .LBB33_9
.LBB33_7:
                                        ; implicit-def: $vgpr70_vgpr71
.LBB33_8:
	ds_read_b64 v[70:71], v72
.LBB33_9:
	v_mov_b32_e32 v74, 0
	ds_read_b64 v[74:75], v74 offset:256
	s_waitcnt lgkmcnt(0)
	v_mul_f64 v[70:71], v[70:71], v[74:75]
	buffer_store_dword v71, off, s[0:3], 0 offset:260
	buffer_store_dword v70, off, s[0:3], 0 offset:256
.LBB33_10:
	s_or_b64 exec, exec, s[6:7]
	buffer_load_dword v70, off, s[0:3], 0 offset:248
	buffer_load_dword v71, off, s[0:3], 0 offset:252
	v_or_b32_e32 v74, 8, v104
	v_add_u32_e32 v75, 16, v104
	v_add_u32_e32 v76, 24, v104
	;; [unrolled: 1-line block ×30, first 2 shown]
	v_cmp_lt_u32_e64 s[6:7], 31, v0
	s_waitcnt vmcnt(0)
	ds_write_b64 v72, v[70:71]
	s_waitcnt lgkmcnt(0)
	; wave barrier
	s_waitcnt lgkmcnt(0)
	s_and_saveexec_b64 s[10:11], s[6:7]
	s_cbranch_execz .LBB33_16
; %bb.11:
	s_andn2_b64 vcc, exec, s[8:9]
	s_cbranch_vccnz .LBB33_13
; %bb.12:
	buffer_load_dword v70, v73, s[0:3], 0 offen
	buffer_load_dword v71, v73, s[0:3], 0 offen offset:4
	ds_read_b64 v[106:107], v72
	s_waitcnt vmcnt(0) lgkmcnt(0)
	v_mul_f64 v[70:71], v[70:71], v[106:107]
	s_cbranch_execz .LBB33_14
	s_branch .LBB33_15
.LBB33_13:
                                        ; implicit-def: $vgpr70_vgpr71
.LBB33_14:
	ds_read_b64 v[70:71], v72
.LBB33_15:
	buffer_load_dword v110, off, s[0:3], 0 offset:256
	buffer_load_dword v111, off, s[0:3], 0 offset:260
	v_mov_b32_e32 v105, 0
	ds_read2_b64 v[106:109], v105 offset0:31 offset1:66
	s_waitcnt vmcnt(0) lgkmcnt(0)
	v_fma_f64 v[108:109], v[110:111], v[108:109], v[70:71]
	v_cndmask_b32_e64 v71, v71, v109, s[4:5]
	v_cndmask_b32_e64 v70, v70, v108, s[4:5]
	v_mul_f64 v[70:71], v[70:71], v[106:107]
	buffer_store_dword v71, off, s[0:3], 0 offset:252
	buffer_store_dword v70, off, s[0:3], 0 offset:248
.LBB33_16:
	s_or_b64 exec, exec, s[10:11]
	buffer_load_dword v70, off, s[0:3], 0 offset:240
	buffer_load_dword v71, off, s[0:3], 0 offset:244
	v_cmp_lt_u32_e64 s[4:5], 30, v0
	s_waitcnt vmcnt(0)
	ds_write_b64 v72, v[70:71]
	s_waitcnt lgkmcnt(0)
	; wave barrier
	s_waitcnt lgkmcnt(0)
	s_and_saveexec_b64 s[10:11], s[4:5]
	s_cbranch_execz .LBB33_26
; %bb.17:
	s_andn2_b64 vcc, exec, s[8:9]
	s_cbranch_vccnz .LBB33_19
; %bb.18:
	buffer_load_dword v70, v73, s[0:3], 0 offen
	buffer_load_dword v71, v73, s[0:3], 0 offen offset:4
	ds_read_b64 v[106:107], v72
	s_waitcnt vmcnt(0) lgkmcnt(0)
	v_mul_f64 v[70:71], v[70:71], v[106:107]
	s_cbranch_execz .LBB33_20
	s_branch .LBB33_21
.LBB33_19:
                                        ; implicit-def: $vgpr70_vgpr71
.LBB33_20:
	ds_read_b64 v[70:71], v72
.LBB33_21:
	s_and_saveexec_b64 s[12:13], s[6:7]
	s_cbranch_execz .LBB33_25
; %bb.22:
	v_subrev_u32_e32 v105, 31, v0
	s_movk_i32 s14, 0x208
	s_mov_b64 s[6:7], 0
.LBB33_23:                              ; =>This Inner Loop Header: Depth=1
	buffer_load_dword v106, v104, s[0:3], 0 offen
	buffer_load_dword v107, v104, s[0:3], 0 offen offset:4
	v_mov_b32_e32 v108, s14
	ds_read_b64 v[108:109], v108
	v_add_u32_e32 v105, -1, v105
	s_add_i32 s14, s14, 8
	v_cmp_eq_u32_e32 vcc, 0, v105
	v_add_u32_e32 v104, 8, v104
	s_or_b64 s[6:7], vcc, s[6:7]
	s_waitcnt vmcnt(0) lgkmcnt(0)
	v_fmac_f64_e32 v[70:71], v[106:107], v[108:109]
	s_andn2_b64 exec, exec, s[6:7]
	s_cbranch_execnz .LBB33_23
; %bb.24:
	s_or_b64 exec, exec, s[6:7]
.LBB33_25:
	s_or_b64 exec, exec, s[12:13]
	v_mov_b32_e32 v104, 0
	ds_read_b64 v[104:105], v104 offset:240
	s_waitcnt lgkmcnt(0)
	v_mul_f64 v[70:71], v[70:71], v[104:105]
	buffer_store_dword v71, off, s[0:3], 0 offset:244
	buffer_store_dword v70, off, s[0:3], 0 offset:240
.LBB33_26:
	s_or_b64 exec, exec, s[10:11]
	buffer_load_dword v70, off, s[0:3], 0 offset:232
	buffer_load_dword v71, off, s[0:3], 0 offset:236
	v_cmp_lt_u32_e64 s[6:7], 29, v0
	s_waitcnt vmcnt(0)
	ds_write_b64 v72, v[70:71]
	s_waitcnt lgkmcnt(0)
	; wave barrier
	s_waitcnt lgkmcnt(0)
	s_and_saveexec_b64 s[10:11], s[6:7]
	s_cbranch_execz .LBB33_36
; %bb.27:
	s_andn2_b64 vcc, exec, s[8:9]
	s_cbranch_vccnz .LBB33_29
; %bb.28:
	buffer_load_dword v70, v73, s[0:3], 0 offen
	buffer_load_dword v71, v73, s[0:3], 0 offen offset:4
	ds_read_b64 v[104:105], v72
	s_waitcnt vmcnt(0) lgkmcnt(0)
	v_mul_f64 v[70:71], v[70:71], v[104:105]
	s_cbranch_execz .LBB33_30
	s_branch .LBB33_31
.LBB33_29:
                                        ; implicit-def: $vgpr70_vgpr71
.LBB33_30:
	ds_read_b64 v[70:71], v72
.LBB33_31:
	s_and_saveexec_b64 s[12:13], s[4:5]
	s_cbranch_execz .LBB33_35
; %bb.32:
	v_subrev_u32_e32 v104, 30, v0
	s_movk_i32 s14, 0x200
	s_mov_b64 s[4:5], 0
.LBB33_33:                              ; =>This Inner Loop Header: Depth=1
	buffer_load_dword v106, v103, s[0:3], 0 offen
	buffer_load_dword v107, v103, s[0:3], 0 offen offset:4
	v_mov_b32_e32 v105, s14
	ds_read_b64 v[108:109], v105
	v_add_u32_e32 v104, -1, v104
	s_add_i32 s14, s14, 8
	v_cmp_eq_u32_e32 vcc, 0, v104
	v_add_u32_e32 v103, 8, v103
	s_or_b64 s[4:5], vcc, s[4:5]
	s_waitcnt vmcnt(0) lgkmcnt(0)
	v_fmac_f64_e32 v[70:71], v[106:107], v[108:109]
	s_andn2_b64 exec, exec, s[4:5]
	s_cbranch_execnz .LBB33_33
; %bb.34:
	s_or_b64 exec, exec, s[4:5]
.LBB33_35:
	s_or_b64 exec, exec, s[12:13]
	v_mov_b32_e32 v103, 0
	ds_read_b64 v[104:105], v103 offset:232
	s_waitcnt lgkmcnt(0)
	v_mul_f64 v[70:71], v[70:71], v[104:105]
	buffer_store_dword v71, off, s[0:3], 0 offset:236
	buffer_store_dword v70, off, s[0:3], 0 offset:232
.LBB33_36:
	;; [unrolled: 58-line block ×8, first 2 shown]
	s_or_b64 exec, exec, s[10:11]
	buffer_load_dword v70, off, s[0:3], 0 offset:176
	buffer_load_dword v71, off, s[0:3], 0 offset:180
	v_cmp_lt_u32_e64 s[4:5], 22, v0
	s_waitcnt vmcnt(0)
	ds_write_b64 v72, v[70:71]
	s_waitcnt lgkmcnt(0)
	; wave barrier
	s_waitcnt lgkmcnt(0)
	s_and_saveexec_b64 s[10:11], s[4:5]
	s_cbranch_execz .LBB33_106
; %bb.97:
	s_andn2_b64 vcc, exec, s[8:9]
	s_cbranch_vccnz .LBB33_99
; %bb.98:
	buffer_load_dword v70, v73, s[0:3], 0 offen
	buffer_load_dword v71, v73, s[0:3], 0 offen offset:4
	ds_read_b64 v[98:99], v72
	s_waitcnt vmcnt(0) lgkmcnt(0)
	v_mul_f64 v[70:71], v[70:71], v[98:99]
	s_cbranch_execz .LBB33_100
	s_branch .LBB33_101
.LBB33_99:
                                        ; implicit-def: $vgpr70_vgpr71
.LBB33_100:
	ds_read_b64 v[70:71], v72
.LBB33_101:
	s_and_saveexec_b64 s[12:13], s[6:7]
	s_cbranch_execz .LBB33_105
; %bb.102:
	v_subrev_u32_e32 v97, 23, v0
	s_movk_i32 s14, 0x1c8
	s_mov_b64 s[6:7], 0
.LBB33_103:                             ; =>This Inner Loop Header: Depth=1
	buffer_load_dword v98, v96, s[0:3], 0 offen
	buffer_load_dword v99, v96, s[0:3], 0 offen offset:4
	v_mov_b32_e32 v100, s14
	ds_read_b64 v[100:101], v100
	v_add_u32_e32 v97, -1, v97
	s_add_i32 s14, s14, 8
	v_cmp_eq_u32_e32 vcc, 0, v97
	v_add_u32_e32 v96, 8, v96
	s_or_b64 s[6:7], vcc, s[6:7]
	s_waitcnt vmcnt(0) lgkmcnt(0)
	v_fmac_f64_e32 v[70:71], v[98:99], v[100:101]
	s_andn2_b64 exec, exec, s[6:7]
	s_cbranch_execnz .LBB33_103
; %bb.104:
	s_or_b64 exec, exec, s[6:7]
.LBB33_105:
	s_or_b64 exec, exec, s[12:13]
	v_mov_b32_e32 v96, 0
	ds_read_b64 v[96:97], v96 offset:176
	s_waitcnt lgkmcnt(0)
	v_mul_f64 v[70:71], v[70:71], v[96:97]
	buffer_store_dword v71, off, s[0:3], 0 offset:180
	buffer_store_dword v70, off, s[0:3], 0 offset:176
.LBB33_106:
	s_or_b64 exec, exec, s[10:11]
	buffer_load_dword v70, off, s[0:3], 0 offset:168
	buffer_load_dword v71, off, s[0:3], 0 offset:172
	v_cmp_lt_u32_e64 s[6:7], 21, v0
	s_waitcnt vmcnt(0)
	ds_write_b64 v72, v[70:71]
	s_waitcnt lgkmcnt(0)
	; wave barrier
	s_waitcnt lgkmcnt(0)
	s_and_saveexec_b64 s[10:11], s[6:7]
	s_cbranch_execz .LBB33_116
; %bb.107:
	s_andn2_b64 vcc, exec, s[8:9]
	s_cbranch_vccnz .LBB33_109
; %bb.108:
	buffer_load_dword v70, v73, s[0:3], 0 offen
	buffer_load_dword v71, v73, s[0:3], 0 offen offset:4
	ds_read_b64 v[96:97], v72
	s_waitcnt vmcnt(0) lgkmcnt(0)
	v_mul_f64 v[70:71], v[70:71], v[96:97]
	s_cbranch_execz .LBB33_110
	s_branch .LBB33_111
.LBB33_109:
                                        ; implicit-def: $vgpr70_vgpr71
.LBB33_110:
	ds_read_b64 v[70:71], v72
.LBB33_111:
	s_and_saveexec_b64 s[12:13], s[4:5]
	s_cbranch_execz .LBB33_115
; %bb.112:
	v_subrev_u32_e32 v96, 22, v0
	s_movk_i32 s14, 0x1c0
	s_mov_b64 s[4:5], 0
.LBB33_113:                             ; =>This Inner Loop Header: Depth=1
	buffer_load_dword v98, v95, s[0:3], 0 offen
	buffer_load_dword v99, v95, s[0:3], 0 offen offset:4
	v_mov_b32_e32 v97, s14
	ds_read_b64 v[100:101], v97
	v_add_u32_e32 v96, -1, v96
	s_add_i32 s14, s14, 8
	v_cmp_eq_u32_e32 vcc, 0, v96
	v_add_u32_e32 v95, 8, v95
	s_or_b64 s[4:5], vcc, s[4:5]
	s_waitcnt vmcnt(0) lgkmcnt(0)
	v_fmac_f64_e32 v[70:71], v[98:99], v[100:101]
	s_andn2_b64 exec, exec, s[4:5]
	s_cbranch_execnz .LBB33_113
; %bb.114:
	s_or_b64 exec, exec, s[4:5]
.LBB33_115:
	s_or_b64 exec, exec, s[12:13]
	v_mov_b32_e32 v95, 0
	ds_read_b64 v[96:97], v95 offset:168
	s_waitcnt lgkmcnt(0)
	v_mul_f64 v[70:71], v[70:71], v[96:97]
	buffer_store_dword v71, off, s[0:3], 0 offset:172
	buffer_store_dword v70, off, s[0:3], 0 offset:168
.LBB33_116:
	;; [unrolled: 58-line block ×7, first 2 shown]
	s_or_b64 exec, exec, s[10:11]
	buffer_load_dword v70, off, s[0:3], 0 offset:120
	buffer_load_dword v71, off, s[0:3], 0 offset:124
	v_cmp_lt_u32_e64 s[6:7], 15, v0
	s_waitcnt vmcnt(0)
	ds_write_b64 v72, v[70:71]
	s_waitcnt lgkmcnt(0)
	; wave barrier
	s_waitcnt lgkmcnt(0)
	s_and_saveexec_b64 s[10:11], s[6:7]
	s_cbranch_execz .LBB33_176
; %bb.167:
	s_andn2_b64 vcc, exec, s[8:9]
	s_cbranch_vccnz .LBB33_169
; %bb.168:
	buffer_load_dword v70, v73, s[0:3], 0 offen
	buffer_load_dword v71, v73, s[0:3], 0 offen offset:4
	ds_read_b64 v[90:91], v72
	s_waitcnt vmcnt(0) lgkmcnt(0)
	v_mul_f64 v[70:71], v[70:71], v[90:91]
	s_cbranch_execz .LBB33_170
	s_branch .LBB33_171
.LBB33_169:
                                        ; implicit-def: $vgpr70_vgpr71
.LBB33_170:
	ds_read_b64 v[70:71], v72
.LBB33_171:
	s_and_saveexec_b64 s[12:13], s[4:5]
	s_cbranch_execz .LBB33_175
; %bb.172:
	v_add_u32_e32 v90, -16, v0
	s_movk_i32 s14, 0x190
	s_mov_b64 s[4:5], 0
.LBB33_173:                             ; =>This Inner Loop Header: Depth=1
	buffer_load_dword v92, v89, s[0:3], 0 offen
	buffer_load_dword v93, v89, s[0:3], 0 offen offset:4
	v_mov_b32_e32 v91, s14
	ds_read_b64 v[94:95], v91
	v_add_u32_e32 v90, -1, v90
	s_add_i32 s14, s14, 8
	v_cmp_eq_u32_e32 vcc, 0, v90
	v_add_u32_e32 v89, 8, v89
	s_or_b64 s[4:5], vcc, s[4:5]
	s_waitcnt vmcnt(0) lgkmcnt(0)
	v_fmac_f64_e32 v[70:71], v[92:93], v[94:95]
	s_andn2_b64 exec, exec, s[4:5]
	s_cbranch_execnz .LBB33_173
; %bb.174:
	s_or_b64 exec, exec, s[4:5]
.LBB33_175:
	s_or_b64 exec, exec, s[12:13]
	v_mov_b32_e32 v89, 0
	ds_read_b64 v[90:91], v89 offset:120
	s_waitcnt lgkmcnt(0)
	v_mul_f64 v[70:71], v[70:71], v[90:91]
	buffer_store_dword v71, off, s[0:3], 0 offset:124
	buffer_store_dword v70, off, s[0:3], 0 offset:120
.LBB33_176:
	s_or_b64 exec, exec, s[10:11]
	buffer_load_dword v70, off, s[0:3], 0 offset:112
	buffer_load_dword v71, off, s[0:3], 0 offset:116
	v_cmp_lt_u32_e64 s[4:5], 14, v0
	s_waitcnt vmcnt(0)
	ds_write_b64 v72, v[70:71]
	s_waitcnt lgkmcnt(0)
	; wave barrier
	s_waitcnt lgkmcnt(0)
	s_and_saveexec_b64 s[10:11], s[4:5]
	s_cbranch_execz .LBB33_186
; %bb.177:
	s_andn2_b64 vcc, exec, s[8:9]
	s_cbranch_vccnz .LBB33_179
; %bb.178:
	buffer_load_dword v70, v73, s[0:3], 0 offen
	buffer_load_dword v71, v73, s[0:3], 0 offen offset:4
	ds_read_b64 v[90:91], v72
	s_waitcnt vmcnt(0) lgkmcnt(0)
	v_mul_f64 v[70:71], v[70:71], v[90:91]
	s_cbranch_execz .LBB33_180
	s_branch .LBB33_181
.LBB33_179:
                                        ; implicit-def: $vgpr70_vgpr71
.LBB33_180:
	ds_read_b64 v[70:71], v72
.LBB33_181:
	s_and_saveexec_b64 s[12:13], s[6:7]
	s_cbranch_execz .LBB33_185
; %bb.182:
	v_add_u32_e32 v89, -15, v0
	s_movk_i32 s14, 0x188
	s_mov_b64 s[6:7], 0
.LBB33_183:                             ; =>This Inner Loop Header: Depth=1
	buffer_load_dword v90, v88, s[0:3], 0 offen
	buffer_load_dword v91, v88, s[0:3], 0 offen offset:4
	v_mov_b32_e32 v92, s14
	ds_read_b64 v[92:93], v92
	v_add_u32_e32 v89, -1, v89
	s_add_i32 s14, s14, 8
	v_cmp_eq_u32_e32 vcc, 0, v89
	v_add_u32_e32 v88, 8, v88
	s_or_b64 s[6:7], vcc, s[6:7]
	s_waitcnt vmcnt(0) lgkmcnt(0)
	v_fmac_f64_e32 v[70:71], v[90:91], v[92:93]
	s_andn2_b64 exec, exec, s[6:7]
	s_cbranch_execnz .LBB33_183
; %bb.184:
	s_or_b64 exec, exec, s[6:7]
.LBB33_185:
	s_or_b64 exec, exec, s[12:13]
	v_mov_b32_e32 v88, 0
	ds_read_b64 v[88:89], v88 offset:112
	s_waitcnt lgkmcnt(0)
	v_mul_f64 v[70:71], v[70:71], v[88:89]
	buffer_store_dword v71, off, s[0:3], 0 offset:116
	buffer_store_dword v70, off, s[0:3], 0 offset:112
.LBB33_186:
	;; [unrolled: 58-line block ×15, first 2 shown]
	s_or_b64 exec, exec, s[10:11]
	buffer_load_dword v70, off, s[0:3], 0
	buffer_load_dword v71, off, s[0:3], 0 offset:4
	v_cmp_ne_u32_e32 vcc, 0, v0
	s_waitcnt vmcnt(0)
	ds_write_b64 v72, v[70:71]
	s_waitcnt lgkmcnt(0)
	; wave barrier
	s_waitcnt lgkmcnt(0)
	s_and_saveexec_b64 s[4:5], vcc
	s_cbranch_execz .LBB33_326
; %bb.317:
	s_andn2_b64 vcc, exec, s[8:9]
	s_cbranch_vccnz .LBB33_319
; %bb.318:
	buffer_load_dword v70, v73, s[0:3], 0 offen
	buffer_load_dword v71, v73, s[0:3], 0 offen offset:4
	ds_read_b64 v[76:77], v72
	s_waitcnt vmcnt(0) lgkmcnt(0)
	v_mul_f64 v[70:71], v[70:71], v[76:77]
	s_cbranch_execz .LBB33_320
	s_branch .LBB33_321
.LBB33_319:
                                        ; implicit-def: $vgpr70_vgpr71
.LBB33_320:
	ds_read_b64 v[70:71], v72
.LBB33_321:
	s_and_saveexec_b64 s[10:11], s[6:7]
	s_cbranch_execz .LBB33_325
; %bb.322:
	v_add_u32_e32 v75, -1, v0
	s_movk_i32 s12, 0x118
	s_mov_b64 s[6:7], 0
.LBB33_323:                             ; =>This Inner Loop Header: Depth=1
	buffer_load_dword v76, v74, s[0:3], 0 offen
	buffer_load_dword v77, v74, s[0:3], 0 offen offset:4
	v_mov_b32_e32 v78, s12
	ds_read_b64 v[78:79], v78
	v_add_u32_e32 v75, -1, v75
	s_add_i32 s12, s12, 8
	v_cmp_eq_u32_e32 vcc, 0, v75
	v_add_u32_e32 v74, 8, v74
	s_or_b64 s[6:7], vcc, s[6:7]
	s_waitcnt vmcnt(0) lgkmcnt(0)
	v_fmac_f64_e32 v[70:71], v[76:77], v[78:79]
	s_andn2_b64 exec, exec, s[6:7]
	s_cbranch_execnz .LBB33_323
; %bb.324:
	s_or_b64 exec, exec, s[6:7]
.LBB33_325:
	s_or_b64 exec, exec, s[10:11]
	v_mov_b32_e32 v74, 0
	ds_read_b64 v[74:75], v74
	s_waitcnt lgkmcnt(0)
	v_mul_f64 v[70:71], v[70:71], v[74:75]
	buffer_store_dword v71, off, s[0:3], 0 offset:4
	buffer_store_dword v70, off, s[0:3], 0
.LBB33_326:
	s_or_b64 exec, exec, s[4:5]
	s_mov_b64 s[4:5], 0
.LBB33_327:
	s_and_b64 vcc, exec, s[4:5]
	s_cbranch_vccz .LBB33_651
; %bb.328:
	buffer_load_dword v70, off, s[0:3], 0 offset:8
	buffer_load_dword v71, off, s[0:3], 0 offset:12
	v_cmp_eq_u32_e64 s[6:7], 0, v0
	s_waitcnt vmcnt(0)
	ds_write_b64 v72, v[70:71]
	s_waitcnt lgkmcnt(0)
	; wave barrier
	s_waitcnt lgkmcnt(0)
	s_and_saveexec_b64 s[4:5], s[6:7]
	s_cbranch_execz .LBB33_334
; %bb.329:
	s_and_b64 vcc, exec, s[8:9]
	s_cbranch_vccz .LBB33_331
; %bb.330:
	buffer_load_dword v70, v73, s[0:3], 0 offen
	buffer_load_dword v71, v73, s[0:3], 0 offen offset:4
	ds_read_b64 v[74:75], v72
	s_waitcnt vmcnt(0) lgkmcnt(0)
	v_mul_f64 v[70:71], v[70:71], v[74:75]
	s_cbranch_execz .LBB33_332
	s_branch .LBB33_333
.LBB33_331:
                                        ; implicit-def: $vgpr70_vgpr71
.LBB33_332:
	ds_read_b64 v[70:71], v72
.LBB33_333:
	v_mov_b32_e32 v74, 0
	ds_read_b64 v[74:75], v74 offset:8
	s_waitcnt lgkmcnt(0)
	v_mul_f64 v[70:71], v[70:71], v[74:75]
	buffer_store_dword v71, off, s[0:3], 0 offset:12
	buffer_store_dword v70, off, s[0:3], 0 offset:8
.LBB33_334:
	s_or_b64 exec, exec, s[4:5]
	buffer_load_dword v70, off, s[0:3], 0 offset:16
	buffer_load_dword v71, off, s[0:3], 0 offset:20
	v_cndmask_b32_e64 v74, 0, 1, s[8:9]
	v_cmp_gt_u32_e32 vcc, 2, v0
	v_cmp_ne_u32_e64 s[4:5], 1, v74
	s_waitcnt vmcnt(0)
	ds_write_b64 v72, v[70:71]
	s_waitcnt lgkmcnt(0)
	; wave barrier
	s_waitcnt lgkmcnt(0)
	s_and_saveexec_b64 s[8:9], vcc
	s_cbranch_execz .LBB33_342
; %bb.335:
	s_and_b64 vcc, exec, s[4:5]
	s_cbranch_vccnz .LBB33_337
; %bb.336:
	buffer_load_dword v70, v73, s[0:3], 0 offen
	buffer_load_dword v71, v73, s[0:3], 0 offen offset:4
	ds_read_b64 v[74:75], v72
	s_waitcnt vmcnt(0) lgkmcnt(0)
	v_mul_f64 v[70:71], v[70:71], v[74:75]
	s_cbranch_execz .LBB33_338
	s_branch .LBB33_339
.LBB33_337:
                                        ; implicit-def: $vgpr70_vgpr71
.LBB33_338:
	ds_read_b64 v[70:71], v72
.LBB33_339:
	s_and_saveexec_b64 s[10:11], s[6:7]
	s_cbranch_execz .LBB33_341
; %bb.340:
	buffer_load_dword v74, v73, s[0:3], 0 offen offset:8
	buffer_load_dword v75, v73, s[0:3], 0 offen offset:12
	ds_read_b64 v[76:77], v72 offset:8
	s_waitcnt vmcnt(0) lgkmcnt(0)
	v_fmac_f64_e32 v[70:71], v[74:75], v[76:77]
.LBB33_341:
	s_or_b64 exec, exec, s[10:11]
	v_mov_b32_e32 v74, 0
	ds_read_b64 v[74:75], v74 offset:16
	s_waitcnt lgkmcnt(0)
	v_mul_f64 v[70:71], v[70:71], v[74:75]
	buffer_store_dword v71, off, s[0:3], 0 offset:20
	buffer_store_dword v70, off, s[0:3], 0 offset:16
.LBB33_342:
	s_or_b64 exec, exec, s[8:9]
	buffer_load_dword v70, off, s[0:3], 0 offset:24
	buffer_load_dword v71, off, s[0:3], 0 offset:28
	v_cmp_gt_u32_e32 vcc, 3, v0
	s_waitcnt vmcnt(0)
	ds_write_b64 v72, v[70:71]
	s_waitcnt lgkmcnt(0)
	; wave barrier
	s_waitcnt lgkmcnt(0)
	s_and_saveexec_b64 s[8:9], vcc
	s_cbranch_execz .LBB33_350
; %bb.343:
	s_and_b64 vcc, exec, s[4:5]
	s_cbranch_vccnz .LBB33_345
; %bb.344:
	buffer_load_dword v70, v73, s[0:3], 0 offen
	buffer_load_dword v71, v73, s[0:3], 0 offen offset:4
	ds_read_b64 v[74:75], v72
	s_waitcnt vmcnt(0) lgkmcnt(0)
	v_mul_f64 v[70:71], v[70:71], v[74:75]
	s_cbranch_execz .LBB33_346
	s_branch .LBB33_347
.LBB33_345:
                                        ; implicit-def: $vgpr70_vgpr71
.LBB33_346:
	ds_read_b64 v[70:71], v72
.LBB33_347:
	v_cmp_ne_u32_e32 vcc, 2, v0
	s_and_saveexec_b64 s[10:11], vcc
	s_cbranch_execz .LBB33_349
; %bb.348:
	buffer_load_dword v75, v73, s[0:3], 0 offen offset:12
	buffer_load_dword v76, off, s[0:3], 0 offset:16
	buffer_load_dword v74, v73, s[0:3], 0 offen offset:8
	buffer_load_dword v77, off, s[0:3], 0 offset:20
	v_mov_b32_e32 v80, 0
	ds_read_b64 v[78:79], v72 offset:8
	ds_read_b64 v[80:81], v80 offset:288
	s_waitcnt vmcnt(1) lgkmcnt(1)
	v_fmac_f64_e32 v[70:71], v[74:75], v[78:79]
	s_waitcnt vmcnt(0) lgkmcnt(0)
	v_fma_f64 v[74:75], v[76:77], v[80:81], v[70:71]
	v_cndmask_b32_e64 v71, v71, v75, s[6:7]
	v_cndmask_b32_e64 v70, v70, v74, s[6:7]
.LBB33_349:
	s_or_b64 exec, exec, s[10:11]
	v_mov_b32_e32 v74, 0
	ds_read_b64 v[74:75], v74 offset:24
	s_waitcnt lgkmcnt(0)
	v_mul_f64 v[70:71], v[70:71], v[74:75]
	buffer_store_dword v71, off, s[0:3], 0 offset:28
	buffer_store_dword v70, off, s[0:3], 0 offset:24
.LBB33_350:
	s_or_b64 exec, exec, s[8:9]
	buffer_load_dword v70, off, s[0:3], 0 offset:32
	buffer_load_dword v71, off, s[0:3], 0 offset:36
	v_cmp_gt_u32_e32 vcc, 4, v0
	s_waitcnt vmcnt(0)
	ds_write_b64 v72, v[70:71]
	s_waitcnt lgkmcnt(0)
	; wave barrier
	s_waitcnt lgkmcnt(0)
	s_and_saveexec_b64 s[6:7], vcc
	s_cbranch_execz .LBB33_360
; %bb.351:
	s_and_b64 vcc, exec, s[4:5]
	s_cbranch_vccnz .LBB33_353
; %bb.352:
	buffer_load_dword v70, v73, s[0:3], 0 offen
	buffer_load_dword v71, v73, s[0:3], 0 offen offset:4
	ds_read_b64 v[74:75], v72
	s_waitcnt vmcnt(0) lgkmcnt(0)
	v_mul_f64 v[70:71], v[70:71], v[74:75]
	s_cbranch_execz .LBB33_354
	s_branch .LBB33_355
.LBB33_353:
                                        ; implicit-def: $vgpr70_vgpr71
.LBB33_354:
	ds_read_b64 v[70:71], v72
.LBB33_355:
	v_cmp_ne_u32_e32 vcc, 3, v0
	s_and_saveexec_b64 s[8:9], vcc
	s_cbranch_execz .LBB33_359
; %bb.356:
	v_mov_b32_e32 v75, 0
	v_add_u32_e32 v74, 0x118, v1
	v_add3_u32 v75, v1, v75, 8
	s_mov_b64 s[10:11], 0
	v_mov_b32_e32 v76, v0
.LBB33_357:                             ; =>This Inner Loop Header: Depth=1
	buffer_load_dword v78, v75, s[0:3], 0 offen
	buffer_load_dword v79, v75, s[0:3], 0 offen offset:4
	ds_read_b64 v[80:81], v74
	v_add_u32_e32 v76, 1, v76
	v_cmp_lt_u32_e32 vcc, 2, v76
	v_add_u32_e32 v74, 8, v74
	v_add_u32_e32 v75, 8, v75
	s_or_b64 s[10:11], vcc, s[10:11]
	s_waitcnt vmcnt(0) lgkmcnt(0)
	v_fmac_f64_e32 v[70:71], v[78:79], v[80:81]
	s_andn2_b64 exec, exec, s[10:11]
	s_cbranch_execnz .LBB33_357
; %bb.358:
	s_or_b64 exec, exec, s[10:11]
.LBB33_359:
	s_or_b64 exec, exec, s[8:9]
	v_mov_b32_e32 v74, 0
	ds_read_b64 v[74:75], v74 offset:32
	s_waitcnt lgkmcnt(0)
	v_mul_f64 v[70:71], v[70:71], v[74:75]
	buffer_store_dword v71, off, s[0:3], 0 offset:36
	buffer_store_dword v70, off, s[0:3], 0 offset:32
.LBB33_360:
	s_or_b64 exec, exec, s[6:7]
	buffer_load_dword v70, off, s[0:3], 0 offset:40
	buffer_load_dword v71, off, s[0:3], 0 offset:44
	v_cmp_gt_u32_e32 vcc, 5, v0
	s_waitcnt vmcnt(0)
	ds_write_b64 v72, v[70:71]
	s_waitcnt lgkmcnt(0)
	; wave barrier
	s_waitcnt lgkmcnt(0)
	s_and_saveexec_b64 s[6:7], vcc
	s_cbranch_execz .LBB33_370
; %bb.361:
	s_and_b64 vcc, exec, s[4:5]
	s_cbranch_vccnz .LBB33_363
; %bb.362:
	buffer_load_dword v70, v73, s[0:3], 0 offen
	buffer_load_dword v71, v73, s[0:3], 0 offen offset:4
	ds_read_b64 v[74:75], v72
	s_waitcnt vmcnt(0) lgkmcnt(0)
	v_mul_f64 v[70:71], v[70:71], v[74:75]
	s_cbranch_execz .LBB33_364
	s_branch .LBB33_365
.LBB33_363:
                                        ; implicit-def: $vgpr70_vgpr71
.LBB33_364:
	ds_read_b64 v[70:71], v72
.LBB33_365:
	v_cmp_ne_u32_e32 vcc, 4, v0
	s_and_saveexec_b64 s[8:9], vcc
	s_cbranch_execz .LBB33_369
; %bb.366:
	v_mov_b32_e32 v75, 0
	v_add_u32_e32 v74, 0x118, v1
	v_add3_u32 v75, v1, v75, 8
	s_mov_b64 s[10:11], 0
	v_mov_b32_e32 v76, v0
.LBB33_367:                             ; =>This Inner Loop Header: Depth=1
	buffer_load_dword v78, v75, s[0:3], 0 offen
	buffer_load_dword v79, v75, s[0:3], 0 offen offset:4
	ds_read_b64 v[80:81], v74
	v_add_u32_e32 v76, 1, v76
	v_cmp_lt_u32_e32 vcc, 3, v76
	v_add_u32_e32 v74, 8, v74
	v_add_u32_e32 v75, 8, v75
	s_or_b64 s[10:11], vcc, s[10:11]
	s_waitcnt vmcnt(0) lgkmcnt(0)
	v_fmac_f64_e32 v[70:71], v[78:79], v[80:81]
	s_andn2_b64 exec, exec, s[10:11]
	s_cbranch_execnz .LBB33_367
; %bb.368:
	s_or_b64 exec, exec, s[10:11]
.LBB33_369:
	s_or_b64 exec, exec, s[8:9]
	v_mov_b32_e32 v74, 0
	ds_read_b64 v[74:75], v74 offset:40
	s_waitcnt lgkmcnt(0)
	v_mul_f64 v[70:71], v[70:71], v[74:75]
	buffer_store_dword v71, off, s[0:3], 0 offset:44
	buffer_store_dword v70, off, s[0:3], 0 offset:40
.LBB33_370:
	;; [unrolled: 60-line block ×28, first 2 shown]
	s_or_b64 exec, exec, s[6:7]
	buffer_load_dword v70, off, s[0:3], 0 offset:256
	buffer_load_dword v71, off, s[0:3], 0 offset:260
	v_cmp_gt_u32_e64 s[6:7], 32, v0
	s_waitcnt vmcnt(0)
	ds_write_b64 v72, v[70:71]
	s_waitcnt lgkmcnt(0)
	; wave barrier
	s_waitcnt lgkmcnt(0)
	s_and_saveexec_b64 s[8:9], s[6:7]
	s_cbranch_execz .LBB33_640
; %bb.631:
	s_and_b64 vcc, exec, s[4:5]
	s_cbranch_vccnz .LBB33_633
; %bb.632:
	buffer_load_dword v70, v73, s[0:3], 0 offen
	buffer_load_dword v71, v73, s[0:3], 0 offen offset:4
	ds_read_b64 v[74:75], v72
	s_waitcnt vmcnt(0) lgkmcnt(0)
	v_mul_f64 v[70:71], v[70:71], v[74:75]
	s_cbranch_execz .LBB33_634
	s_branch .LBB33_635
.LBB33_633:
                                        ; implicit-def: $vgpr70_vgpr71
.LBB33_634:
	ds_read_b64 v[70:71], v72
.LBB33_635:
	v_cmp_ne_u32_e32 vcc, 31, v0
	s_and_saveexec_b64 s[10:11], vcc
	s_cbranch_execz .LBB33_639
; %bb.636:
	v_mov_b32_e32 v75, 0
	v_add_u32_e32 v74, 0x118, v1
	v_add3_u32 v75, v1, v75, 8
	s_mov_b64 s[12:13], 0
	v_mov_b32_e32 v76, v0
.LBB33_637:                             ; =>This Inner Loop Header: Depth=1
	buffer_load_dword v78, v75, s[0:3], 0 offen
	buffer_load_dword v79, v75, s[0:3], 0 offen offset:4
	ds_read_b64 v[80:81], v74
	v_add_u32_e32 v76, 1, v76
	v_cmp_lt_u32_e32 vcc, 30, v76
	v_add_u32_e32 v74, 8, v74
	v_add_u32_e32 v75, 8, v75
	s_or_b64 s[12:13], vcc, s[12:13]
	s_waitcnt vmcnt(0) lgkmcnt(0)
	v_fmac_f64_e32 v[70:71], v[78:79], v[80:81]
	s_andn2_b64 exec, exec, s[12:13]
	s_cbranch_execnz .LBB33_637
; %bb.638:
	s_or_b64 exec, exec, s[12:13]
.LBB33_639:
	s_or_b64 exec, exec, s[10:11]
	v_mov_b32_e32 v74, 0
	ds_read_b64 v[74:75], v74 offset:256
	s_waitcnt lgkmcnt(0)
	v_mul_f64 v[70:71], v[70:71], v[74:75]
	buffer_store_dword v71, off, s[0:3], 0 offset:260
	buffer_store_dword v70, off, s[0:3], 0 offset:256
.LBB33_640:
	s_or_b64 exec, exec, s[8:9]
	buffer_load_dword v70, off, s[0:3], 0 offset:264
	buffer_load_dword v71, off, s[0:3], 0 offset:268
	v_cmp_ne_u32_e32 vcc, 33, v0
	s_waitcnt vmcnt(0)
	ds_write_b64 v72, v[70:71]
	s_waitcnt lgkmcnt(0)
	; wave barrier
	s_waitcnt lgkmcnt(0)
	s_and_saveexec_b64 s[8:9], vcc
	s_cbranch_execz .LBB33_650
; %bb.641:
	s_and_b64 vcc, exec, s[4:5]
	s_cbranch_vccnz .LBB33_643
; %bb.642:
	buffer_load_dword v70, v73, s[0:3], 0 offen
	buffer_load_dword v71, v73, s[0:3], 0 offen offset:4
	ds_read_b64 v[74:75], v72
	s_waitcnt vmcnt(0) lgkmcnt(0)
	v_mul_f64 v[70:71], v[70:71], v[74:75]
	s_cbranch_execz .LBB33_644
	s_branch .LBB33_645
.LBB33_643:
                                        ; implicit-def: $vgpr70_vgpr71
.LBB33_644:
	ds_read_b64 v[70:71], v72
.LBB33_645:
	s_and_saveexec_b64 s[4:5], s[6:7]
	s_cbranch_execz .LBB33_649
; %bb.646:
	v_mov_b32_e32 v73, 0
	v_add_u32_e32 v72, 0x118, v1
	v_add3_u32 v1, v1, v73, 8
	s_mov_b64 s[6:7], 0
.LBB33_647:                             ; =>This Inner Loop Header: Depth=1
	buffer_load_dword v74, v1, s[0:3], 0 offen
	buffer_load_dword v75, v1, s[0:3], 0 offen offset:4
	ds_read_b64 v[76:77], v72
	v_add_u32_e32 v0, 1, v0
	v_cmp_lt_u32_e32 vcc, 31, v0
	v_add_u32_e32 v72, 8, v72
	v_add_u32_e32 v1, 8, v1
	s_or_b64 s[6:7], vcc, s[6:7]
	s_waitcnt vmcnt(0) lgkmcnt(0)
	v_fmac_f64_e32 v[70:71], v[74:75], v[76:77]
	s_andn2_b64 exec, exec, s[6:7]
	s_cbranch_execnz .LBB33_647
; %bb.648:
	s_or_b64 exec, exec, s[6:7]
.LBB33_649:
	s_or_b64 exec, exec, s[4:5]
	v_mov_b32_e32 v0, 0
	ds_read_b64 v[0:1], v0 offset:264
	s_waitcnt lgkmcnt(0)
	v_mul_f64 v[0:1], v[70:71], v[0:1]
	buffer_store_dword v1, off, s[0:3], 0 offset:268
	buffer_store_dword v0, off, s[0:3], 0 offset:264
.LBB33_650:
	s_or_b64 exec, exec, s[8:9]
.LBB33_651:
	buffer_load_dword v0, off, s[0:3], 0
	buffer_load_dword v1, off, s[0:3], 0 offset:4
	buffer_load_dword v70, off, s[0:3], 0 offset:8
	;; [unrolled: 1-line block ×15, first 2 shown]
	s_waitcnt vmcnt(14)
	global_store_dwordx2 v[66:67], v[0:1], off
	s_waitcnt vmcnt(13)
	global_store_dwordx2 v[68:69], v[70:71], off
	;; [unrolled: 2-line block ×8, first 2 shown]
	buffer_load_dword v1, off, s[0:3], 0 offset:68
	buffer_load_dword v0, off, s[0:3], 0 offset:64
	s_waitcnt vmcnt(0)
	global_store_dwordx2 v[20:21], v[0:1], off
	buffer_load_dword v0, off, s[0:3], 0 offset:72
	s_nop 0
	buffer_load_dword v1, off, s[0:3], 0 offset:76
	s_waitcnt vmcnt(0)
	global_store_dwordx2 v[12:13], v[0:1], off
	buffer_load_dword v0, off, s[0:3], 0 offset:80
	s_nop 0
	;; [unrolled: 5-line block ×25, first 2 shown]
	buffer_load_dword v1, off, s[0:3], 0 offset:268
	s_waitcnt vmcnt(0)
	global_store_dwordx2 v[54:55], v[0:1], off
.LBB33_652:
	s_endpgm
	.section	.rodata,"a",@progbits
	.p2align	6, 0x0
	.amdhsa_kernel _ZN9rocsolver6v33100L18trti2_kernel_smallILi34EdPdEEv13rocblas_fill_17rocblas_diagonal_T1_iil
		.amdhsa_group_segment_fixed_size 544
		.amdhsa_private_segment_fixed_size 288
		.amdhsa_kernarg_size 32
		.amdhsa_user_sgpr_count 8
		.amdhsa_user_sgpr_private_segment_buffer 1
		.amdhsa_user_sgpr_dispatch_ptr 0
		.amdhsa_user_sgpr_queue_ptr 0
		.amdhsa_user_sgpr_kernarg_segment_ptr 1
		.amdhsa_user_sgpr_dispatch_id 0
		.amdhsa_user_sgpr_flat_scratch_init 1
		.amdhsa_user_sgpr_kernarg_preload_length 0
		.amdhsa_user_sgpr_kernarg_preload_offset 0
		.amdhsa_user_sgpr_private_segment_size 0
		.amdhsa_uses_dynamic_stack 0
		.amdhsa_system_sgpr_private_segment_wavefront_offset 1
		.amdhsa_system_sgpr_workgroup_id_x 1
		.amdhsa_system_sgpr_workgroup_id_y 0
		.amdhsa_system_sgpr_workgroup_id_z 0
		.amdhsa_system_sgpr_workgroup_info 0
		.amdhsa_system_vgpr_workitem_id 0
		.amdhsa_next_free_vgpr 124
		.amdhsa_next_free_sgpr 20
		.amdhsa_accum_offset 124
		.amdhsa_reserve_vcc 1
		.amdhsa_reserve_flat_scratch 0
		.amdhsa_float_round_mode_32 0
		.amdhsa_float_round_mode_16_64 0
		.amdhsa_float_denorm_mode_32 3
		.amdhsa_float_denorm_mode_16_64 3
		.amdhsa_dx10_clamp 1
		.amdhsa_ieee_mode 1
		.amdhsa_fp16_overflow 0
		.amdhsa_tg_split 0
		.amdhsa_exception_fp_ieee_invalid_op 0
		.amdhsa_exception_fp_denorm_src 0
		.amdhsa_exception_fp_ieee_div_zero 0
		.amdhsa_exception_fp_ieee_overflow 0
		.amdhsa_exception_fp_ieee_underflow 0
		.amdhsa_exception_fp_ieee_inexact 0
		.amdhsa_exception_int_div_zero 0
	.end_amdhsa_kernel
	.section	.text._ZN9rocsolver6v33100L18trti2_kernel_smallILi34EdPdEEv13rocblas_fill_17rocblas_diagonal_T1_iil,"axG",@progbits,_ZN9rocsolver6v33100L18trti2_kernel_smallILi34EdPdEEv13rocblas_fill_17rocblas_diagonal_T1_iil,comdat
.Lfunc_end33:
	.size	_ZN9rocsolver6v33100L18trti2_kernel_smallILi34EdPdEEv13rocblas_fill_17rocblas_diagonal_T1_iil, .Lfunc_end33-_ZN9rocsolver6v33100L18trti2_kernel_smallILi34EdPdEEv13rocblas_fill_17rocblas_diagonal_T1_iil
                                        ; -- End function
	.section	.AMDGPU.csdata,"",@progbits
; Kernel info:
; codeLenInByte = 19792
; NumSgprs: 24
; NumVgprs: 124
; NumAgprs: 0
; TotalNumVgprs: 124
; ScratchSize: 288
; MemoryBound: 0
; FloatMode: 240
; IeeeMode: 1
; LDSByteSize: 544 bytes/workgroup (compile time only)
; SGPRBlocks: 2
; VGPRBlocks: 15
; NumSGPRsForWavesPerEU: 24
; NumVGPRsForWavesPerEU: 124
; AccumOffset: 124
; Occupancy: 4
; WaveLimiterHint : 0
; COMPUTE_PGM_RSRC2:SCRATCH_EN: 1
; COMPUTE_PGM_RSRC2:USER_SGPR: 8
; COMPUTE_PGM_RSRC2:TRAP_HANDLER: 0
; COMPUTE_PGM_RSRC2:TGID_X_EN: 1
; COMPUTE_PGM_RSRC2:TGID_Y_EN: 0
; COMPUTE_PGM_RSRC2:TGID_Z_EN: 0
; COMPUTE_PGM_RSRC2:TIDIG_COMP_CNT: 0
; COMPUTE_PGM_RSRC3_GFX90A:ACCUM_OFFSET: 30
; COMPUTE_PGM_RSRC3_GFX90A:TG_SPLIT: 0
	.section	.text._ZN9rocsolver6v33100L18trti2_kernel_smallILi35EdPdEEv13rocblas_fill_17rocblas_diagonal_T1_iil,"axG",@progbits,_ZN9rocsolver6v33100L18trti2_kernel_smallILi35EdPdEEv13rocblas_fill_17rocblas_diagonal_T1_iil,comdat
	.globl	_ZN9rocsolver6v33100L18trti2_kernel_smallILi35EdPdEEv13rocblas_fill_17rocblas_diagonal_T1_iil ; -- Begin function _ZN9rocsolver6v33100L18trti2_kernel_smallILi35EdPdEEv13rocblas_fill_17rocblas_diagonal_T1_iil
	.p2align	8
	.type	_ZN9rocsolver6v33100L18trti2_kernel_smallILi35EdPdEEv13rocblas_fill_17rocblas_diagonal_T1_iil,@function
_ZN9rocsolver6v33100L18trti2_kernel_smallILi35EdPdEEv13rocblas_fill_17rocblas_diagonal_T1_iil: ; @_ZN9rocsolver6v33100L18trti2_kernel_smallILi35EdPdEEv13rocblas_fill_17rocblas_diagonal_T1_iil
; %bb.0:
	s_add_u32 s0, s0, s9
	s_addc_u32 s1, s1, 0
	v_cmp_gt_u32_e32 vcc, 35, v0
	s_and_saveexec_b64 s[6:7], vcc
	s_cbranch_execz .LBB34_672
; %bb.1:
	s_load_dwordx8 s[12:19], s[4:5], 0x0
	s_ashr_i32 s6, s8, 31
	v_lshlrev_b32_e32 v1, 3, v0
	v_mov_b32_e32 v106, 0
	s_waitcnt lgkmcnt(0)
	s_mul_i32 s7, s8, s19
	s_mul_hi_u32 s9, s8, s18
	s_add_i32 s7, s9, s7
	s_mul_i32 s6, s6, s18
	s_add_i32 s7, s7, s6
	s_mul_i32 s6, s8, s18
	s_ashr_i32 s5, s16, 31
	s_lshl_b64 s[6:7], s[6:7], 3
	s_mov_b32 s4, s16
	s_add_u32 s6, s14, s6
	s_addc_u32 s7, s15, s7
	s_lshl_b64 s[4:5], s[4:5], 3
	s_add_u32 s4, s6, s4
	s_addc_u32 s5, s7, s5
	v_mov_b32_e32 v3, s5
	v_add_co_u32_e32 v2, vcc, s4, v1
	s_ashr_i32 s7, s17, 31
	s_mov_b32 s6, s17
	v_addc_co_u32_e32 v3, vcc, 0, v3, vcc
	s_lshl_b64 s[6:7], s[6:7], 3
	v_add_co_u32_e32 v4, vcc, s6, v2
	s_add_i32 s6, s17, s17
	v_add_u32_e32 v8, s6, v0
	v_mov_b32_e32 v5, s7
	v_ashrrev_i32_e32 v9, 31, v8
	v_addc_co_u32_e32 v5, vcc, v3, v5, vcc
	v_lshlrev_b64 v[6:7], 3, v[8:9]
	v_add_u32_e32 v10, s17, v8
	v_mov_b32_e32 v9, s5
	v_add_co_u32_e32 v6, vcc, s4, v6
	v_ashrrev_i32_e32 v11, 31, v10
	v_addc_co_u32_e32 v7, vcc, v9, v7, vcc
	v_lshlrev_b64 v[8:9], 3, v[10:11]
	v_add_u32_e32 v12, s17, v10
	v_mov_b32_e32 v11, s5
	v_add_co_u32_e32 v8, vcc, s4, v8
	v_ashrrev_i32_e32 v13, 31, v12
	v_addc_co_u32_e32 v9, vcc, v11, v9, vcc
	v_lshlrev_b64 v[10:11], 3, v[12:13]
	v_mov_b32_e32 v13, s5
	v_add_co_u32_e32 v10, vcc, s4, v10
	global_load_dwordx2 v[20:21], v1, s[4:5]
	v_addc_co_u32_e32 v11, vcc, v13, v11, vcc
	global_load_dwordx2 v[28:29], v[4:5], off
	global_load_dwordx2 v[26:27], v[6:7], off
	;; [unrolled: 1-line block ×4, first 2 shown]
	v_add_u32_e32 v14, s17, v12
	v_ashrrev_i32_e32 v15, 31, v14
	v_lshlrev_b64 v[12:13], 3, v[14:15]
	v_add_u32_e32 v16, s17, v14
	v_mov_b32_e32 v15, s5
	v_add_co_u32_e32 v12, vcc, s4, v12
	v_ashrrev_i32_e32 v17, 31, v16
	v_addc_co_u32_e32 v13, vcc, v15, v13, vcc
	v_lshlrev_b64 v[14:15], 3, v[16:17]
	v_mov_b32_e32 v17, s5
	v_add_co_u32_e32 v14, vcc, s4, v14
	v_add_u32_e32 v18, s17, v16
	v_addc_co_u32_e32 v15, vcc, v17, v15, vcc
	global_load_dwordx2 v[32:33], v[12:13], off
	global_load_dwordx2 v[30:31], v[14:15], off
	v_ashrrev_i32_e32 v19, 31, v18
	v_lshlrev_b64 v[16:17], 3, v[18:19]
	v_mov_b32_e32 v19, s5
	v_add_co_u32_e32 v16, vcc, s4, v16
	v_addc_co_u32_e32 v17, vcc, v19, v17, vcc
	global_load_dwordx2 v[34:35], v[16:17], off
	v_add_u32_e32 v36, s17, v18
	v_add_u32_e32 v38, s17, v36
	;; [unrolled: 1-line block ×27, first 2 shown]
	v_ashrrev_i32_e32 v19, 31, v18
	v_lshlrev_b64 v[18:19], 3, v[18:19]
	v_mov_b32_e32 v37, s5
	v_add_co_u32_e32 v18, vcc, s4, v18
	v_addc_co_u32_e32 v19, vcc, v37, v19, vcc
	global_load_dwordx2 v[76:77], v[18:19], off
	v_ashrrev_i32_e32 v37, 31, v36
	s_waitcnt vmcnt(8)
	buffer_store_dword v21, off, s[0:3], 0 offset:4
	buffer_store_dword v20, off, s[0:3], 0
	s_waitcnt vmcnt(9)
	buffer_store_dword v29, off, s[0:3], 0 offset:12
	buffer_store_dword v28, off, s[0:3], 0 offset:8
	s_waitcnt vmcnt(10)
	buffer_store_dword v27, off, s[0:3], 0 offset:20
	buffer_store_dword v26, off, s[0:3], 0 offset:16
	;; [unrolled: 3-line block ×4, first 2 shown]
	v_lshlrev_b64 v[20:21], 3, v[36:37]
	v_mov_b32_e32 v22, s5
	v_add_co_u32_e32 v70, vcc, s4, v20
	v_ashrrev_i32_e32 v39, 31, v38
	v_addc_co_u32_e32 v71, vcc, v22, v21, vcc
	v_lshlrev_b64 v[20:21], 3, v[38:39]
	v_add_co_u32_e32 v68, vcc, s4, v20
	v_ashrrev_i32_e32 v41, 31, v40
	v_addc_co_u32_e32 v69, vcc, v22, v21, vcc
	v_lshlrev_b64 v[20:21], 3, v[40:41]
	;; [unrolled: 4-line block ×5, first 2 shown]
	v_mov_b32_e32 v24, s5
	v_add_co_u32_e32 v54, vcc, s4, v22
	v_ashrrev_i32_e32 v49, 31, v48
	v_addc_co_u32_e32 v55, vcc, v24, v23, vcc
	v_lshlrev_b64 v[22:23], 3, v[48:49]
	v_add_co_u32_e32 v40, vcc, s4, v22
	v_ashrrev_i32_e32 v51, 31, v50
	v_addc_co_u32_e32 v41, vcc, v24, v23, vcc
	v_lshlrev_b64 v[22:23], 3, v[50:51]
	global_load_dwordx2 v[100:101], v[70:71], off
	s_waitcnt vmcnt(14)
	buffer_store_dword v33, off, s[0:3], 0 offset:44
	buffer_store_dword v32, off, s[0:3], 0 offset:40
	s_waitcnt vmcnt(15)
	buffer_store_dword v31, off, s[0:3], 0 offset:52
	buffer_store_dword v30, off, s[0:3], 0 offset:48
	;; [unrolled: 3-line block ×3, first 2 shown]
	v_add_co_u32_e32 v30, vcc, s4, v22
	v_ashrrev_i32_e32 v57, 31, v56
	v_addc_co_u32_e32 v31, vcc, v24, v23, vcc
	v_lshlrev_b64 v[22:23], 3, v[56:57]
	v_add_co_u32_e32 v22, vcc, s4, v22
	v_ashrrev_i32_e32 v59, 31, v58
	v_addc_co_u32_e32 v23, vcc, v24, v23, vcc
	v_lshlrev_b64 v[24:25], 3, v[58:59]
	v_mov_b32_e32 v26, s5
	v_add_co_u32_e32 v56, vcc, s4, v24
	v_ashrrev_i32_e32 v61, 31, v60
	v_addc_co_u32_e32 v57, vcc, v26, v25, vcc
	v_lshlrev_b64 v[24:25], 3, v[60:61]
	v_add_co_u32_e32 v42, vcc, s4, v24
	v_ashrrev_i32_e32 v63, 31, v62
	v_addc_co_u32_e32 v43, vcc, v26, v25, vcc
	v_lshlrev_b64 v[24:25], 3, v[62:63]
	v_add_co_u32_e32 v32, vcc, s4, v24
	v_ashrrev_i32_e32 v65, 31, v64
	v_addc_co_u32_e32 v33, vcc, v26, v25, vcc
	v_lshlrev_b64 v[24:25], 3, v[64:65]
	v_add_co_u32_e32 v24, vcc, s4, v24
	v_ashrrev_i32_e32 v73, 31, v72
	v_addc_co_u32_e32 v25, vcc, v26, v25, vcc
	v_lshlrev_b64 v[26:27], 3, v[72:73]
	v_mov_b32_e32 v28, s5
	v_add_co_u32_e32 v58, vcc, s4, v26
	v_ashrrev_i32_e32 v75, 31, v74
	v_addc_co_u32_e32 v59, vcc, v28, v27, vcc
	v_lshlrev_b64 v[26:27], 3, v[74:75]
	v_add_co_u32_e32 v44, vcc, s4, v26
	v_ashrrev_i32_e32 v79, 31, v78
	v_addc_co_u32_e32 v45, vcc, v28, v27, vcc
	v_lshlrev_b64 v[26:27], 3, v[78:79]
	;; [unrolled: 17-line block ×3, first 2 shown]
	v_mov_b32_e32 v37, s5
	v_add_co_u32_e32 v36, vcc, s4, v28
	v_ashrrev_i32_e32 v89, 31, v88
	v_addc_co_u32_e32 v37, vcc, v37, v29, vcc
	v_lshlrev_b64 v[28:29], 3, v[88:89]
	v_mov_b32_e32 v38, s5
	v_add_co_u32_e32 v28, vcc, s4, v28
	v_ashrrev_i32_e32 v91, 31, v90
	v_addc_co_u32_e32 v29, vcc, v38, v29, vcc
	v_lshlrev_b64 v[38:39], 3, v[90:91]
	;; [unrolled: 5-line block ×3, first 2 shown]
	v_mov_b32_e32 v49, s5
	v_add_co_u32_e32 v48, vcc, s4, v38
	global_load_dwordx2 v[102:103], v[68:69], off
	global_load_dwordx2 v[104:105], v[66:67], off
	;; [unrolled: 1-line block ×20, first 2 shown]
	v_addc_co_u32_e32 v49, vcc, v49, v39, vcc
	global_load_dwordx2 v[90:91], v[62:63], off
	global_load_dwordx2 v[92:93], v[48:49], off
	v_ashrrev_i32_e32 v95, 31, v94
	v_lshlrev_b64 v[38:39], 3, v[94:95]
	v_mov_b32_e32 v50, s5
	v_add_co_u32_e32 v64, vcc, s4, v38
	v_ashrrev_i32_e32 v97, 31, v96
	v_addc_co_u32_e32 v65, vcc, v50, v39, vcc
	v_lshlrev_b64 v[38:39], 3, v[96:97]
	v_mov_b32_e32 v51, s5
	v_add_co_u32_e32 v50, vcc, s4, v38
	v_ashrrev_i32_e32 v99, 31, v98
	v_addc_co_u32_e32 v51, vcc, v51, v39, vcc
	v_lshlrev_b64 v[38:39], 3, v[98:99]
	v_mov_b32_e32 v94, s5
	v_add_co_u32_e32 v38, vcc, s4, v38
	v_addc_co_u32_e32 v39, vcc, v94, v39, vcc
	global_load_dwordx2 v[94:95], v[64:65], off
	global_load_dwordx2 v[96:97], v[50:51], off
	global_load_dwordx2 v[98:99], v[38:39], off
	s_cmpk_lg_i32 s13, 0x84
	s_waitcnt vmcnt(31)
	buffer_store_dword v101, off, s[0:3], 0 offset:68
	buffer_store_dword v100, off, s[0:3], 0 offset:64
	s_waitcnt vmcnt(26)
	buffer_store_dword v102, off, s[0:3], 0 offset:72
	buffer_store_dword v103, off, s[0:3], 0 offset:76
	;; [unrolled: 3-line block ×26, first 2 shown]
	buffer_store_dword v76, off, s[0:3], 0 offset:272
	buffer_store_dword v77, off, s[0:3], 0 offset:276
	v_mov_b32_e32 v72, 0
	s_cselect_b64 s[8:9], -1, 0
	s_cmpk_eq_i32 s13, 0x84
	v_mov_b32_e32 v73, 0xbff00000
	s_cbranch_scc1 .LBB34_3
; %bb.2:
	v_lshl_add_u32 v82, v0, 3, v106
	buffer_load_dword v72, v82, s[0:3], 0 offen
	buffer_load_dword v73, v82, s[0:3], 0 offen offset:4
	s_waitcnt vmcnt(0)
	v_div_scale_f64 v[74:75], s[4:5], v[72:73], v[72:73], 1.0
	v_rcp_f64_e32 v[76:77], v[74:75]
	v_div_scale_f64 v[78:79], vcc, 1.0, v[72:73], 1.0
	v_fma_f64 v[80:81], -v[74:75], v[76:77], 1.0
	v_fmac_f64_e32 v[76:77], v[76:77], v[80:81]
	v_fma_f64 v[80:81], -v[74:75], v[76:77], 1.0
	v_fmac_f64_e32 v[76:77], v[76:77], v[80:81]
	v_mul_f64 v[80:81], v[78:79], v[76:77]
	v_fma_f64 v[74:75], -v[74:75], v[80:81], v[78:79]
	v_div_fmas_f64 v[74:75], v[74:75], v[76:77], v[80:81]
	v_div_fixup_f64 v[72:73], v[74:75], v[72:73], 1.0
	buffer_store_dword v72, v82, s[0:3], 0 offen
	buffer_store_dword v73, v82, s[0:3], 0 offen offset:4
	v_xor_b32_e32 v73, 0x80000000, v73
.LBB34_3:
	s_cmpk_eq_i32 s12, 0x79
	v_add_u32_e32 v74, 0x120, v1
	v_add_u32_e32 v75, 0, v1
	s_mov_b64 s[4:5], -1
	ds_write_b64 v1, v[72:73]
	s_cbranch_scc1 .LBB34_337
; %bb.4:
	buffer_load_dword v72, off, s[0:3], 0 offset:264
	buffer_load_dword v73, off, s[0:3], 0 offset:268
	v_cmp_eq_u32_e64 s[4:5], 34, v0
	s_waitcnt vmcnt(0)
	ds_write_b64 v74, v[72:73]
	s_waitcnt lgkmcnt(0)
	; wave barrier
	s_waitcnt lgkmcnt(0)
	s_and_saveexec_b64 s[6:7], s[4:5]
	s_cbranch_execz .LBB34_10
; %bb.5:
	s_and_b64 vcc, exec, s[8:9]
	s_cbranch_vccz .LBB34_7
; %bb.6:
	buffer_load_dword v72, v75, s[0:3], 0 offen
	buffer_load_dword v73, v75, s[0:3], 0 offen offset:4
	ds_read_b64 v[76:77], v74
	s_waitcnt vmcnt(0) lgkmcnt(0)
	v_mul_f64 v[72:73], v[72:73], v[76:77]
	s_cbranch_execz .LBB34_8
	s_branch .LBB34_9
.LBB34_7:
                                        ; implicit-def: $vgpr72_vgpr73
.LBB34_8:
	ds_read_b64 v[72:73], v74
.LBB34_9:
	v_mov_b32_e32 v76, 0
	ds_read_b64 v[76:77], v76 offset:264
	s_waitcnt lgkmcnt(0)
	v_mul_f64 v[72:73], v[72:73], v[76:77]
	buffer_store_dword v73, off, s[0:3], 0 offset:268
	buffer_store_dword v72, off, s[0:3], 0 offset:264
.LBB34_10:
	s_or_b64 exec, exec, s[6:7]
	buffer_load_dword v72, off, s[0:3], 0 offset:256
	buffer_load_dword v73, off, s[0:3], 0 offset:260
	v_or_b32_e32 v76, 8, v106
	v_add_u32_e32 v77, 16, v106
	v_add_u32_e32 v78, 24, v106
	;; [unrolled: 1-line block ×31, first 2 shown]
	v_cmp_lt_u32_e64 s[6:7], 32, v0
	s_waitcnt vmcnt(0)
	ds_write_b64 v74, v[72:73]
	s_waitcnt lgkmcnt(0)
	; wave barrier
	s_waitcnt lgkmcnt(0)
	s_and_saveexec_b64 s[10:11], s[6:7]
	s_cbranch_execz .LBB34_16
; %bb.11:
	s_andn2_b64 vcc, exec, s[8:9]
	s_cbranch_vccnz .LBB34_13
; %bb.12:
	buffer_load_dword v72, v75, s[0:3], 0 offen
	buffer_load_dword v73, v75, s[0:3], 0 offen offset:4
	ds_read_b64 v[108:109], v74
	s_waitcnt vmcnt(0) lgkmcnt(0)
	v_mul_f64 v[72:73], v[72:73], v[108:109]
	s_cbranch_execz .LBB34_14
	s_branch .LBB34_15
.LBB34_13:
                                        ; implicit-def: $vgpr72_vgpr73
.LBB34_14:
	ds_read_b64 v[72:73], v74
.LBB34_15:
	buffer_load_dword v112, off, s[0:3], 0 offset:264
	buffer_load_dword v113, off, s[0:3], 0 offset:268
	v_mov_b32_e32 v108, 0
	ds_read2_b64 v[108:111], v108 offset0:32 offset1:69
	s_waitcnt vmcnt(0) lgkmcnt(0)
	v_fma_f64 v[110:111], v[112:113], v[110:111], v[72:73]
	v_cndmask_b32_e64 v73, v73, v111, s[4:5]
	v_cndmask_b32_e64 v72, v72, v110, s[4:5]
	v_mul_f64 v[72:73], v[72:73], v[108:109]
	buffer_store_dword v73, off, s[0:3], 0 offset:260
	buffer_store_dword v72, off, s[0:3], 0 offset:256
.LBB34_16:
	s_or_b64 exec, exec, s[10:11]
	buffer_load_dword v72, off, s[0:3], 0 offset:248
	buffer_load_dword v73, off, s[0:3], 0 offset:252
	v_cmp_lt_u32_e64 s[4:5], 31, v0
	s_waitcnt vmcnt(0)
	ds_write_b64 v74, v[72:73]
	s_waitcnt lgkmcnt(0)
	; wave barrier
	s_waitcnt lgkmcnt(0)
	s_and_saveexec_b64 s[10:11], s[4:5]
	s_cbranch_execz .LBB34_26
; %bb.17:
	s_andn2_b64 vcc, exec, s[8:9]
	s_cbranch_vccnz .LBB34_19
; %bb.18:
	buffer_load_dword v72, v75, s[0:3], 0 offen
	buffer_load_dword v73, v75, s[0:3], 0 offen offset:4
	ds_read_b64 v[108:109], v74
	s_waitcnt vmcnt(0) lgkmcnt(0)
	v_mul_f64 v[72:73], v[72:73], v[108:109]
	s_cbranch_execz .LBB34_20
	s_branch .LBB34_21
.LBB34_19:
                                        ; implicit-def: $vgpr72_vgpr73
.LBB34_20:
	ds_read_b64 v[72:73], v74
.LBB34_21:
	s_and_saveexec_b64 s[12:13], s[6:7]
	s_cbranch_execz .LBB34_25
; %bb.22:
	v_subrev_u32_e32 v108, 32, v0
	s_movk_i32 s14, 0x220
	s_mov_b64 s[6:7], 0
.LBB34_23:                              ; =>This Inner Loop Header: Depth=1
	buffer_load_dword v110, v106, s[0:3], 0 offen
	buffer_load_dword v111, v106, s[0:3], 0 offen offset:4
	v_mov_b32_e32 v109, s14
	ds_read_b64 v[112:113], v109
	v_add_u32_e32 v108, -1, v108
	s_add_i32 s14, s14, 8
	v_cmp_eq_u32_e32 vcc, 0, v108
	v_add_u32_e32 v106, 8, v106
	s_or_b64 s[6:7], vcc, s[6:7]
	s_waitcnt vmcnt(0) lgkmcnt(0)
	v_fmac_f64_e32 v[72:73], v[110:111], v[112:113]
	s_andn2_b64 exec, exec, s[6:7]
	s_cbranch_execnz .LBB34_23
; %bb.24:
	s_or_b64 exec, exec, s[6:7]
.LBB34_25:
	s_or_b64 exec, exec, s[12:13]
	v_mov_b32_e32 v106, 0
	ds_read_b64 v[108:109], v106 offset:248
	s_waitcnt lgkmcnt(0)
	v_mul_f64 v[72:73], v[72:73], v[108:109]
	buffer_store_dword v73, off, s[0:3], 0 offset:252
	buffer_store_dword v72, off, s[0:3], 0 offset:248
.LBB34_26:
	s_or_b64 exec, exec, s[10:11]
	buffer_load_dword v72, off, s[0:3], 0 offset:240
	buffer_load_dword v73, off, s[0:3], 0 offset:244
	v_cmp_lt_u32_e64 s[6:7], 30, v0
	s_waitcnt vmcnt(0)
	ds_write_b64 v74, v[72:73]
	s_waitcnt lgkmcnt(0)
	; wave barrier
	s_waitcnt lgkmcnt(0)
	s_and_saveexec_b64 s[10:11], s[6:7]
	s_cbranch_execz .LBB34_36
; %bb.27:
	s_andn2_b64 vcc, exec, s[8:9]
	s_cbranch_vccnz .LBB34_29
; %bb.28:
	buffer_load_dword v72, v75, s[0:3], 0 offen
	buffer_load_dword v73, v75, s[0:3], 0 offen offset:4
	ds_read_b64 v[108:109], v74
	s_waitcnt vmcnt(0) lgkmcnt(0)
	v_mul_f64 v[72:73], v[72:73], v[108:109]
	s_cbranch_execz .LBB34_30
	s_branch .LBB34_31
.LBB34_29:
                                        ; implicit-def: $vgpr72_vgpr73
.LBB34_30:
	ds_read_b64 v[72:73], v74
.LBB34_31:
	s_and_saveexec_b64 s[12:13], s[4:5]
	s_cbranch_execz .LBB34_35
; %bb.32:
	v_subrev_u32_e32 v106, 31, v0
	s_movk_i32 s14, 0x218
	s_mov_b64 s[4:5], 0
.LBB34_33:                              ; =>This Inner Loop Header: Depth=1
	buffer_load_dword v108, v107, s[0:3], 0 offen
	buffer_load_dword v109, v107, s[0:3], 0 offen offset:4
	v_mov_b32_e32 v110, s14
	ds_read_b64 v[110:111], v110
	v_add_u32_e32 v106, -1, v106
	s_add_i32 s14, s14, 8
	v_cmp_eq_u32_e32 vcc, 0, v106
	v_add_u32_e32 v107, 8, v107
	s_or_b64 s[4:5], vcc, s[4:5]
	s_waitcnt vmcnt(0) lgkmcnt(0)
	v_fmac_f64_e32 v[72:73], v[108:109], v[110:111]
	s_andn2_b64 exec, exec, s[4:5]
	s_cbranch_execnz .LBB34_33
; %bb.34:
	s_or_b64 exec, exec, s[4:5]
.LBB34_35:
	s_or_b64 exec, exec, s[12:13]
	v_mov_b32_e32 v106, 0
	ds_read_b64 v[106:107], v106 offset:240
	s_waitcnt lgkmcnt(0)
	v_mul_f64 v[72:73], v[72:73], v[106:107]
	buffer_store_dword v73, off, s[0:3], 0 offset:244
	buffer_store_dword v72, off, s[0:3], 0 offset:240
.LBB34_36:
	;; [unrolled: 58-line block ×8, first 2 shown]
	s_or_b64 exec, exec, s[10:11]
	buffer_load_dword v72, off, s[0:3], 0 offset:184
	buffer_load_dword v73, off, s[0:3], 0 offset:188
	v_cmp_lt_u32_e64 s[4:5], 23, v0
	s_waitcnt vmcnt(0)
	ds_write_b64 v74, v[72:73]
	s_waitcnt lgkmcnt(0)
	; wave barrier
	s_waitcnt lgkmcnt(0)
	s_and_saveexec_b64 s[10:11], s[4:5]
	s_cbranch_execz .LBB34_106
; %bb.97:
	s_andn2_b64 vcc, exec, s[8:9]
	s_cbranch_vccnz .LBB34_99
; %bb.98:
	buffer_load_dword v72, v75, s[0:3], 0 offen
	buffer_load_dword v73, v75, s[0:3], 0 offen offset:4
	ds_read_b64 v[100:101], v74
	s_waitcnt vmcnt(0) lgkmcnt(0)
	v_mul_f64 v[72:73], v[72:73], v[100:101]
	s_cbranch_execz .LBB34_100
	s_branch .LBB34_101
.LBB34_99:
                                        ; implicit-def: $vgpr72_vgpr73
.LBB34_100:
	ds_read_b64 v[72:73], v74
.LBB34_101:
	s_and_saveexec_b64 s[12:13], s[6:7]
	s_cbranch_execz .LBB34_105
; %bb.102:
	v_subrev_u32_e32 v100, 24, v0
	s_movk_i32 s14, 0x1e0
	s_mov_b64 s[6:7], 0
.LBB34_103:                             ; =>This Inner Loop Header: Depth=1
	buffer_load_dword v102, v99, s[0:3], 0 offen
	buffer_load_dword v103, v99, s[0:3], 0 offen offset:4
	v_mov_b32_e32 v101, s14
	ds_read_b64 v[104:105], v101
	v_add_u32_e32 v100, -1, v100
	s_add_i32 s14, s14, 8
	v_cmp_eq_u32_e32 vcc, 0, v100
	v_add_u32_e32 v99, 8, v99
	s_or_b64 s[6:7], vcc, s[6:7]
	s_waitcnt vmcnt(0) lgkmcnt(0)
	v_fmac_f64_e32 v[72:73], v[102:103], v[104:105]
	s_andn2_b64 exec, exec, s[6:7]
	s_cbranch_execnz .LBB34_103
; %bb.104:
	s_or_b64 exec, exec, s[6:7]
.LBB34_105:
	s_or_b64 exec, exec, s[12:13]
	v_mov_b32_e32 v99, 0
	ds_read_b64 v[100:101], v99 offset:184
	s_waitcnt lgkmcnt(0)
	v_mul_f64 v[72:73], v[72:73], v[100:101]
	buffer_store_dword v73, off, s[0:3], 0 offset:188
	buffer_store_dword v72, off, s[0:3], 0 offset:184
.LBB34_106:
	s_or_b64 exec, exec, s[10:11]
	buffer_load_dword v72, off, s[0:3], 0 offset:176
	buffer_load_dword v73, off, s[0:3], 0 offset:180
	v_cmp_lt_u32_e64 s[6:7], 22, v0
	s_waitcnt vmcnt(0)
	ds_write_b64 v74, v[72:73]
	s_waitcnt lgkmcnt(0)
	; wave barrier
	s_waitcnt lgkmcnt(0)
	s_and_saveexec_b64 s[10:11], s[6:7]
	s_cbranch_execz .LBB34_116
; %bb.107:
	s_andn2_b64 vcc, exec, s[8:9]
	s_cbranch_vccnz .LBB34_109
; %bb.108:
	buffer_load_dword v72, v75, s[0:3], 0 offen
	buffer_load_dword v73, v75, s[0:3], 0 offen offset:4
	ds_read_b64 v[100:101], v74
	s_waitcnt vmcnt(0) lgkmcnt(0)
	v_mul_f64 v[72:73], v[72:73], v[100:101]
	s_cbranch_execz .LBB34_110
	s_branch .LBB34_111
.LBB34_109:
                                        ; implicit-def: $vgpr72_vgpr73
.LBB34_110:
	ds_read_b64 v[72:73], v74
.LBB34_111:
	s_and_saveexec_b64 s[12:13], s[4:5]
	s_cbranch_execz .LBB34_115
; %bb.112:
	v_subrev_u32_e32 v99, 23, v0
	s_movk_i32 s14, 0x1d8
	s_mov_b64 s[4:5], 0
.LBB34_113:                             ; =>This Inner Loop Header: Depth=1
	buffer_load_dword v100, v98, s[0:3], 0 offen
	buffer_load_dword v101, v98, s[0:3], 0 offen offset:4
	v_mov_b32_e32 v102, s14
	ds_read_b64 v[102:103], v102
	v_add_u32_e32 v99, -1, v99
	s_add_i32 s14, s14, 8
	v_cmp_eq_u32_e32 vcc, 0, v99
	v_add_u32_e32 v98, 8, v98
	s_or_b64 s[4:5], vcc, s[4:5]
	s_waitcnt vmcnt(0) lgkmcnt(0)
	v_fmac_f64_e32 v[72:73], v[100:101], v[102:103]
	s_andn2_b64 exec, exec, s[4:5]
	s_cbranch_execnz .LBB34_113
; %bb.114:
	s_or_b64 exec, exec, s[4:5]
.LBB34_115:
	s_or_b64 exec, exec, s[12:13]
	v_mov_b32_e32 v98, 0
	ds_read_b64 v[98:99], v98 offset:176
	s_waitcnt lgkmcnt(0)
	v_mul_f64 v[72:73], v[72:73], v[98:99]
	buffer_store_dword v73, off, s[0:3], 0 offset:180
	buffer_store_dword v72, off, s[0:3], 0 offset:176
.LBB34_116:
	;; [unrolled: 58-line block ×8, first 2 shown]
	s_or_b64 exec, exec, s[10:11]
	buffer_load_dword v72, off, s[0:3], 0 offset:120
	buffer_load_dword v73, off, s[0:3], 0 offset:124
	v_cmp_lt_u32_e64 s[4:5], 15, v0
	s_waitcnt vmcnt(0)
	ds_write_b64 v74, v[72:73]
	s_waitcnt lgkmcnt(0)
	; wave barrier
	s_waitcnt lgkmcnt(0)
	s_and_saveexec_b64 s[10:11], s[4:5]
	s_cbranch_execz .LBB34_186
; %bb.177:
	s_andn2_b64 vcc, exec, s[8:9]
	s_cbranch_vccnz .LBB34_179
; %bb.178:
	buffer_load_dword v72, v75, s[0:3], 0 offen
	buffer_load_dword v73, v75, s[0:3], 0 offen offset:4
	ds_read_b64 v[92:93], v74
	s_waitcnt vmcnt(0) lgkmcnt(0)
	v_mul_f64 v[72:73], v[72:73], v[92:93]
	s_cbranch_execz .LBB34_180
	s_branch .LBB34_181
.LBB34_179:
                                        ; implicit-def: $vgpr72_vgpr73
.LBB34_180:
	ds_read_b64 v[72:73], v74
.LBB34_181:
	s_and_saveexec_b64 s[12:13], s[6:7]
	s_cbranch_execz .LBB34_185
; %bb.182:
	v_add_u32_e32 v92, -16, v0
	s_movk_i32 s14, 0x1a0
	s_mov_b64 s[6:7], 0
.LBB34_183:                             ; =>This Inner Loop Header: Depth=1
	buffer_load_dword v94, v91, s[0:3], 0 offen
	buffer_load_dword v95, v91, s[0:3], 0 offen offset:4
	v_mov_b32_e32 v93, s14
	ds_read_b64 v[96:97], v93
	v_add_u32_e32 v92, -1, v92
	s_add_i32 s14, s14, 8
	v_cmp_eq_u32_e32 vcc, 0, v92
	v_add_u32_e32 v91, 8, v91
	s_or_b64 s[6:7], vcc, s[6:7]
	s_waitcnt vmcnt(0) lgkmcnt(0)
	v_fmac_f64_e32 v[72:73], v[94:95], v[96:97]
	s_andn2_b64 exec, exec, s[6:7]
	s_cbranch_execnz .LBB34_183
; %bb.184:
	s_or_b64 exec, exec, s[6:7]
.LBB34_185:
	s_or_b64 exec, exec, s[12:13]
	v_mov_b32_e32 v91, 0
	ds_read_b64 v[92:93], v91 offset:120
	s_waitcnt lgkmcnt(0)
	v_mul_f64 v[72:73], v[72:73], v[92:93]
	buffer_store_dword v73, off, s[0:3], 0 offset:124
	buffer_store_dword v72, off, s[0:3], 0 offset:120
.LBB34_186:
	s_or_b64 exec, exec, s[10:11]
	buffer_load_dword v72, off, s[0:3], 0 offset:112
	buffer_load_dword v73, off, s[0:3], 0 offset:116
	v_cmp_lt_u32_e64 s[6:7], 14, v0
	s_waitcnt vmcnt(0)
	ds_write_b64 v74, v[72:73]
	s_waitcnt lgkmcnt(0)
	; wave barrier
	s_waitcnt lgkmcnt(0)
	s_and_saveexec_b64 s[10:11], s[6:7]
	s_cbranch_execz .LBB34_196
; %bb.187:
	s_andn2_b64 vcc, exec, s[8:9]
	s_cbranch_vccnz .LBB34_189
; %bb.188:
	buffer_load_dword v72, v75, s[0:3], 0 offen
	buffer_load_dword v73, v75, s[0:3], 0 offen offset:4
	ds_read_b64 v[92:93], v74
	s_waitcnt vmcnt(0) lgkmcnt(0)
	v_mul_f64 v[72:73], v[72:73], v[92:93]
	s_cbranch_execz .LBB34_190
	s_branch .LBB34_191
.LBB34_189:
                                        ; implicit-def: $vgpr72_vgpr73
.LBB34_190:
	ds_read_b64 v[72:73], v74
.LBB34_191:
	s_and_saveexec_b64 s[12:13], s[4:5]
	s_cbranch_execz .LBB34_195
; %bb.192:
	v_add_u32_e32 v91, -15, v0
	s_movk_i32 s14, 0x198
	s_mov_b64 s[4:5], 0
.LBB34_193:                             ; =>This Inner Loop Header: Depth=1
	buffer_load_dword v92, v90, s[0:3], 0 offen
	buffer_load_dword v93, v90, s[0:3], 0 offen offset:4
	v_mov_b32_e32 v94, s14
	ds_read_b64 v[94:95], v94
	v_add_u32_e32 v91, -1, v91
	s_add_i32 s14, s14, 8
	v_cmp_eq_u32_e32 vcc, 0, v91
	v_add_u32_e32 v90, 8, v90
	s_or_b64 s[4:5], vcc, s[4:5]
	s_waitcnt vmcnt(0) lgkmcnt(0)
	v_fmac_f64_e32 v[72:73], v[92:93], v[94:95]
	s_andn2_b64 exec, exec, s[4:5]
	s_cbranch_execnz .LBB34_193
; %bb.194:
	s_or_b64 exec, exec, s[4:5]
.LBB34_195:
	s_or_b64 exec, exec, s[12:13]
	v_mov_b32_e32 v90, 0
	ds_read_b64 v[90:91], v90 offset:112
	s_waitcnt lgkmcnt(0)
	v_mul_f64 v[72:73], v[72:73], v[90:91]
	buffer_store_dword v73, off, s[0:3], 0 offset:116
	buffer_store_dword v72, off, s[0:3], 0 offset:112
.LBB34_196:
	;; [unrolled: 58-line block ×15, first 2 shown]
	s_or_b64 exec, exec, s[10:11]
	buffer_load_dword v72, off, s[0:3], 0
	buffer_load_dword v73, off, s[0:3], 0 offset:4
	v_cmp_ne_u32_e32 vcc, 0, v0
	s_waitcnt vmcnt(0)
	ds_write_b64 v74, v[72:73]
	s_waitcnt lgkmcnt(0)
	; wave barrier
	s_waitcnt lgkmcnt(0)
	s_and_saveexec_b64 s[6:7], vcc
	s_cbranch_execz .LBB34_336
; %bb.327:
	s_andn2_b64 vcc, exec, s[8:9]
	s_cbranch_vccnz .LBB34_329
; %bb.328:
	buffer_load_dword v72, v75, s[0:3], 0 offen
	buffer_load_dword v73, v75, s[0:3], 0 offen offset:4
	ds_read_b64 v[78:79], v74
	s_waitcnt vmcnt(0) lgkmcnt(0)
	v_mul_f64 v[72:73], v[72:73], v[78:79]
	s_cbranch_execz .LBB34_330
	s_branch .LBB34_331
.LBB34_329:
                                        ; implicit-def: $vgpr72_vgpr73
.LBB34_330:
	ds_read_b64 v[72:73], v74
.LBB34_331:
	s_and_saveexec_b64 s[10:11], s[4:5]
	s_cbranch_execz .LBB34_335
; %bb.332:
	v_add_u32_e32 v77, -1, v0
	s_movk_i32 s12, 0x128
	s_mov_b64 s[4:5], 0
.LBB34_333:                             ; =>This Inner Loop Header: Depth=1
	buffer_load_dword v78, v76, s[0:3], 0 offen
	buffer_load_dword v79, v76, s[0:3], 0 offen offset:4
	v_mov_b32_e32 v80, s12
	ds_read_b64 v[80:81], v80
	v_add_u32_e32 v77, -1, v77
	s_add_i32 s12, s12, 8
	v_cmp_eq_u32_e32 vcc, 0, v77
	v_add_u32_e32 v76, 8, v76
	s_or_b64 s[4:5], vcc, s[4:5]
	s_waitcnt vmcnt(0) lgkmcnt(0)
	v_fmac_f64_e32 v[72:73], v[78:79], v[80:81]
	s_andn2_b64 exec, exec, s[4:5]
	s_cbranch_execnz .LBB34_333
; %bb.334:
	s_or_b64 exec, exec, s[4:5]
.LBB34_335:
	s_or_b64 exec, exec, s[10:11]
	v_mov_b32_e32 v76, 0
	ds_read_b64 v[76:77], v76
	s_waitcnt lgkmcnt(0)
	v_mul_f64 v[72:73], v[72:73], v[76:77]
	buffer_store_dword v73, off, s[0:3], 0 offset:4
	buffer_store_dword v72, off, s[0:3], 0
.LBB34_336:
	s_or_b64 exec, exec, s[6:7]
	s_mov_b64 s[4:5], 0
.LBB34_337:
	s_and_b64 vcc, exec, s[4:5]
	s_cbranch_vccz .LBB34_671
; %bb.338:
	buffer_load_dword v72, off, s[0:3], 0 offset:8
	buffer_load_dword v73, off, s[0:3], 0 offset:12
	v_cmp_eq_u32_e64 s[6:7], 0, v0
	s_waitcnt vmcnt(0)
	ds_write_b64 v74, v[72:73]
	s_waitcnt lgkmcnt(0)
	; wave barrier
	s_waitcnt lgkmcnt(0)
	s_and_saveexec_b64 s[4:5], s[6:7]
	s_cbranch_execz .LBB34_344
; %bb.339:
	s_and_b64 vcc, exec, s[8:9]
	s_cbranch_vccz .LBB34_341
; %bb.340:
	buffer_load_dword v72, v75, s[0:3], 0 offen
	buffer_load_dword v73, v75, s[0:3], 0 offen offset:4
	ds_read_b64 v[76:77], v74
	s_waitcnt vmcnt(0) lgkmcnt(0)
	v_mul_f64 v[72:73], v[72:73], v[76:77]
	s_cbranch_execz .LBB34_342
	s_branch .LBB34_343
.LBB34_341:
                                        ; implicit-def: $vgpr72_vgpr73
.LBB34_342:
	ds_read_b64 v[72:73], v74
.LBB34_343:
	v_mov_b32_e32 v76, 0
	ds_read_b64 v[76:77], v76 offset:8
	s_waitcnt lgkmcnt(0)
	v_mul_f64 v[72:73], v[72:73], v[76:77]
	buffer_store_dword v73, off, s[0:3], 0 offset:12
	buffer_store_dword v72, off, s[0:3], 0 offset:8
.LBB34_344:
	s_or_b64 exec, exec, s[4:5]
	buffer_load_dword v72, off, s[0:3], 0 offset:16
	buffer_load_dword v73, off, s[0:3], 0 offset:20
	v_cndmask_b32_e64 v76, 0, 1, s[8:9]
	v_cmp_gt_u32_e32 vcc, 2, v0
	v_cmp_ne_u32_e64 s[4:5], 1, v76
	s_waitcnt vmcnt(0)
	ds_write_b64 v74, v[72:73]
	s_waitcnt lgkmcnt(0)
	; wave barrier
	s_waitcnt lgkmcnt(0)
	s_and_saveexec_b64 s[8:9], vcc
	s_cbranch_execz .LBB34_352
; %bb.345:
	s_and_b64 vcc, exec, s[4:5]
	s_cbranch_vccnz .LBB34_347
; %bb.346:
	buffer_load_dword v72, v75, s[0:3], 0 offen
	buffer_load_dword v73, v75, s[0:3], 0 offen offset:4
	ds_read_b64 v[76:77], v74
	s_waitcnt vmcnt(0) lgkmcnt(0)
	v_mul_f64 v[72:73], v[72:73], v[76:77]
	s_cbranch_execz .LBB34_348
	s_branch .LBB34_349
.LBB34_347:
                                        ; implicit-def: $vgpr72_vgpr73
.LBB34_348:
	ds_read_b64 v[72:73], v74
.LBB34_349:
	s_and_saveexec_b64 s[10:11], s[6:7]
	s_cbranch_execz .LBB34_351
; %bb.350:
	buffer_load_dword v76, v75, s[0:3], 0 offen offset:8
	buffer_load_dword v77, v75, s[0:3], 0 offen offset:12
	ds_read_b64 v[78:79], v74 offset:8
	s_waitcnt vmcnt(0) lgkmcnt(0)
	v_fmac_f64_e32 v[72:73], v[76:77], v[78:79]
.LBB34_351:
	s_or_b64 exec, exec, s[10:11]
	v_mov_b32_e32 v76, 0
	ds_read_b64 v[76:77], v76 offset:16
	s_waitcnt lgkmcnt(0)
	v_mul_f64 v[72:73], v[72:73], v[76:77]
	buffer_store_dword v73, off, s[0:3], 0 offset:20
	buffer_store_dword v72, off, s[0:3], 0 offset:16
.LBB34_352:
	s_or_b64 exec, exec, s[8:9]
	buffer_load_dword v72, off, s[0:3], 0 offset:24
	buffer_load_dword v73, off, s[0:3], 0 offset:28
	v_cmp_gt_u32_e32 vcc, 3, v0
	s_waitcnt vmcnt(0)
	ds_write_b64 v74, v[72:73]
	s_waitcnt lgkmcnt(0)
	; wave barrier
	s_waitcnt lgkmcnt(0)
	s_and_saveexec_b64 s[8:9], vcc
	s_cbranch_execz .LBB34_360
; %bb.353:
	s_and_b64 vcc, exec, s[4:5]
	s_cbranch_vccnz .LBB34_355
; %bb.354:
	buffer_load_dword v72, v75, s[0:3], 0 offen
	buffer_load_dword v73, v75, s[0:3], 0 offen offset:4
	ds_read_b64 v[76:77], v74
	s_waitcnt vmcnt(0) lgkmcnt(0)
	v_mul_f64 v[72:73], v[72:73], v[76:77]
	s_cbranch_execz .LBB34_356
	s_branch .LBB34_357
.LBB34_355:
                                        ; implicit-def: $vgpr72_vgpr73
.LBB34_356:
	ds_read_b64 v[72:73], v74
.LBB34_357:
	v_cmp_ne_u32_e32 vcc, 2, v0
	s_and_saveexec_b64 s[10:11], vcc
	s_cbranch_execz .LBB34_359
; %bb.358:
	buffer_load_dword v77, v75, s[0:3], 0 offen offset:12
	buffer_load_dword v78, off, s[0:3], 0 offset:16
	buffer_load_dword v76, v75, s[0:3], 0 offen offset:8
	buffer_load_dword v79, off, s[0:3], 0 offset:20
	v_mov_b32_e32 v82, 0
	ds_read_b64 v[80:81], v74 offset:8
	ds_read_b64 v[82:83], v82 offset:304
	s_waitcnt vmcnt(1) lgkmcnt(1)
	v_fmac_f64_e32 v[72:73], v[76:77], v[80:81]
	s_waitcnt vmcnt(0) lgkmcnt(0)
	v_fma_f64 v[76:77], v[78:79], v[82:83], v[72:73]
	v_cndmask_b32_e64 v73, v73, v77, s[6:7]
	v_cndmask_b32_e64 v72, v72, v76, s[6:7]
.LBB34_359:
	s_or_b64 exec, exec, s[10:11]
	v_mov_b32_e32 v76, 0
	ds_read_b64 v[76:77], v76 offset:24
	s_waitcnt lgkmcnt(0)
	v_mul_f64 v[72:73], v[72:73], v[76:77]
	buffer_store_dword v73, off, s[0:3], 0 offset:28
	buffer_store_dword v72, off, s[0:3], 0 offset:24
.LBB34_360:
	s_or_b64 exec, exec, s[8:9]
	buffer_load_dword v72, off, s[0:3], 0 offset:32
	buffer_load_dword v73, off, s[0:3], 0 offset:36
	v_cmp_gt_u32_e32 vcc, 4, v0
	s_waitcnt vmcnt(0)
	ds_write_b64 v74, v[72:73]
	s_waitcnt lgkmcnt(0)
	; wave barrier
	s_waitcnt lgkmcnt(0)
	s_and_saveexec_b64 s[6:7], vcc
	s_cbranch_execz .LBB34_370
; %bb.361:
	s_and_b64 vcc, exec, s[4:5]
	s_cbranch_vccnz .LBB34_363
; %bb.362:
	buffer_load_dword v72, v75, s[0:3], 0 offen
	buffer_load_dword v73, v75, s[0:3], 0 offen offset:4
	ds_read_b64 v[76:77], v74
	s_waitcnt vmcnt(0) lgkmcnt(0)
	v_mul_f64 v[72:73], v[72:73], v[76:77]
	s_cbranch_execz .LBB34_364
	s_branch .LBB34_365
.LBB34_363:
                                        ; implicit-def: $vgpr72_vgpr73
.LBB34_364:
	ds_read_b64 v[72:73], v74
.LBB34_365:
	v_cmp_ne_u32_e32 vcc, 3, v0
	s_and_saveexec_b64 s[8:9], vcc
	s_cbranch_execz .LBB34_369
; %bb.366:
	v_mov_b32_e32 v77, 0
	v_add_u32_e32 v76, 0x128, v1
	v_add3_u32 v77, v1, v77, 8
	s_mov_b64 s[10:11], 0
	v_mov_b32_e32 v78, v0
.LBB34_367:                             ; =>This Inner Loop Header: Depth=1
	buffer_load_dword v80, v77, s[0:3], 0 offen
	buffer_load_dword v81, v77, s[0:3], 0 offen offset:4
	ds_read_b64 v[82:83], v76
	v_add_u32_e32 v78, 1, v78
	v_cmp_lt_u32_e32 vcc, 2, v78
	v_add_u32_e32 v76, 8, v76
	v_add_u32_e32 v77, 8, v77
	s_or_b64 s[10:11], vcc, s[10:11]
	s_waitcnt vmcnt(0) lgkmcnt(0)
	v_fmac_f64_e32 v[72:73], v[80:81], v[82:83]
	s_andn2_b64 exec, exec, s[10:11]
	s_cbranch_execnz .LBB34_367
; %bb.368:
	s_or_b64 exec, exec, s[10:11]
.LBB34_369:
	s_or_b64 exec, exec, s[8:9]
	v_mov_b32_e32 v76, 0
	ds_read_b64 v[76:77], v76 offset:32
	s_waitcnt lgkmcnt(0)
	v_mul_f64 v[72:73], v[72:73], v[76:77]
	buffer_store_dword v73, off, s[0:3], 0 offset:36
	buffer_store_dword v72, off, s[0:3], 0 offset:32
.LBB34_370:
	s_or_b64 exec, exec, s[6:7]
	buffer_load_dword v72, off, s[0:3], 0 offset:40
	buffer_load_dword v73, off, s[0:3], 0 offset:44
	v_cmp_gt_u32_e32 vcc, 5, v0
	s_waitcnt vmcnt(0)
	ds_write_b64 v74, v[72:73]
	s_waitcnt lgkmcnt(0)
	; wave barrier
	s_waitcnt lgkmcnt(0)
	s_and_saveexec_b64 s[6:7], vcc
	s_cbranch_execz .LBB34_380
; %bb.371:
	s_and_b64 vcc, exec, s[4:5]
	s_cbranch_vccnz .LBB34_373
; %bb.372:
	buffer_load_dword v72, v75, s[0:3], 0 offen
	buffer_load_dword v73, v75, s[0:3], 0 offen offset:4
	ds_read_b64 v[76:77], v74
	s_waitcnt vmcnt(0) lgkmcnt(0)
	v_mul_f64 v[72:73], v[72:73], v[76:77]
	s_cbranch_execz .LBB34_374
	s_branch .LBB34_375
.LBB34_373:
                                        ; implicit-def: $vgpr72_vgpr73
.LBB34_374:
	ds_read_b64 v[72:73], v74
.LBB34_375:
	v_cmp_ne_u32_e32 vcc, 4, v0
	s_and_saveexec_b64 s[8:9], vcc
	s_cbranch_execz .LBB34_379
; %bb.376:
	v_mov_b32_e32 v77, 0
	v_add_u32_e32 v76, 0x128, v1
	v_add3_u32 v77, v1, v77, 8
	s_mov_b64 s[10:11], 0
	v_mov_b32_e32 v78, v0
.LBB34_377:                             ; =>This Inner Loop Header: Depth=1
	buffer_load_dword v80, v77, s[0:3], 0 offen
	buffer_load_dword v81, v77, s[0:3], 0 offen offset:4
	ds_read_b64 v[82:83], v76
	v_add_u32_e32 v78, 1, v78
	v_cmp_lt_u32_e32 vcc, 3, v78
	v_add_u32_e32 v76, 8, v76
	v_add_u32_e32 v77, 8, v77
	s_or_b64 s[10:11], vcc, s[10:11]
	s_waitcnt vmcnt(0) lgkmcnt(0)
	v_fmac_f64_e32 v[72:73], v[80:81], v[82:83]
	s_andn2_b64 exec, exec, s[10:11]
	s_cbranch_execnz .LBB34_377
; %bb.378:
	s_or_b64 exec, exec, s[10:11]
.LBB34_379:
	s_or_b64 exec, exec, s[8:9]
	v_mov_b32_e32 v76, 0
	ds_read_b64 v[76:77], v76 offset:40
	s_waitcnt lgkmcnt(0)
	v_mul_f64 v[72:73], v[72:73], v[76:77]
	buffer_store_dword v73, off, s[0:3], 0 offset:44
	buffer_store_dword v72, off, s[0:3], 0 offset:40
.LBB34_380:
	s_or_b64 exec, exec, s[6:7]
	buffer_load_dword v72, off, s[0:3], 0 offset:48
	buffer_load_dword v73, off, s[0:3], 0 offset:52
	v_cmp_gt_u32_e32 vcc, 6, v0
	s_waitcnt vmcnt(0)
	ds_write_b64 v74, v[72:73]
	s_waitcnt lgkmcnt(0)
	; wave barrier
	s_waitcnt lgkmcnt(0)
	s_and_saveexec_b64 s[6:7], vcc
	s_cbranch_execz .LBB34_390
; %bb.381:
	s_and_b64 vcc, exec, s[4:5]
	s_cbranch_vccnz .LBB34_383
; %bb.382:
	buffer_load_dword v72, v75, s[0:3], 0 offen
	buffer_load_dword v73, v75, s[0:3], 0 offen offset:4
	ds_read_b64 v[76:77], v74
	s_waitcnt vmcnt(0) lgkmcnt(0)
	v_mul_f64 v[72:73], v[72:73], v[76:77]
	s_cbranch_execz .LBB34_384
	s_branch .LBB34_385
.LBB34_383:
                                        ; implicit-def: $vgpr72_vgpr73
.LBB34_384:
	ds_read_b64 v[72:73], v74
.LBB34_385:
	v_cmp_ne_u32_e32 vcc, 5, v0
	s_and_saveexec_b64 s[8:9], vcc
	s_cbranch_execz .LBB34_389
; %bb.386:
	v_mov_b32_e32 v77, 0
	v_add_u32_e32 v76, 0x128, v1
	v_add3_u32 v77, v1, v77, 8
	s_mov_b64 s[10:11], 0
	v_mov_b32_e32 v78, v0
.LBB34_387:                             ; =>This Inner Loop Header: Depth=1
	buffer_load_dword v80, v77, s[0:3], 0 offen
	buffer_load_dword v81, v77, s[0:3], 0 offen offset:4
	ds_read_b64 v[82:83], v76
	v_add_u32_e32 v78, 1, v78
	v_cmp_lt_u32_e32 vcc, 4, v78
	v_add_u32_e32 v76, 8, v76
	v_add_u32_e32 v77, 8, v77
	s_or_b64 s[10:11], vcc, s[10:11]
	s_waitcnt vmcnt(0) lgkmcnt(0)
	v_fmac_f64_e32 v[72:73], v[80:81], v[82:83]
	s_andn2_b64 exec, exec, s[10:11]
	s_cbranch_execnz .LBB34_387
; %bb.388:
	s_or_b64 exec, exec, s[10:11]
.LBB34_389:
	s_or_b64 exec, exec, s[8:9]
	v_mov_b32_e32 v76, 0
	ds_read_b64 v[76:77], v76 offset:48
	s_waitcnt lgkmcnt(0)
	v_mul_f64 v[72:73], v[72:73], v[76:77]
	buffer_store_dword v73, off, s[0:3], 0 offset:52
	buffer_store_dword v72, off, s[0:3], 0 offset:48
.LBB34_390:
	s_or_b64 exec, exec, s[6:7]
	buffer_load_dword v72, off, s[0:3], 0 offset:56
	buffer_load_dword v73, off, s[0:3], 0 offset:60
	v_cmp_gt_u32_e32 vcc, 7, v0
	s_waitcnt vmcnt(0)
	ds_write_b64 v74, v[72:73]
	s_waitcnt lgkmcnt(0)
	; wave barrier
	s_waitcnt lgkmcnt(0)
	s_and_saveexec_b64 s[6:7], vcc
	s_cbranch_execz .LBB34_400
; %bb.391:
	s_and_b64 vcc, exec, s[4:5]
	s_cbranch_vccnz .LBB34_393
; %bb.392:
	buffer_load_dword v72, v75, s[0:3], 0 offen
	buffer_load_dword v73, v75, s[0:3], 0 offen offset:4
	ds_read_b64 v[76:77], v74
	s_waitcnt vmcnt(0) lgkmcnt(0)
	v_mul_f64 v[72:73], v[72:73], v[76:77]
	s_cbranch_execz .LBB34_394
	s_branch .LBB34_395
.LBB34_393:
                                        ; implicit-def: $vgpr72_vgpr73
.LBB34_394:
	ds_read_b64 v[72:73], v74
.LBB34_395:
	v_cmp_ne_u32_e32 vcc, 6, v0
	s_and_saveexec_b64 s[8:9], vcc
	s_cbranch_execz .LBB34_399
; %bb.396:
	v_mov_b32_e32 v77, 0
	v_add_u32_e32 v76, 0x128, v1
	v_add3_u32 v77, v1, v77, 8
	s_mov_b64 s[10:11], 0
	v_mov_b32_e32 v78, v0
.LBB34_397:                             ; =>This Inner Loop Header: Depth=1
	buffer_load_dword v80, v77, s[0:3], 0 offen
	buffer_load_dword v81, v77, s[0:3], 0 offen offset:4
	ds_read_b64 v[82:83], v76
	v_add_u32_e32 v78, 1, v78
	v_cmp_lt_u32_e32 vcc, 5, v78
	v_add_u32_e32 v76, 8, v76
	v_add_u32_e32 v77, 8, v77
	s_or_b64 s[10:11], vcc, s[10:11]
	s_waitcnt vmcnt(0) lgkmcnt(0)
	v_fmac_f64_e32 v[72:73], v[80:81], v[82:83]
	s_andn2_b64 exec, exec, s[10:11]
	s_cbranch_execnz .LBB34_397
; %bb.398:
	s_or_b64 exec, exec, s[10:11]
.LBB34_399:
	s_or_b64 exec, exec, s[8:9]
	v_mov_b32_e32 v76, 0
	ds_read_b64 v[76:77], v76 offset:56
	s_waitcnt lgkmcnt(0)
	v_mul_f64 v[72:73], v[72:73], v[76:77]
	buffer_store_dword v73, off, s[0:3], 0 offset:60
	buffer_store_dword v72, off, s[0:3], 0 offset:56
.LBB34_400:
	s_or_b64 exec, exec, s[6:7]
	buffer_load_dword v72, off, s[0:3], 0 offset:64
	buffer_load_dword v73, off, s[0:3], 0 offset:68
	v_cmp_gt_u32_e32 vcc, 8, v0
	s_waitcnt vmcnt(0)
	ds_write_b64 v74, v[72:73]
	s_waitcnt lgkmcnt(0)
	; wave barrier
	s_waitcnt lgkmcnt(0)
	s_and_saveexec_b64 s[6:7], vcc
	s_cbranch_execz .LBB34_410
; %bb.401:
	s_and_b64 vcc, exec, s[4:5]
	s_cbranch_vccnz .LBB34_403
; %bb.402:
	buffer_load_dword v72, v75, s[0:3], 0 offen
	buffer_load_dword v73, v75, s[0:3], 0 offen offset:4
	ds_read_b64 v[76:77], v74
	s_waitcnt vmcnt(0) lgkmcnt(0)
	v_mul_f64 v[72:73], v[72:73], v[76:77]
	s_cbranch_execz .LBB34_404
	s_branch .LBB34_405
.LBB34_403:
                                        ; implicit-def: $vgpr72_vgpr73
.LBB34_404:
	ds_read_b64 v[72:73], v74
.LBB34_405:
	v_cmp_ne_u32_e32 vcc, 7, v0
	s_and_saveexec_b64 s[8:9], vcc
	s_cbranch_execz .LBB34_409
; %bb.406:
	v_mov_b32_e32 v77, 0
	v_add_u32_e32 v76, 0x128, v1
	v_add3_u32 v77, v1, v77, 8
	s_mov_b64 s[10:11], 0
	v_mov_b32_e32 v78, v0
.LBB34_407:                             ; =>This Inner Loop Header: Depth=1
	buffer_load_dword v80, v77, s[0:3], 0 offen
	buffer_load_dword v81, v77, s[0:3], 0 offen offset:4
	ds_read_b64 v[82:83], v76
	v_add_u32_e32 v78, 1, v78
	v_cmp_lt_u32_e32 vcc, 6, v78
	v_add_u32_e32 v76, 8, v76
	v_add_u32_e32 v77, 8, v77
	s_or_b64 s[10:11], vcc, s[10:11]
	s_waitcnt vmcnt(0) lgkmcnt(0)
	v_fmac_f64_e32 v[72:73], v[80:81], v[82:83]
	s_andn2_b64 exec, exec, s[10:11]
	s_cbranch_execnz .LBB34_407
; %bb.408:
	s_or_b64 exec, exec, s[10:11]
.LBB34_409:
	s_or_b64 exec, exec, s[8:9]
	v_mov_b32_e32 v76, 0
	ds_read_b64 v[76:77], v76 offset:64
	s_waitcnt lgkmcnt(0)
	v_mul_f64 v[72:73], v[72:73], v[76:77]
	buffer_store_dword v73, off, s[0:3], 0 offset:68
	buffer_store_dword v72, off, s[0:3], 0 offset:64
.LBB34_410:
	s_or_b64 exec, exec, s[6:7]
	buffer_load_dword v72, off, s[0:3], 0 offset:72
	buffer_load_dword v73, off, s[0:3], 0 offset:76
	v_cmp_gt_u32_e32 vcc, 9, v0
	s_waitcnt vmcnt(0)
	ds_write_b64 v74, v[72:73]
	s_waitcnt lgkmcnt(0)
	; wave barrier
	s_waitcnt lgkmcnt(0)
	s_and_saveexec_b64 s[6:7], vcc
	s_cbranch_execz .LBB34_420
; %bb.411:
	s_and_b64 vcc, exec, s[4:5]
	s_cbranch_vccnz .LBB34_413
; %bb.412:
	buffer_load_dword v72, v75, s[0:3], 0 offen
	buffer_load_dword v73, v75, s[0:3], 0 offen offset:4
	ds_read_b64 v[76:77], v74
	s_waitcnt vmcnt(0) lgkmcnt(0)
	v_mul_f64 v[72:73], v[72:73], v[76:77]
	s_cbranch_execz .LBB34_414
	s_branch .LBB34_415
.LBB34_413:
                                        ; implicit-def: $vgpr72_vgpr73
.LBB34_414:
	ds_read_b64 v[72:73], v74
.LBB34_415:
	v_cmp_ne_u32_e32 vcc, 8, v0
	s_and_saveexec_b64 s[8:9], vcc
	s_cbranch_execz .LBB34_419
; %bb.416:
	v_mov_b32_e32 v77, 0
	v_add_u32_e32 v76, 0x128, v1
	v_add3_u32 v77, v1, v77, 8
	s_mov_b64 s[10:11], 0
	v_mov_b32_e32 v78, v0
.LBB34_417:                             ; =>This Inner Loop Header: Depth=1
	buffer_load_dword v80, v77, s[0:3], 0 offen
	buffer_load_dword v81, v77, s[0:3], 0 offen offset:4
	ds_read_b64 v[82:83], v76
	v_add_u32_e32 v78, 1, v78
	v_cmp_lt_u32_e32 vcc, 7, v78
	v_add_u32_e32 v76, 8, v76
	v_add_u32_e32 v77, 8, v77
	s_or_b64 s[10:11], vcc, s[10:11]
	s_waitcnt vmcnt(0) lgkmcnt(0)
	v_fmac_f64_e32 v[72:73], v[80:81], v[82:83]
	s_andn2_b64 exec, exec, s[10:11]
	s_cbranch_execnz .LBB34_417
; %bb.418:
	s_or_b64 exec, exec, s[10:11]
.LBB34_419:
	s_or_b64 exec, exec, s[8:9]
	v_mov_b32_e32 v76, 0
	ds_read_b64 v[76:77], v76 offset:72
	s_waitcnt lgkmcnt(0)
	v_mul_f64 v[72:73], v[72:73], v[76:77]
	buffer_store_dword v73, off, s[0:3], 0 offset:76
	buffer_store_dword v72, off, s[0:3], 0 offset:72
.LBB34_420:
	s_or_b64 exec, exec, s[6:7]
	buffer_load_dword v72, off, s[0:3], 0 offset:80
	buffer_load_dword v73, off, s[0:3], 0 offset:84
	v_cmp_gt_u32_e32 vcc, 10, v0
	s_waitcnt vmcnt(0)
	ds_write_b64 v74, v[72:73]
	s_waitcnt lgkmcnt(0)
	; wave barrier
	s_waitcnt lgkmcnt(0)
	s_and_saveexec_b64 s[6:7], vcc
	s_cbranch_execz .LBB34_430
; %bb.421:
	s_and_b64 vcc, exec, s[4:5]
	s_cbranch_vccnz .LBB34_423
; %bb.422:
	buffer_load_dword v72, v75, s[0:3], 0 offen
	buffer_load_dword v73, v75, s[0:3], 0 offen offset:4
	ds_read_b64 v[76:77], v74
	s_waitcnt vmcnt(0) lgkmcnt(0)
	v_mul_f64 v[72:73], v[72:73], v[76:77]
	s_cbranch_execz .LBB34_424
	s_branch .LBB34_425
.LBB34_423:
                                        ; implicit-def: $vgpr72_vgpr73
.LBB34_424:
	ds_read_b64 v[72:73], v74
.LBB34_425:
	v_cmp_ne_u32_e32 vcc, 9, v0
	s_and_saveexec_b64 s[8:9], vcc
	s_cbranch_execz .LBB34_429
; %bb.426:
	v_mov_b32_e32 v77, 0
	v_add_u32_e32 v76, 0x128, v1
	v_add3_u32 v77, v1, v77, 8
	s_mov_b64 s[10:11], 0
	v_mov_b32_e32 v78, v0
.LBB34_427:                             ; =>This Inner Loop Header: Depth=1
	buffer_load_dword v80, v77, s[0:3], 0 offen
	buffer_load_dword v81, v77, s[0:3], 0 offen offset:4
	ds_read_b64 v[82:83], v76
	v_add_u32_e32 v78, 1, v78
	v_cmp_lt_u32_e32 vcc, 8, v78
	v_add_u32_e32 v76, 8, v76
	v_add_u32_e32 v77, 8, v77
	s_or_b64 s[10:11], vcc, s[10:11]
	s_waitcnt vmcnt(0) lgkmcnt(0)
	v_fmac_f64_e32 v[72:73], v[80:81], v[82:83]
	s_andn2_b64 exec, exec, s[10:11]
	s_cbranch_execnz .LBB34_427
; %bb.428:
	s_or_b64 exec, exec, s[10:11]
.LBB34_429:
	s_or_b64 exec, exec, s[8:9]
	v_mov_b32_e32 v76, 0
	ds_read_b64 v[76:77], v76 offset:80
	s_waitcnt lgkmcnt(0)
	v_mul_f64 v[72:73], v[72:73], v[76:77]
	buffer_store_dword v73, off, s[0:3], 0 offset:84
	buffer_store_dword v72, off, s[0:3], 0 offset:80
.LBB34_430:
	s_or_b64 exec, exec, s[6:7]
	buffer_load_dword v72, off, s[0:3], 0 offset:88
	buffer_load_dword v73, off, s[0:3], 0 offset:92
	v_cmp_gt_u32_e32 vcc, 11, v0
	s_waitcnt vmcnt(0)
	ds_write_b64 v74, v[72:73]
	s_waitcnt lgkmcnt(0)
	; wave barrier
	s_waitcnt lgkmcnt(0)
	s_and_saveexec_b64 s[6:7], vcc
	s_cbranch_execz .LBB34_440
; %bb.431:
	s_and_b64 vcc, exec, s[4:5]
	s_cbranch_vccnz .LBB34_433
; %bb.432:
	buffer_load_dword v72, v75, s[0:3], 0 offen
	buffer_load_dword v73, v75, s[0:3], 0 offen offset:4
	ds_read_b64 v[76:77], v74
	s_waitcnt vmcnt(0) lgkmcnt(0)
	v_mul_f64 v[72:73], v[72:73], v[76:77]
	s_cbranch_execz .LBB34_434
	s_branch .LBB34_435
.LBB34_433:
                                        ; implicit-def: $vgpr72_vgpr73
.LBB34_434:
	ds_read_b64 v[72:73], v74
.LBB34_435:
	v_cmp_ne_u32_e32 vcc, 10, v0
	s_and_saveexec_b64 s[8:9], vcc
	s_cbranch_execz .LBB34_439
; %bb.436:
	v_mov_b32_e32 v77, 0
	v_add_u32_e32 v76, 0x128, v1
	v_add3_u32 v77, v1, v77, 8
	s_mov_b64 s[10:11], 0
	v_mov_b32_e32 v78, v0
.LBB34_437:                             ; =>This Inner Loop Header: Depth=1
	buffer_load_dword v80, v77, s[0:3], 0 offen
	buffer_load_dword v81, v77, s[0:3], 0 offen offset:4
	ds_read_b64 v[82:83], v76
	v_add_u32_e32 v78, 1, v78
	v_cmp_lt_u32_e32 vcc, 9, v78
	v_add_u32_e32 v76, 8, v76
	v_add_u32_e32 v77, 8, v77
	s_or_b64 s[10:11], vcc, s[10:11]
	s_waitcnt vmcnt(0) lgkmcnt(0)
	v_fmac_f64_e32 v[72:73], v[80:81], v[82:83]
	s_andn2_b64 exec, exec, s[10:11]
	s_cbranch_execnz .LBB34_437
; %bb.438:
	s_or_b64 exec, exec, s[10:11]
.LBB34_439:
	s_or_b64 exec, exec, s[8:9]
	v_mov_b32_e32 v76, 0
	ds_read_b64 v[76:77], v76 offset:88
	s_waitcnt lgkmcnt(0)
	v_mul_f64 v[72:73], v[72:73], v[76:77]
	buffer_store_dword v73, off, s[0:3], 0 offset:92
	buffer_store_dword v72, off, s[0:3], 0 offset:88
.LBB34_440:
	s_or_b64 exec, exec, s[6:7]
	buffer_load_dword v72, off, s[0:3], 0 offset:96
	buffer_load_dword v73, off, s[0:3], 0 offset:100
	v_cmp_gt_u32_e32 vcc, 12, v0
	s_waitcnt vmcnt(0)
	ds_write_b64 v74, v[72:73]
	s_waitcnt lgkmcnt(0)
	; wave barrier
	s_waitcnt lgkmcnt(0)
	s_and_saveexec_b64 s[6:7], vcc
	s_cbranch_execz .LBB34_450
; %bb.441:
	s_and_b64 vcc, exec, s[4:5]
	s_cbranch_vccnz .LBB34_443
; %bb.442:
	buffer_load_dword v72, v75, s[0:3], 0 offen
	buffer_load_dword v73, v75, s[0:3], 0 offen offset:4
	ds_read_b64 v[76:77], v74
	s_waitcnt vmcnt(0) lgkmcnt(0)
	v_mul_f64 v[72:73], v[72:73], v[76:77]
	s_cbranch_execz .LBB34_444
	s_branch .LBB34_445
.LBB34_443:
                                        ; implicit-def: $vgpr72_vgpr73
.LBB34_444:
	ds_read_b64 v[72:73], v74
.LBB34_445:
	v_cmp_ne_u32_e32 vcc, 11, v0
	s_and_saveexec_b64 s[8:9], vcc
	s_cbranch_execz .LBB34_449
; %bb.446:
	v_mov_b32_e32 v77, 0
	v_add_u32_e32 v76, 0x128, v1
	v_add3_u32 v77, v1, v77, 8
	s_mov_b64 s[10:11], 0
	v_mov_b32_e32 v78, v0
.LBB34_447:                             ; =>This Inner Loop Header: Depth=1
	buffer_load_dword v80, v77, s[0:3], 0 offen
	buffer_load_dword v81, v77, s[0:3], 0 offen offset:4
	ds_read_b64 v[82:83], v76
	v_add_u32_e32 v78, 1, v78
	v_cmp_lt_u32_e32 vcc, 10, v78
	v_add_u32_e32 v76, 8, v76
	v_add_u32_e32 v77, 8, v77
	s_or_b64 s[10:11], vcc, s[10:11]
	s_waitcnt vmcnt(0) lgkmcnt(0)
	v_fmac_f64_e32 v[72:73], v[80:81], v[82:83]
	s_andn2_b64 exec, exec, s[10:11]
	s_cbranch_execnz .LBB34_447
; %bb.448:
	s_or_b64 exec, exec, s[10:11]
.LBB34_449:
	s_or_b64 exec, exec, s[8:9]
	v_mov_b32_e32 v76, 0
	ds_read_b64 v[76:77], v76 offset:96
	s_waitcnt lgkmcnt(0)
	v_mul_f64 v[72:73], v[72:73], v[76:77]
	buffer_store_dword v73, off, s[0:3], 0 offset:100
	buffer_store_dword v72, off, s[0:3], 0 offset:96
.LBB34_450:
	s_or_b64 exec, exec, s[6:7]
	buffer_load_dword v72, off, s[0:3], 0 offset:104
	buffer_load_dword v73, off, s[0:3], 0 offset:108
	v_cmp_gt_u32_e32 vcc, 13, v0
	s_waitcnt vmcnt(0)
	ds_write_b64 v74, v[72:73]
	s_waitcnt lgkmcnt(0)
	; wave barrier
	s_waitcnt lgkmcnt(0)
	s_and_saveexec_b64 s[6:7], vcc
	s_cbranch_execz .LBB34_460
; %bb.451:
	s_and_b64 vcc, exec, s[4:5]
	s_cbranch_vccnz .LBB34_453
; %bb.452:
	buffer_load_dword v72, v75, s[0:3], 0 offen
	buffer_load_dword v73, v75, s[0:3], 0 offen offset:4
	ds_read_b64 v[76:77], v74
	s_waitcnt vmcnt(0) lgkmcnt(0)
	v_mul_f64 v[72:73], v[72:73], v[76:77]
	s_cbranch_execz .LBB34_454
	s_branch .LBB34_455
.LBB34_453:
                                        ; implicit-def: $vgpr72_vgpr73
.LBB34_454:
	ds_read_b64 v[72:73], v74
.LBB34_455:
	v_cmp_ne_u32_e32 vcc, 12, v0
	s_and_saveexec_b64 s[8:9], vcc
	s_cbranch_execz .LBB34_459
; %bb.456:
	v_mov_b32_e32 v77, 0
	v_add_u32_e32 v76, 0x128, v1
	v_add3_u32 v77, v1, v77, 8
	s_mov_b64 s[10:11], 0
	v_mov_b32_e32 v78, v0
.LBB34_457:                             ; =>This Inner Loop Header: Depth=1
	buffer_load_dword v80, v77, s[0:3], 0 offen
	buffer_load_dword v81, v77, s[0:3], 0 offen offset:4
	ds_read_b64 v[82:83], v76
	v_add_u32_e32 v78, 1, v78
	v_cmp_lt_u32_e32 vcc, 11, v78
	v_add_u32_e32 v76, 8, v76
	v_add_u32_e32 v77, 8, v77
	s_or_b64 s[10:11], vcc, s[10:11]
	s_waitcnt vmcnt(0) lgkmcnt(0)
	v_fmac_f64_e32 v[72:73], v[80:81], v[82:83]
	s_andn2_b64 exec, exec, s[10:11]
	s_cbranch_execnz .LBB34_457
; %bb.458:
	s_or_b64 exec, exec, s[10:11]
.LBB34_459:
	s_or_b64 exec, exec, s[8:9]
	v_mov_b32_e32 v76, 0
	ds_read_b64 v[76:77], v76 offset:104
	s_waitcnt lgkmcnt(0)
	v_mul_f64 v[72:73], v[72:73], v[76:77]
	buffer_store_dword v73, off, s[0:3], 0 offset:108
	buffer_store_dword v72, off, s[0:3], 0 offset:104
.LBB34_460:
	s_or_b64 exec, exec, s[6:7]
	buffer_load_dword v72, off, s[0:3], 0 offset:112
	buffer_load_dword v73, off, s[0:3], 0 offset:116
	v_cmp_gt_u32_e32 vcc, 14, v0
	s_waitcnt vmcnt(0)
	ds_write_b64 v74, v[72:73]
	s_waitcnt lgkmcnt(0)
	; wave barrier
	s_waitcnt lgkmcnt(0)
	s_and_saveexec_b64 s[6:7], vcc
	s_cbranch_execz .LBB34_470
; %bb.461:
	s_and_b64 vcc, exec, s[4:5]
	s_cbranch_vccnz .LBB34_463
; %bb.462:
	buffer_load_dword v72, v75, s[0:3], 0 offen
	buffer_load_dword v73, v75, s[0:3], 0 offen offset:4
	ds_read_b64 v[76:77], v74
	s_waitcnt vmcnt(0) lgkmcnt(0)
	v_mul_f64 v[72:73], v[72:73], v[76:77]
	s_cbranch_execz .LBB34_464
	s_branch .LBB34_465
.LBB34_463:
                                        ; implicit-def: $vgpr72_vgpr73
.LBB34_464:
	ds_read_b64 v[72:73], v74
.LBB34_465:
	v_cmp_ne_u32_e32 vcc, 13, v0
	s_and_saveexec_b64 s[8:9], vcc
	s_cbranch_execz .LBB34_469
; %bb.466:
	v_mov_b32_e32 v77, 0
	v_add_u32_e32 v76, 0x128, v1
	v_add3_u32 v77, v1, v77, 8
	s_mov_b64 s[10:11], 0
	v_mov_b32_e32 v78, v0
.LBB34_467:                             ; =>This Inner Loop Header: Depth=1
	buffer_load_dword v80, v77, s[0:3], 0 offen
	buffer_load_dword v81, v77, s[0:3], 0 offen offset:4
	ds_read_b64 v[82:83], v76
	v_add_u32_e32 v78, 1, v78
	v_cmp_lt_u32_e32 vcc, 12, v78
	v_add_u32_e32 v76, 8, v76
	v_add_u32_e32 v77, 8, v77
	s_or_b64 s[10:11], vcc, s[10:11]
	s_waitcnt vmcnt(0) lgkmcnt(0)
	v_fmac_f64_e32 v[72:73], v[80:81], v[82:83]
	s_andn2_b64 exec, exec, s[10:11]
	s_cbranch_execnz .LBB34_467
; %bb.468:
	s_or_b64 exec, exec, s[10:11]
.LBB34_469:
	s_or_b64 exec, exec, s[8:9]
	v_mov_b32_e32 v76, 0
	ds_read_b64 v[76:77], v76 offset:112
	s_waitcnt lgkmcnt(0)
	v_mul_f64 v[72:73], v[72:73], v[76:77]
	buffer_store_dword v73, off, s[0:3], 0 offset:116
	buffer_store_dword v72, off, s[0:3], 0 offset:112
.LBB34_470:
	s_or_b64 exec, exec, s[6:7]
	buffer_load_dword v72, off, s[0:3], 0 offset:120
	buffer_load_dword v73, off, s[0:3], 0 offset:124
	v_cmp_gt_u32_e32 vcc, 15, v0
	s_waitcnt vmcnt(0)
	ds_write_b64 v74, v[72:73]
	s_waitcnt lgkmcnt(0)
	; wave barrier
	s_waitcnt lgkmcnt(0)
	s_and_saveexec_b64 s[6:7], vcc
	s_cbranch_execz .LBB34_480
; %bb.471:
	s_and_b64 vcc, exec, s[4:5]
	s_cbranch_vccnz .LBB34_473
; %bb.472:
	buffer_load_dword v72, v75, s[0:3], 0 offen
	buffer_load_dword v73, v75, s[0:3], 0 offen offset:4
	ds_read_b64 v[76:77], v74
	s_waitcnt vmcnt(0) lgkmcnt(0)
	v_mul_f64 v[72:73], v[72:73], v[76:77]
	s_cbranch_execz .LBB34_474
	s_branch .LBB34_475
.LBB34_473:
                                        ; implicit-def: $vgpr72_vgpr73
.LBB34_474:
	ds_read_b64 v[72:73], v74
.LBB34_475:
	v_cmp_ne_u32_e32 vcc, 14, v0
	s_and_saveexec_b64 s[8:9], vcc
	s_cbranch_execz .LBB34_479
; %bb.476:
	v_mov_b32_e32 v77, 0
	v_add_u32_e32 v76, 0x128, v1
	v_add3_u32 v77, v1, v77, 8
	s_mov_b64 s[10:11], 0
	v_mov_b32_e32 v78, v0
.LBB34_477:                             ; =>This Inner Loop Header: Depth=1
	buffer_load_dword v80, v77, s[0:3], 0 offen
	buffer_load_dword v81, v77, s[0:3], 0 offen offset:4
	ds_read_b64 v[82:83], v76
	v_add_u32_e32 v78, 1, v78
	v_cmp_lt_u32_e32 vcc, 13, v78
	v_add_u32_e32 v76, 8, v76
	v_add_u32_e32 v77, 8, v77
	s_or_b64 s[10:11], vcc, s[10:11]
	s_waitcnt vmcnt(0) lgkmcnt(0)
	v_fmac_f64_e32 v[72:73], v[80:81], v[82:83]
	s_andn2_b64 exec, exec, s[10:11]
	s_cbranch_execnz .LBB34_477
; %bb.478:
	s_or_b64 exec, exec, s[10:11]
.LBB34_479:
	s_or_b64 exec, exec, s[8:9]
	v_mov_b32_e32 v76, 0
	ds_read_b64 v[76:77], v76 offset:120
	s_waitcnt lgkmcnt(0)
	v_mul_f64 v[72:73], v[72:73], v[76:77]
	buffer_store_dword v73, off, s[0:3], 0 offset:124
	buffer_store_dword v72, off, s[0:3], 0 offset:120
.LBB34_480:
	s_or_b64 exec, exec, s[6:7]
	buffer_load_dword v72, off, s[0:3], 0 offset:128
	buffer_load_dword v73, off, s[0:3], 0 offset:132
	v_cmp_gt_u32_e32 vcc, 16, v0
	s_waitcnt vmcnt(0)
	ds_write_b64 v74, v[72:73]
	s_waitcnt lgkmcnt(0)
	; wave barrier
	s_waitcnt lgkmcnt(0)
	s_and_saveexec_b64 s[6:7], vcc
	s_cbranch_execz .LBB34_490
; %bb.481:
	s_and_b64 vcc, exec, s[4:5]
	s_cbranch_vccnz .LBB34_483
; %bb.482:
	buffer_load_dword v72, v75, s[0:3], 0 offen
	buffer_load_dword v73, v75, s[0:3], 0 offen offset:4
	ds_read_b64 v[76:77], v74
	s_waitcnt vmcnt(0) lgkmcnt(0)
	v_mul_f64 v[72:73], v[72:73], v[76:77]
	s_cbranch_execz .LBB34_484
	s_branch .LBB34_485
.LBB34_483:
                                        ; implicit-def: $vgpr72_vgpr73
.LBB34_484:
	ds_read_b64 v[72:73], v74
.LBB34_485:
	v_cmp_ne_u32_e32 vcc, 15, v0
	s_and_saveexec_b64 s[8:9], vcc
	s_cbranch_execz .LBB34_489
; %bb.486:
	v_mov_b32_e32 v77, 0
	v_add_u32_e32 v76, 0x128, v1
	v_add3_u32 v77, v1, v77, 8
	s_mov_b64 s[10:11], 0
	v_mov_b32_e32 v78, v0
.LBB34_487:                             ; =>This Inner Loop Header: Depth=1
	buffer_load_dword v80, v77, s[0:3], 0 offen
	buffer_load_dword v81, v77, s[0:3], 0 offen offset:4
	ds_read_b64 v[82:83], v76
	v_add_u32_e32 v78, 1, v78
	v_cmp_lt_u32_e32 vcc, 14, v78
	v_add_u32_e32 v76, 8, v76
	v_add_u32_e32 v77, 8, v77
	s_or_b64 s[10:11], vcc, s[10:11]
	s_waitcnt vmcnt(0) lgkmcnt(0)
	v_fmac_f64_e32 v[72:73], v[80:81], v[82:83]
	s_andn2_b64 exec, exec, s[10:11]
	s_cbranch_execnz .LBB34_487
; %bb.488:
	s_or_b64 exec, exec, s[10:11]
.LBB34_489:
	s_or_b64 exec, exec, s[8:9]
	v_mov_b32_e32 v76, 0
	ds_read_b64 v[76:77], v76 offset:128
	s_waitcnt lgkmcnt(0)
	v_mul_f64 v[72:73], v[72:73], v[76:77]
	buffer_store_dword v73, off, s[0:3], 0 offset:132
	buffer_store_dword v72, off, s[0:3], 0 offset:128
.LBB34_490:
	s_or_b64 exec, exec, s[6:7]
	buffer_load_dword v72, off, s[0:3], 0 offset:136
	buffer_load_dword v73, off, s[0:3], 0 offset:140
	v_cmp_gt_u32_e32 vcc, 17, v0
	s_waitcnt vmcnt(0)
	ds_write_b64 v74, v[72:73]
	s_waitcnt lgkmcnt(0)
	; wave barrier
	s_waitcnt lgkmcnt(0)
	s_and_saveexec_b64 s[6:7], vcc
	s_cbranch_execz .LBB34_500
; %bb.491:
	s_and_b64 vcc, exec, s[4:5]
	s_cbranch_vccnz .LBB34_493
; %bb.492:
	buffer_load_dword v72, v75, s[0:3], 0 offen
	buffer_load_dword v73, v75, s[0:3], 0 offen offset:4
	ds_read_b64 v[76:77], v74
	s_waitcnt vmcnt(0) lgkmcnt(0)
	v_mul_f64 v[72:73], v[72:73], v[76:77]
	s_cbranch_execz .LBB34_494
	s_branch .LBB34_495
.LBB34_493:
                                        ; implicit-def: $vgpr72_vgpr73
.LBB34_494:
	ds_read_b64 v[72:73], v74
.LBB34_495:
	v_cmp_ne_u32_e32 vcc, 16, v0
	s_and_saveexec_b64 s[8:9], vcc
	s_cbranch_execz .LBB34_499
; %bb.496:
	v_mov_b32_e32 v77, 0
	v_add_u32_e32 v76, 0x128, v1
	v_add3_u32 v77, v1, v77, 8
	s_mov_b64 s[10:11], 0
	v_mov_b32_e32 v78, v0
.LBB34_497:                             ; =>This Inner Loop Header: Depth=1
	buffer_load_dword v80, v77, s[0:3], 0 offen
	buffer_load_dword v81, v77, s[0:3], 0 offen offset:4
	ds_read_b64 v[82:83], v76
	v_add_u32_e32 v78, 1, v78
	v_cmp_lt_u32_e32 vcc, 15, v78
	v_add_u32_e32 v76, 8, v76
	v_add_u32_e32 v77, 8, v77
	s_or_b64 s[10:11], vcc, s[10:11]
	s_waitcnt vmcnt(0) lgkmcnt(0)
	v_fmac_f64_e32 v[72:73], v[80:81], v[82:83]
	s_andn2_b64 exec, exec, s[10:11]
	s_cbranch_execnz .LBB34_497
; %bb.498:
	s_or_b64 exec, exec, s[10:11]
.LBB34_499:
	s_or_b64 exec, exec, s[8:9]
	v_mov_b32_e32 v76, 0
	ds_read_b64 v[76:77], v76 offset:136
	s_waitcnt lgkmcnt(0)
	v_mul_f64 v[72:73], v[72:73], v[76:77]
	buffer_store_dword v73, off, s[0:3], 0 offset:140
	buffer_store_dword v72, off, s[0:3], 0 offset:136
.LBB34_500:
	s_or_b64 exec, exec, s[6:7]
	buffer_load_dword v72, off, s[0:3], 0 offset:144
	buffer_load_dword v73, off, s[0:3], 0 offset:148
	v_cmp_gt_u32_e32 vcc, 18, v0
	s_waitcnt vmcnt(0)
	ds_write_b64 v74, v[72:73]
	s_waitcnt lgkmcnt(0)
	; wave barrier
	s_waitcnt lgkmcnt(0)
	s_and_saveexec_b64 s[6:7], vcc
	s_cbranch_execz .LBB34_510
; %bb.501:
	s_and_b64 vcc, exec, s[4:5]
	s_cbranch_vccnz .LBB34_503
; %bb.502:
	buffer_load_dword v72, v75, s[0:3], 0 offen
	buffer_load_dword v73, v75, s[0:3], 0 offen offset:4
	ds_read_b64 v[76:77], v74
	s_waitcnt vmcnt(0) lgkmcnt(0)
	v_mul_f64 v[72:73], v[72:73], v[76:77]
	s_cbranch_execz .LBB34_504
	s_branch .LBB34_505
.LBB34_503:
                                        ; implicit-def: $vgpr72_vgpr73
.LBB34_504:
	ds_read_b64 v[72:73], v74
.LBB34_505:
	v_cmp_ne_u32_e32 vcc, 17, v0
	s_and_saveexec_b64 s[8:9], vcc
	s_cbranch_execz .LBB34_509
; %bb.506:
	v_mov_b32_e32 v77, 0
	v_add_u32_e32 v76, 0x128, v1
	v_add3_u32 v77, v1, v77, 8
	s_mov_b64 s[10:11], 0
	v_mov_b32_e32 v78, v0
.LBB34_507:                             ; =>This Inner Loop Header: Depth=1
	buffer_load_dword v80, v77, s[0:3], 0 offen
	buffer_load_dword v81, v77, s[0:3], 0 offen offset:4
	ds_read_b64 v[82:83], v76
	v_add_u32_e32 v78, 1, v78
	v_cmp_lt_u32_e32 vcc, 16, v78
	v_add_u32_e32 v76, 8, v76
	v_add_u32_e32 v77, 8, v77
	s_or_b64 s[10:11], vcc, s[10:11]
	s_waitcnt vmcnt(0) lgkmcnt(0)
	v_fmac_f64_e32 v[72:73], v[80:81], v[82:83]
	s_andn2_b64 exec, exec, s[10:11]
	s_cbranch_execnz .LBB34_507
; %bb.508:
	s_or_b64 exec, exec, s[10:11]
.LBB34_509:
	s_or_b64 exec, exec, s[8:9]
	v_mov_b32_e32 v76, 0
	ds_read_b64 v[76:77], v76 offset:144
	s_waitcnt lgkmcnt(0)
	v_mul_f64 v[72:73], v[72:73], v[76:77]
	buffer_store_dword v73, off, s[0:3], 0 offset:148
	buffer_store_dword v72, off, s[0:3], 0 offset:144
.LBB34_510:
	s_or_b64 exec, exec, s[6:7]
	buffer_load_dword v72, off, s[0:3], 0 offset:152
	buffer_load_dword v73, off, s[0:3], 0 offset:156
	v_cmp_gt_u32_e32 vcc, 19, v0
	s_waitcnt vmcnt(0)
	ds_write_b64 v74, v[72:73]
	s_waitcnt lgkmcnt(0)
	; wave barrier
	s_waitcnt lgkmcnt(0)
	s_and_saveexec_b64 s[6:7], vcc
	s_cbranch_execz .LBB34_520
; %bb.511:
	s_and_b64 vcc, exec, s[4:5]
	s_cbranch_vccnz .LBB34_513
; %bb.512:
	buffer_load_dword v72, v75, s[0:3], 0 offen
	buffer_load_dword v73, v75, s[0:3], 0 offen offset:4
	ds_read_b64 v[76:77], v74
	s_waitcnt vmcnt(0) lgkmcnt(0)
	v_mul_f64 v[72:73], v[72:73], v[76:77]
	s_cbranch_execz .LBB34_514
	s_branch .LBB34_515
.LBB34_513:
                                        ; implicit-def: $vgpr72_vgpr73
.LBB34_514:
	ds_read_b64 v[72:73], v74
.LBB34_515:
	v_cmp_ne_u32_e32 vcc, 18, v0
	s_and_saveexec_b64 s[8:9], vcc
	s_cbranch_execz .LBB34_519
; %bb.516:
	v_mov_b32_e32 v77, 0
	v_add_u32_e32 v76, 0x128, v1
	v_add3_u32 v77, v1, v77, 8
	s_mov_b64 s[10:11], 0
	v_mov_b32_e32 v78, v0
.LBB34_517:                             ; =>This Inner Loop Header: Depth=1
	buffer_load_dword v80, v77, s[0:3], 0 offen
	buffer_load_dword v81, v77, s[0:3], 0 offen offset:4
	ds_read_b64 v[82:83], v76
	v_add_u32_e32 v78, 1, v78
	v_cmp_lt_u32_e32 vcc, 17, v78
	v_add_u32_e32 v76, 8, v76
	v_add_u32_e32 v77, 8, v77
	s_or_b64 s[10:11], vcc, s[10:11]
	s_waitcnt vmcnt(0) lgkmcnt(0)
	v_fmac_f64_e32 v[72:73], v[80:81], v[82:83]
	s_andn2_b64 exec, exec, s[10:11]
	s_cbranch_execnz .LBB34_517
; %bb.518:
	s_or_b64 exec, exec, s[10:11]
.LBB34_519:
	s_or_b64 exec, exec, s[8:9]
	v_mov_b32_e32 v76, 0
	ds_read_b64 v[76:77], v76 offset:152
	s_waitcnt lgkmcnt(0)
	v_mul_f64 v[72:73], v[72:73], v[76:77]
	buffer_store_dword v73, off, s[0:3], 0 offset:156
	buffer_store_dword v72, off, s[0:3], 0 offset:152
.LBB34_520:
	s_or_b64 exec, exec, s[6:7]
	buffer_load_dword v72, off, s[0:3], 0 offset:160
	buffer_load_dword v73, off, s[0:3], 0 offset:164
	v_cmp_gt_u32_e32 vcc, 20, v0
	s_waitcnt vmcnt(0)
	ds_write_b64 v74, v[72:73]
	s_waitcnt lgkmcnt(0)
	; wave barrier
	s_waitcnt lgkmcnt(0)
	s_and_saveexec_b64 s[6:7], vcc
	s_cbranch_execz .LBB34_530
; %bb.521:
	s_and_b64 vcc, exec, s[4:5]
	s_cbranch_vccnz .LBB34_523
; %bb.522:
	buffer_load_dword v72, v75, s[0:3], 0 offen
	buffer_load_dword v73, v75, s[0:3], 0 offen offset:4
	ds_read_b64 v[76:77], v74
	s_waitcnt vmcnt(0) lgkmcnt(0)
	v_mul_f64 v[72:73], v[72:73], v[76:77]
	s_cbranch_execz .LBB34_524
	s_branch .LBB34_525
.LBB34_523:
                                        ; implicit-def: $vgpr72_vgpr73
.LBB34_524:
	ds_read_b64 v[72:73], v74
.LBB34_525:
	v_cmp_ne_u32_e32 vcc, 19, v0
	s_and_saveexec_b64 s[8:9], vcc
	s_cbranch_execz .LBB34_529
; %bb.526:
	v_mov_b32_e32 v77, 0
	v_add_u32_e32 v76, 0x128, v1
	v_add3_u32 v77, v1, v77, 8
	s_mov_b64 s[10:11], 0
	v_mov_b32_e32 v78, v0
.LBB34_527:                             ; =>This Inner Loop Header: Depth=1
	buffer_load_dword v80, v77, s[0:3], 0 offen
	buffer_load_dword v81, v77, s[0:3], 0 offen offset:4
	ds_read_b64 v[82:83], v76
	v_add_u32_e32 v78, 1, v78
	v_cmp_lt_u32_e32 vcc, 18, v78
	v_add_u32_e32 v76, 8, v76
	v_add_u32_e32 v77, 8, v77
	s_or_b64 s[10:11], vcc, s[10:11]
	s_waitcnt vmcnt(0) lgkmcnt(0)
	v_fmac_f64_e32 v[72:73], v[80:81], v[82:83]
	s_andn2_b64 exec, exec, s[10:11]
	s_cbranch_execnz .LBB34_527
; %bb.528:
	s_or_b64 exec, exec, s[10:11]
.LBB34_529:
	s_or_b64 exec, exec, s[8:9]
	v_mov_b32_e32 v76, 0
	ds_read_b64 v[76:77], v76 offset:160
	s_waitcnt lgkmcnt(0)
	v_mul_f64 v[72:73], v[72:73], v[76:77]
	buffer_store_dword v73, off, s[0:3], 0 offset:164
	buffer_store_dword v72, off, s[0:3], 0 offset:160
.LBB34_530:
	s_or_b64 exec, exec, s[6:7]
	buffer_load_dword v72, off, s[0:3], 0 offset:168
	buffer_load_dword v73, off, s[0:3], 0 offset:172
	v_cmp_gt_u32_e32 vcc, 21, v0
	s_waitcnt vmcnt(0)
	ds_write_b64 v74, v[72:73]
	s_waitcnt lgkmcnt(0)
	; wave barrier
	s_waitcnt lgkmcnt(0)
	s_and_saveexec_b64 s[6:7], vcc
	s_cbranch_execz .LBB34_540
; %bb.531:
	s_and_b64 vcc, exec, s[4:5]
	s_cbranch_vccnz .LBB34_533
; %bb.532:
	buffer_load_dword v72, v75, s[0:3], 0 offen
	buffer_load_dword v73, v75, s[0:3], 0 offen offset:4
	ds_read_b64 v[76:77], v74
	s_waitcnt vmcnt(0) lgkmcnt(0)
	v_mul_f64 v[72:73], v[72:73], v[76:77]
	s_cbranch_execz .LBB34_534
	s_branch .LBB34_535
.LBB34_533:
                                        ; implicit-def: $vgpr72_vgpr73
.LBB34_534:
	ds_read_b64 v[72:73], v74
.LBB34_535:
	v_cmp_ne_u32_e32 vcc, 20, v0
	s_and_saveexec_b64 s[8:9], vcc
	s_cbranch_execz .LBB34_539
; %bb.536:
	v_mov_b32_e32 v77, 0
	v_add_u32_e32 v76, 0x128, v1
	v_add3_u32 v77, v1, v77, 8
	s_mov_b64 s[10:11], 0
	v_mov_b32_e32 v78, v0
.LBB34_537:                             ; =>This Inner Loop Header: Depth=1
	buffer_load_dword v80, v77, s[0:3], 0 offen
	buffer_load_dword v81, v77, s[0:3], 0 offen offset:4
	ds_read_b64 v[82:83], v76
	v_add_u32_e32 v78, 1, v78
	v_cmp_lt_u32_e32 vcc, 19, v78
	v_add_u32_e32 v76, 8, v76
	v_add_u32_e32 v77, 8, v77
	s_or_b64 s[10:11], vcc, s[10:11]
	s_waitcnt vmcnt(0) lgkmcnt(0)
	v_fmac_f64_e32 v[72:73], v[80:81], v[82:83]
	s_andn2_b64 exec, exec, s[10:11]
	s_cbranch_execnz .LBB34_537
; %bb.538:
	s_or_b64 exec, exec, s[10:11]
.LBB34_539:
	s_or_b64 exec, exec, s[8:9]
	v_mov_b32_e32 v76, 0
	ds_read_b64 v[76:77], v76 offset:168
	s_waitcnt lgkmcnt(0)
	v_mul_f64 v[72:73], v[72:73], v[76:77]
	buffer_store_dword v73, off, s[0:3], 0 offset:172
	buffer_store_dword v72, off, s[0:3], 0 offset:168
.LBB34_540:
	s_or_b64 exec, exec, s[6:7]
	buffer_load_dword v72, off, s[0:3], 0 offset:176
	buffer_load_dword v73, off, s[0:3], 0 offset:180
	v_cmp_gt_u32_e32 vcc, 22, v0
	s_waitcnt vmcnt(0)
	ds_write_b64 v74, v[72:73]
	s_waitcnt lgkmcnt(0)
	; wave barrier
	s_waitcnt lgkmcnt(0)
	s_and_saveexec_b64 s[6:7], vcc
	s_cbranch_execz .LBB34_550
; %bb.541:
	s_and_b64 vcc, exec, s[4:5]
	s_cbranch_vccnz .LBB34_543
; %bb.542:
	buffer_load_dword v72, v75, s[0:3], 0 offen
	buffer_load_dword v73, v75, s[0:3], 0 offen offset:4
	ds_read_b64 v[76:77], v74
	s_waitcnt vmcnt(0) lgkmcnt(0)
	v_mul_f64 v[72:73], v[72:73], v[76:77]
	s_cbranch_execz .LBB34_544
	s_branch .LBB34_545
.LBB34_543:
                                        ; implicit-def: $vgpr72_vgpr73
.LBB34_544:
	ds_read_b64 v[72:73], v74
.LBB34_545:
	v_cmp_ne_u32_e32 vcc, 21, v0
	s_and_saveexec_b64 s[8:9], vcc
	s_cbranch_execz .LBB34_549
; %bb.546:
	v_mov_b32_e32 v77, 0
	v_add_u32_e32 v76, 0x128, v1
	v_add3_u32 v77, v1, v77, 8
	s_mov_b64 s[10:11], 0
	v_mov_b32_e32 v78, v0
.LBB34_547:                             ; =>This Inner Loop Header: Depth=1
	buffer_load_dword v80, v77, s[0:3], 0 offen
	buffer_load_dword v81, v77, s[0:3], 0 offen offset:4
	ds_read_b64 v[82:83], v76
	v_add_u32_e32 v78, 1, v78
	v_cmp_lt_u32_e32 vcc, 20, v78
	v_add_u32_e32 v76, 8, v76
	v_add_u32_e32 v77, 8, v77
	s_or_b64 s[10:11], vcc, s[10:11]
	s_waitcnt vmcnt(0) lgkmcnt(0)
	v_fmac_f64_e32 v[72:73], v[80:81], v[82:83]
	s_andn2_b64 exec, exec, s[10:11]
	s_cbranch_execnz .LBB34_547
; %bb.548:
	s_or_b64 exec, exec, s[10:11]
.LBB34_549:
	s_or_b64 exec, exec, s[8:9]
	v_mov_b32_e32 v76, 0
	ds_read_b64 v[76:77], v76 offset:176
	s_waitcnt lgkmcnt(0)
	v_mul_f64 v[72:73], v[72:73], v[76:77]
	buffer_store_dword v73, off, s[0:3], 0 offset:180
	buffer_store_dword v72, off, s[0:3], 0 offset:176
.LBB34_550:
	s_or_b64 exec, exec, s[6:7]
	buffer_load_dword v72, off, s[0:3], 0 offset:184
	buffer_load_dword v73, off, s[0:3], 0 offset:188
	v_cmp_gt_u32_e32 vcc, 23, v0
	s_waitcnt vmcnt(0)
	ds_write_b64 v74, v[72:73]
	s_waitcnt lgkmcnt(0)
	; wave barrier
	s_waitcnt lgkmcnt(0)
	s_and_saveexec_b64 s[6:7], vcc
	s_cbranch_execz .LBB34_560
; %bb.551:
	s_and_b64 vcc, exec, s[4:5]
	s_cbranch_vccnz .LBB34_553
; %bb.552:
	buffer_load_dword v72, v75, s[0:3], 0 offen
	buffer_load_dword v73, v75, s[0:3], 0 offen offset:4
	ds_read_b64 v[76:77], v74
	s_waitcnt vmcnt(0) lgkmcnt(0)
	v_mul_f64 v[72:73], v[72:73], v[76:77]
	s_cbranch_execz .LBB34_554
	s_branch .LBB34_555
.LBB34_553:
                                        ; implicit-def: $vgpr72_vgpr73
.LBB34_554:
	ds_read_b64 v[72:73], v74
.LBB34_555:
	v_cmp_ne_u32_e32 vcc, 22, v0
	s_and_saveexec_b64 s[8:9], vcc
	s_cbranch_execz .LBB34_559
; %bb.556:
	v_mov_b32_e32 v77, 0
	v_add_u32_e32 v76, 0x128, v1
	v_add3_u32 v77, v1, v77, 8
	s_mov_b64 s[10:11], 0
	v_mov_b32_e32 v78, v0
.LBB34_557:                             ; =>This Inner Loop Header: Depth=1
	buffer_load_dword v80, v77, s[0:3], 0 offen
	buffer_load_dword v81, v77, s[0:3], 0 offen offset:4
	ds_read_b64 v[82:83], v76
	v_add_u32_e32 v78, 1, v78
	v_cmp_lt_u32_e32 vcc, 21, v78
	v_add_u32_e32 v76, 8, v76
	v_add_u32_e32 v77, 8, v77
	s_or_b64 s[10:11], vcc, s[10:11]
	s_waitcnt vmcnt(0) lgkmcnt(0)
	v_fmac_f64_e32 v[72:73], v[80:81], v[82:83]
	s_andn2_b64 exec, exec, s[10:11]
	s_cbranch_execnz .LBB34_557
; %bb.558:
	s_or_b64 exec, exec, s[10:11]
.LBB34_559:
	s_or_b64 exec, exec, s[8:9]
	v_mov_b32_e32 v76, 0
	ds_read_b64 v[76:77], v76 offset:184
	s_waitcnt lgkmcnt(0)
	v_mul_f64 v[72:73], v[72:73], v[76:77]
	buffer_store_dword v73, off, s[0:3], 0 offset:188
	buffer_store_dword v72, off, s[0:3], 0 offset:184
.LBB34_560:
	s_or_b64 exec, exec, s[6:7]
	buffer_load_dword v72, off, s[0:3], 0 offset:192
	buffer_load_dword v73, off, s[0:3], 0 offset:196
	v_cmp_gt_u32_e32 vcc, 24, v0
	s_waitcnt vmcnt(0)
	ds_write_b64 v74, v[72:73]
	s_waitcnt lgkmcnt(0)
	; wave barrier
	s_waitcnt lgkmcnt(0)
	s_and_saveexec_b64 s[6:7], vcc
	s_cbranch_execz .LBB34_570
; %bb.561:
	s_and_b64 vcc, exec, s[4:5]
	s_cbranch_vccnz .LBB34_563
; %bb.562:
	buffer_load_dword v72, v75, s[0:3], 0 offen
	buffer_load_dword v73, v75, s[0:3], 0 offen offset:4
	ds_read_b64 v[76:77], v74
	s_waitcnt vmcnt(0) lgkmcnt(0)
	v_mul_f64 v[72:73], v[72:73], v[76:77]
	s_cbranch_execz .LBB34_564
	s_branch .LBB34_565
.LBB34_563:
                                        ; implicit-def: $vgpr72_vgpr73
.LBB34_564:
	ds_read_b64 v[72:73], v74
.LBB34_565:
	v_cmp_ne_u32_e32 vcc, 23, v0
	s_and_saveexec_b64 s[8:9], vcc
	s_cbranch_execz .LBB34_569
; %bb.566:
	v_mov_b32_e32 v77, 0
	v_add_u32_e32 v76, 0x128, v1
	v_add3_u32 v77, v1, v77, 8
	s_mov_b64 s[10:11], 0
	v_mov_b32_e32 v78, v0
.LBB34_567:                             ; =>This Inner Loop Header: Depth=1
	buffer_load_dword v80, v77, s[0:3], 0 offen
	buffer_load_dword v81, v77, s[0:3], 0 offen offset:4
	ds_read_b64 v[82:83], v76
	v_add_u32_e32 v78, 1, v78
	v_cmp_lt_u32_e32 vcc, 22, v78
	v_add_u32_e32 v76, 8, v76
	v_add_u32_e32 v77, 8, v77
	s_or_b64 s[10:11], vcc, s[10:11]
	s_waitcnt vmcnt(0) lgkmcnt(0)
	v_fmac_f64_e32 v[72:73], v[80:81], v[82:83]
	s_andn2_b64 exec, exec, s[10:11]
	s_cbranch_execnz .LBB34_567
; %bb.568:
	s_or_b64 exec, exec, s[10:11]
.LBB34_569:
	s_or_b64 exec, exec, s[8:9]
	v_mov_b32_e32 v76, 0
	ds_read_b64 v[76:77], v76 offset:192
	s_waitcnt lgkmcnt(0)
	v_mul_f64 v[72:73], v[72:73], v[76:77]
	buffer_store_dword v73, off, s[0:3], 0 offset:196
	buffer_store_dword v72, off, s[0:3], 0 offset:192
.LBB34_570:
	s_or_b64 exec, exec, s[6:7]
	buffer_load_dword v72, off, s[0:3], 0 offset:200
	buffer_load_dword v73, off, s[0:3], 0 offset:204
	v_cmp_gt_u32_e32 vcc, 25, v0
	s_waitcnt vmcnt(0)
	ds_write_b64 v74, v[72:73]
	s_waitcnt lgkmcnt(0)
	; wave barrier
	s_waitcnt lgkmcnt(0)
	s_and_saveexec_b64 s[6:7], vcc
	s_cbranch_execz .LBB34_580
; %bb.571:
	s_and_b64 vcc, exec, s[4:5]
	s_cbranch_vccnz .LBB34_573
; %bb.572:
	buffer_load_dword v72, v75, s[0:3], 0 offen
	buffer_load_dword v73, v75, s[0:3], 0 offen offset:4
	ds_read_b64 v[76:77], v74
	s_waitcnt vmcnt(0) lgkmcnt(0)
	v_mul_f64 v[72:73], v[72:73], v[76:77]
	s_cbranch_execz .LBB34_574
	s_branch .LBB34_575
.LBB34_573:
                                        ; implicit-def: $vgpr72_vgpr73
.LBB34_574:
	ds_read_b64 v[72:73], v74
.LBB34_575:
	v_cmp_ne_u32_e32 vcc, 24, v0
	s_and_saveexec_b64 s[8:9], vcc
	s_cbranch_execz .LBB34_579
; %bb.576:
	v_mov_b32_e32 v77, 0
	v_add_u32_e32 v76, 0x128, v1
	v_add3_u32 v77, v1, v77, 8
	s_mov_b64 s[10:11], 0
	v_mov_b32_e32 v78, v0
.LBB34_577:                             ; =>This Inner Loop Header: Depth=1
	buffer_load_dword v80, v77, s[0:3], 0 offen
	buffer_load_dword v81, v77, s[0:3], 0 offen offset:4
	ds_read_b64 v[82:83], v76
	v_add_u32_e32 v78, 1, v78
	v_cmp_lt_u32_e32 vcc, 23, v78
	v_add_u32_e32 v76, 8, v76
	v_add_u32_e32 v77, 8, v77
	s_or_b64 s[10:11], vcc, s[10:11]
	s_waitcnt vmcnt(0) lgkmcnt(0)
	v_fmac_f64_e32 v[72:73], v[80:81], v[82:83]
	s_andn2_b64 exec, exec, s[10:11]
	s_cbranch_execnz .LBB34_577
; %bb.578:
	s_or_b64 exec, exec, s[10:11]
.LBB34_579:
	s_or_b64 exec, exec, s[8:9]
	v_mov_b32_e32 v76, 0
	ds_read_b64 v[76:77], v76 offset:200
	s_waitcnt lgkmcnt(0)
	v_mul_f64 v[72:73], v[72:73], v[76:77]
	buffer_store_dword v73, off, s[0:3], 0 offset:204
	buffer_store_dword v72, off, s[0:3], 0 offset:200
.LBB34_580:
	s_or_b64 exec, exec, s[6:7]
	buffer_load_dword v72, off, s[0:3], 0 offset:208
	buffer_load_dword v73, off, s[0:3], 0 offset:212
	v_cmp_gt_u32_e32 vcc, 26, v0
	s_waitcnt vmcnt(0)
	ds_write_b64 v74, v[72:73]
	s_waitcnt lgkmcnt(0)
	; wave barrier
	s_waitcnt lgkmcnt(0)
	s_and_saveexec_b64 s[6:7], vcc
	s_cbranch_execz .LBB34_590
; %bb.581:
	s_and_b64 vcc, exec, s[4:5]
	s_cbranch_vccnz .LBB34_583
; %bb.582:
	buffer_load_dword v72, v75, s[0:3], 0 offen
	buffer_load_dword v73, v75, s[0:3], 0 offen offset:4
	ds_read_b64 v[76:77], v74
	s_waitcnt vmcnt(0) lgkmcnt(0)
	v_mul_f64 v[72:73], v[72:73], v[76:77]
	s_cbranch_execz .LBB34_584
	s_branch .LBB34_585
.LBB34_583:
                                        ; implicit-def: $vgpr72_vgpr73
.LBB34_584:
	ds_read_b64 v[72:73], v74
.LBB34_585:
	v_cmp_ne_u32_e32 vcc, 25, v0
	s_and_saveexec_b64 s[8:9], vcc
	s_cbranch_execz .LBB34_589
; %bb.586:
	v_mov_b32_e32 v77, 0
	v_add_u32_e32 v76, 0x128, v1
	v_add3_u32 v77, v1, v77, 8
	s_mov_b64 s[10:11], 0
	v_mov_b32_e32 v78, v0
.LBB34_587:                             ; =>This Inner Loop Header: Depth=1
	buffer_load_dword v80, v77, s[0:3], 0 offen
	buffer_load_dword v81, v77, s[0:3], 0 offen offset:4
	ds_read_b64 v[82:83], v76
	v_add_u32_e32 v78, 1, v78
	v_cmp_lt_u32_e32 vcc, 24, v78
	v_add_u32_e32 v76, 8, v76
	v_add_u32_e32 v77, 8, v77
	s_or_b64 s[10:11], vcc, s[10:11]
	s_waitcnt vmcnt(0) lgkmcnt(0)
	v_fmac_f64_e32 v[72:73], v[80:81], v[82:83]
	s_andn2_b64 exec, exec, s[10:11]
	s_cbranch_execnz .LBB34_587
; %bb.588:
	s_or_b64 exec, exec, s[10:11]
.LBB34_589:
	s_or_b64 exec, exec, s[8:9]
	v_mov_b32_e32 v76, 0
	ds_read_b64 v[76:77], v76 offset:208
	s_waitcnt lgkmcnt(0)
	v_mul_f64 v[72:73], v[72:73], v[76:77]
	buffer_store_dword v73, off, s[0:3], 0 offset:212
	buffer_store_dword v72, off, s[0:3], 0 offset:208
.LBB34_590:
	s_or_b64 exec, exec, s[6:7]
	buffer_load_dword v72, off, s[0:3], 0 offset:216
	buffer_load_dword v73, off, s[0:3], 0 offset:220
	v_cmp_gt_u32_e32 vcc, 27, v0
	s_waitcnt vmcnt(0)
	ds_write_b64 v74, v[72:73]
	s_waitcnt lgkmcnt(0)
	; wave barrier
	s_waitcnt lgkmcnt(0)
	s_and_saveexec_b64 s[6:7], vcc
	s_cbranch_execz .LBB34_600
; %bb.591:
	s_and_b64 vcc, exec, s[4:5]
	s_cbranch_vccnz .LBB34_593
; %bb.592:
	buffer_load_dword v72, v75, s[0:3], 0 offen
	buffer_load_dword v73, v75, s[0:3], 0 offen offset:4
	ds_read_b64 v[76:77], v74
	s_waitcnt vmcnt(0) lgkmcnt(0)
	v_mul_f64 v[72:73], v[72:73], v[76:77]
	s_cbranch_execz .LBB34_594
	s_branch .LBB34_595
.LBB34_593:
                                        ; implicit-def: $vgpr72_vgpr73
.LBB34_594:
	ds_read_b64 v[72:73], v74
.LBB34_595:
	v_cmp_ne_u32_e32 vcc, 26, v0
	s_and_saveexec_b64 s[8:9], vcc
	s_cbranch_execz .LBB34_599
; %bb.596:
	v_mov_b32_e32 v77, 0
	v_add_u32_e32 v76, 0x128, v1
	v_add3_u32 v77, v1, v77, 8
	s_mov_b64 s[10:11], 0
	v_mov_b32_e32 v78, v0
.LBB34_597:                             ; =>This Inner Loop Header: Depth=1
	buffer_load_dword v80, v77, s[0:3], 0 offen
	buffer_load_dword v81, v77, s[0:3], 0 offen offset:4
	ds_read_b64 v[82:83], v76
	v_add_u32_e32 v78, 1, v78
	v_cmp_lt_u32_e32 vcc, 25, v78
	v_add_u32_e32 v76, 8, v76
	v_add_u32_e32 v77, 8, v77
	s_or_b64 s[10:11], vcc, s[10:11]
	s_waitcnt vmcnt(0) lgkmcnt(0)
	v_fmac_f64_e32 v[72:73], v[80:81], v[82:83]
	s_andn2_b64 exec, exec, s[10:11]
	s_cbranch_execnz .LBB34_597
; %bb.598:
	s_or_b64 exec, exec, s[10:11]
.LBB34_599:
	s_or_b64 exec, exec, s[8:9]
	v_mov_b32_e32 v76, 0
	ds_read_b64 v[76:77], v76 offset:216
	s_waitcnt lgkmcnt(0)
	v_mul_f64 v[72:73], v[72:73], v[76:77]
	buffer_store_dword v73, off, s[0:3], 0 offset:220
	buffer_store_dword v72, off, s[0:3], 0 offset:216
.LBB34_600:
	s_or_b64 exec, exec, s[6:7]
	buffer_load_dword v72, off, s[0:3], 0 offset:224
	buffer_load_dword v73, off, s[0:3], 0 offset:228
	v_cmp_gt_u32_e32 vcc, 28, v0
	s_waitcnt vmcnt(0)
	ds_write_b64 v74, v[72:73]
	s_waitcnt lgkmcnt(0)
	; wave barrier
	s_waitcnt lgkmcnt(0)
	s_and_saveexec_b64 s[6:7], vcc
	s_cbranch_execz .LBB34_610
; %bb.601:
	s_and_b64 vcc, exec, s[4:5]
	s_cbranch_vccnz .LBB34_603
; %bb.602:
	buffer_load_dword v72, v75, s[0:3], 0 offen
	buffer_load_dword v73, v75, s[0:3], 0 offen offset:4
	ds_read_b64 v[76:77], v74
	s_waitcnt vmcnt(0) lgkmcnt(0)
	v_mul_f64 v[72:73], v[72:73], v[76:77]
	s_cbranch_execz .LBB34_604
	s_branch .LBB34_605
.LBB34_603:
                                        ; implicit-def: $vgpr72_vgpr73
.LBB34_604:
	ds_read_b64 v[72:73], v74
.LBB34_605:
	v_cmp_ne_u32_e32 vcc, 27, v0
	s_and_saveexec_b64 s[8:9], vcc
	s_cbranch_execz .LBB34_609
; %bb.606:
	v_mov_b32_e32 v77, 0
	v_add_u32_e32 v76, 0x128, v1
	v_add3_u32 v77, v1, v77, 8
	s_mov_b64 s[10:11], 0
	v_mov_b32_e32 v78, v0
.LBB34_607:                             ; =>This Inner Loop Header: Depth=1
	buffer_load_dword v80, v77, s[0:3], 0 offen
	buffer_load_dword v81, v77, s[0:3], 0 offen offset:4
	ds_read_b64 v[82:83], v76
	v_add_u32_e32 v78, 1, v78
	v_cmp_lt_u32_e32 vcc, 26, v78
	v_add_u32_e32 v76, 8, v76
	v_add_u32_e32 v77, 8, v77
	s_or_b64 s[10:11], vcc, s[10:11]
	s_waitcnt vmcnt(0) lgkmcnt(0)
	v_fmac_f64_e32 v[72:73], v[80:81], v[82:83]
	s_andn2_b64 exec, exec, s[10:11]
	s_cbranch_execnz .LBB34_607
; %bb.608:
	s_or_b64 exec, exec, s[10:11]
.LBB34_609:
	s_or_b64 exec, exec, s[8:9]
	v_mov_b32_e32 v76, 0
	ds_read_b64 v[76:77], v76 offset:224
	s_waitcnt lgkmcnt(0)
	v_mul_f64 v[72:73], v[72:73], v[76:77]
	buffer_store_dword v73, off, s[0:3], 0 offset:228
	buffer_store_dword v72, off, s[0:3], 0 offset:224
.LBB34_610:
	s_or_b64 exec, exec, s[6:7]
	buffer_load_dword v72, off, s[0:3], 0 offset:232
	buffer_load_dword v73, off, s[0:3], 0 offset:236
	v_cmp_gt_u32_e32 vcc, 29, v0
	s_waitcnt vmcnt(0)
	ds_write_b64 v74, v[72:73]
	s_waitcnt lgkmcnt(0)
	; wave barrier
	s_waitcnt lgkmcnt(0)
	s_and_saveexec_b64 s[6:7], vcc
	s_cbranch_execz .LBB34_620
; %bb.611:
	s_and_b64 vcc, exec, s[4:5]
	s_cbranch_vccnz .LBB34_613
; %bb.612:
	buffer_load_dword v72, v75, s[0:3], 0 offen
	buffer_load_dword v73, v75, s[0:3], 0 offen offset:4
	ds_read_b64 v[76:77], v74
	s_waitcnt vmcnt(0) lgkmcnt(0)
	v_mul_f64 v[72:73], v[72:73], v[76:77]
	s_cbranch_execz .LBB34_614
	s_branch .LBB34_615
.LBB34_613:
                                        ; implicit-def: $vgpr72_vgpr73
.LBB34_614:
	ds_read_b64 v[72:73], v74
.LBB34_615:
	v_cmp_ne_u32_e32 vcc, 28, v0
	s_and_saveexec_b64 s[8:9], vcc
	s_cbranch_execz .LBB34_619
; %bb.616:
	v_mov_b32_e32 v77, 0
	v_add_u32_e32 v76, 0x128, v1
	v_add3_u32 v77, v1, v77, 8
	s_mov_b64 s[10:11], 0
	v_mov_b32_e32 v78, v0
.LBB34_617:                             ; =>This Inner Loop Header: Depth=1
	buffer_load_dword v80, v77, s[0:3], 0 offen
	buffer_load_dword v81, v77, s[0:3], 0 offen offset:4
	ds_read_b64 v[82:83], v76
	v_add_u32_e32 v78, 1, v78
	v_cmp_lt_u32_e32 vcc, 27, v78
	v_add_u32_e32 v76, 8, v76
	v_add_u32_e32 v77, 8, v77
	s_or_b64 s[10:11], vcc, s[10:11]
	s_waitcnt vmcnt(0) lgkmcnt(0)
	v_fmac_f64_e32 v[72:73], v[80:81], v[82:83]
	s_andn2_b64 exec, exec, s[10:11]
	s_cbranch_execnz .LBB34_617
; %bb.618:
	s_or_b64 exec, exec, s[10:11]
.LBB34_619:
	s_or_b64 exec, exec, s[8:9]
	v_mov_b32_e32 v76, 0
	ds_read_b64 v[76:77], v76 offset:232
	s_waitcnt lgkmcnt(0)
	v_mul_f64 v[72:73], v[72:73], v[76:77]
	buffer_store_dword v73, off, s[0:3], 0 offset:236
	buffer_store_dword v72, off, s[0:3], 0 offset:232
.LBB34_620:
	s_or_b64 exec, exec, s[6:7]
	buffer_load_dword v72, off, s[0:3], 0 offset:240
	buffer_load_dword v73, off, s[0:3], 0 offset:244
	v_cmp_gt_u32_e32 vcc, 30, v0
	s_waitcnt vmcnt(0)
	ds_write_b64 v74, v[72:73]
	s_waitcnt lgkmcnt(0)
	; wave barrier
	s_waitcnt lgkmcnt(0)
	s_and_saveexec_b64 s[6:7], vcc
	s_cbranch_execz .LBB34_630
; %bb.621:
	s_and_b64 vcc, exec, s[4:5]
	s_cbranch_vccnz .LBB34_623
; %bb.622:
	buffer_load_dword v72, v75, s[0:3], 0 offen
	buffer_load_dword v73, v75, s[0:3], 0 offen offset:4
	ds_read_b64 v[76:77], v74
	s_waitcnt vmcnt(0) lgkmcnt(0)
	v_mul_f64 v[72:73], v[72:73], v[76:77]
	s_cbranch_execz .LBB34_624
	s_branch .LBB34_625
.LBB34_623:
                                        ; implicit-def: $vgpr72_vgpr73
.LBB34_624:
	ds_read_b64 v[72:73], v74
.LBB34_625:
	v_cmp_ne_u32_e32 vcc, 29, v0
	s_and_saveexec_b64 s[8:9], vcc
	s_cbranch_execz .LBB34_629
; %bb.626:
	v_mov_b32_e32 v77, 0
	v_add_u32_e32 v76, 0x128, v1
	v_add3_u32 v77, v1, v77, 8
	s_mov_b64 s[10:11], 0
	v_mov_b32_e32 v78, v0
.LBB34_627:                             ; =>This Inner Loop Header: Depth=1
	buffer_load_dword v80, v77, s[0:3], 0 offen
	buffer_load_dword v81, v77, s[0:3], 0 offen offset:4
	ds_read_b64 v[82:83], v76
	v_add_u32_e32 v78, 1, v78
	v_cmp_lt_u32_e32 vcc, 28, v78
	v_add_u32_e32 v76, 8, v76
	v_add_u32_e32 v77, 8, v77
	s_or_b64 s[10:11], vcc, s[10:11]
	s_waitcnt vmcnt(0) lgkmcnt(0)
	v_fmac_f64_e32 v[72:73], v[80:81], v[82:83]
	s_andn2_b64 exec, exec, s[10:11]
	s_cbranch_execnz .LBB34_627
; %bb.628:
	s_or_b64 exec, exec, s[10:11]
.LBB34_629:
	s_or_b64 exec, exec, s[8:9]
	v_mov_b32_e32 v76, 0
	ds_read_b64 v[76:77], v76 offset:240
	s_waitcnt lgkmcnt(0)
	v_mul_f64 v[72:73], v[72:73], v[76:77]
	buffer_store_dword v73, off, s[0:3], 0 offset:244
	buffer_store_dword v72, off, s[0:3], 0 offset:240
.LBB34_630:
	s_or_b64 exec, exec, s[6:7]
	buffer_load_dword v72, off, s[0:3], 0 offset:248
	buffer_load_dword v73, off, s[0:3], 0 offset:252
	v_cmp_gt_u32_e32 vcc, 31, v0
	s_waitcnt vmcnt(0)
	ds_write_b64 v74, v[72:73]
	s_waitcnt lgkmcnt(0)
	; wave barrier
	s_waitcnt lgkmcnt(0)
	s_and_saveexec_b64 s[6:7], vcc
	s_cbranch_execz .LBB34_640
; %bb.631:
	s_and_b64 vcc, exec, s[4:5]
	s_cbranch_vccnz .LBB34_633
; %bb.632:
	buffer_load_dword v72, v75, s[0:3], 0 offen
	buffer_load_dword v73, v75, s[0:3], 0 offen offset:4
	ds_read_b64 v[76:77], v74
	s_waitcnt vmcnt(0) lgkmcnt(0)
	v_mul_f64 v[72:73], v[72:73], v[76:77]
	s_cbranch_execz .LBB34_634
	s_branch .LBB34_635
.LBB34_633:
                                        ; implicit-def: $vgpr72_vgpr73
.LBB34_634:
	ds_read_b64 v[72:73], v74
.LBB34_635:
	v_cmp_ne_u32_e32 vcc, 30, v0
	s_and_saveexec_b64 s[8:9], vcc
	s_cbranch_execz .LBB34_639
; %bb.636:
	v_mov_b32_e32 v77, 0
	v_add_u32_e32 v76, 0x128, v1
	v_add3_u32 v77, v1, v77, 8
	s_mov_b64 s[10:11], 0
	v_mov_b32_e32 v78, v0
.LBB34_637:                             ; =>This Inner Loop Header: Depth=1
	buffer_load_dword v80, v77, s[0:3], 0 offen
	buffer_load_dword v81, v77, s[0:3], 0 offen offset:4
	ds_read_b64 v[82:83], v76
	v_add_u32_e32 v78, 1, v78
	v_cmp_lt_u32_e32 vcc, 29, v78
	v_add_u32_e32 v76, 8, v76
	v_add_u32_e32 v77, 8, v77
	s_or_b64 s[10:11], vcc, s[10:11]
	s_waitcnt vmcnt(0) lgkmcnt(0)
	v_fmac_f64_e32 v[72:73], v[80:81], v[82:83]
	s_andn2_b64 exec, exec, s[10:11]
	s_cbranch_execnz .LBB34_637
; %bb.638:
	s_or_b64 exec, exec, s[10:11]
.LBB34_639:
	s_or_b64 exec, exec, s[8:9]
	v_mov_b32_e32 v76, 0
	ds_read_b64 v[76:77], v76 offset:248
	s_waitcnt lgkmcnt(0)
	v_mul_f64 v[72:73], v[72:73], v[76:77]
	buffer_store_dword v73, off, s[0:3], 0 offset:252
	buffer_store_dword v72, off, s[0:3], 0 offset:248
.LBB34_640:
	s_or_b64 exec, exec, s[6:7]
	buffer_load_dword v72, off, s[0:3], 0 offset:256
	buffer_load_dword v73, off, s[0:3], 0 offset:260
	v_cmp_gt_u32_e32 vcc, 32, v0
	s_waitcnt vmcnt(0)
	ds_write_b64 v74, v[72:73]
	s_waitcnt lgkmcnt(0)
	; wave barrier
	s_waitcnt lgkmcnt(0)
	s_and_saveexec_b64 s[6:7], vcc
	s_cbranch_execz .LBB34_650
; %bb.641:
	s_and_b64 vcc, exec, s[4:5]
	s_cbranch_vccnz .LBB34_643
; %bb.642:
	buffer_load_dword v72, v75, s[0:3], 0 offen
	buffer_load_dword v73, v75, s[0:3], 0 offen offset:4
	ds_read_b64 v[76:77], v74
	s_waitcnt vmcnt(0) lgkmcnt(0)
	v_mul_f64 v[72:73], v[72:73], v[76:77]
	s_cbranch_execz .LBB34_644
	s_branch .LBB34_645
.LBB34_643:
                                        ; implicit-def: $vgpr72_vgpr73
.LBB34_644:
	ds_read_b64 v[72:73], v74
.LBB34_645:
	v_cmp_ne_u32_e32 vcc, 31, v0
	s_and_saveexec_b64 s[8:9], vcc
	s_cbranch_execz .LBB34_649
; %bb.646:
	v_mov_b32_e32 v77, 0
	v_add_u32_e32 v76, 0x128, v1
	v_add3_u32 v77, v1, v77, 8
	s_mov_b64 s[10:11], 0
	v_mov_b32_e32 v78, v0
.LBB34_647:                             ; =>This Inner Loop Header: Depth=1
	buffer_load_dword v80, v77, s[0:3], 0 offen
	buffer_load_dword v81, v77, s[0:3], 0 offen offset:4
	ds_read_b64 v[82:83], v76
	v_add_u32_e32 v78, 1, v78
	v_cmp_lt_u32_e32 vcc, 30, v78
	v_add_u32_e32 v76, 8, v76
	v_add_u32_e32 v77, 8, v77
	s_or_b64 s[10:11], vcc, s[10:11]
	s_waitcnt vmcnt(0) lgkmcnt(0)
	v_fmac_f64_e32 v[72:73], v[80:81], v[82:83]
	s_andn2_b64 exec, exec, s[10:11]
	s_cbranch_execnz .LBB34_647
; %bb.648:
	s_or_b64 exec, exec, s[10:11]
.LBB34_649:
	s_or_b64 exec, exec, s[8:9]
	v_mov_b32_e32 v76, 0
	ds_read_b64 v[76:77], v76 offset:256
	s_waitcnt lgkmcnt(0)
	v_mul_f64 v[72:73], v[72:73], v[76:77]
	buffer_store_dword v73, off, s[0:3], 0 offset:260
	buffer_store_dword v72, off, s[0:3], 0 offset:256
.LBB34_650:
	s_or_b64 exec, exec, s[6:7]
	buffer_load_dword v72, off, s[0:3], 0 offset:264
	buffer_load_dword v73, off, s[0:3], 0 offset:268
	v_cmp_gt_u32_e64 s[6:7], 33, v0
	s_waitcnt vmcnt(0)
	ds_write_b64 v74, v[72:73]
	s_waitcnt lgkmcnt(0)
	; wave barrier
	s_waitcnt lgkmcnt(0)
	s_and_saveexec_b64 s[8:9], s[6:7]
	s_cbranch_execz .LBB34_660
; %bb.651:
	s_and_b64 vcc, exec, s[4:5]
	s_cbranch_vccnz .LBB34_653
; %bb.652:
	buffer_load_dword v72, v75, s[0:3], 0 offen
	buffer_load_dword v73, v75, s[0:3], 0 offen offset:4
	ds_read_b64 v[76:77], v74
	s_waitcnt vmcnt(0) lgkmcnt(0)
	v_mul_f64 v[72:73], v[72:73], v[76:77]
	s_cbranch_execz .LBB34_654
	s_branch .LBB34_655
.LBB34_653:
                                        ; implicit-def: $vgpr72_vgpr73
.LBB34_654:
	ds_read_b64 v[72:73], v74
.LBB34_655:
	v_cmp_ne_u32_e32 vcc, 32, v0
	s_and_saveexec_b64 s[10:11], vcc
	s_cbranch_execz .LBB34_659
; %bb.656:
	v_mov_b32_e32 v77, 0
	v_add_u32_e32 v76, 0x128, v1
	v_add3_u32 v77, v1, v77, 8
	s_mov_b64 s[12:13], 0
	v_mov_b32_e32 v78, v0
.LBB34_657:                             ; =>This Inner Loop Header: Depth=1
	buffer_load_dword v80, v77, s[0:3], 0 offen
	buffer_load_dword v81, v77, s[0:3], 0 offen offset:4
	ds_read_b64 v[82:83], v76
	v_add_u32_e32 v78, 1, v78
	v_cmp_lt_u32_e32 vcc, 31, v78
	v_add_u32_e32 v76, 8, v76
	v_add_u32_e32 v77, 8, v77
	s_or_b64 s[12:13], vcc, s[12:13]
	s_waitcnt vmcnt(0) lgkmcnt(0)
	v_fmac_f64_e32 v[72:73], v[80:81], v[82:83]
	s_andn2_b64 exec, exec, s[12:13]
	s_cbranch_execnz .LBB34_657
; %bb.658:
	s_or_b64 exec, exec, s[12:13]
.LBB34_659:
	s_or_b64 exec, exec, s[10:11]
	v_mov_b32_e32 v76, 0
	ds_read_b64 v[76:77], v76 offset:264
	s_waitcnt lgkmcnt(0)
	v_mul_f64 v[72:73], v[72:73], v[76:77]
	buffer_store_dword v73, off, s[0:3], 0 offset:268
	buffer_store_dword v72, off, s[0:3], 0 offset:264
.LBB34_660:
	s_or_b64 exec, exec, s[8:9]
	buffer_load_dword v72, off, s[0:3], 0 offset:272
	buffer_load_dword v73, off, s[0:3], 0 offset:276
	v_cmp_ne_u32_e32 vcc, 34, v0
	s_waitcnt vmcnt(0)
	ds_write_b64 v74, v[72:73]
	s_waitcnt lgkmcnt(0)
	; wave barrier
	s_waitcnt lgkmcnt(0)
	s_and_saveexec_b64 s[8:9], vcc
	s_cbranch_execz .LBB34_670
; %bb.661:
	s_and_b64 vcc, exec, s[4:5]
	s_cbranch_vccnz .LBB34_663
; %bb.662:
	buffer_load_dword v72, v75, s[0:3], 0 offen
	buffer_load_dword v73, v75, s[0:3], 0 offen offset:4
	ds_read_b64 v[76:77], v74
	s_waitcnt vmcnt(0) lgkmcnt(0)
	v_mul_f64 v[72:73], v[72:73], v[76:77]
	s_cbranch_execz .LBB34_664
	s_branch .LBB34_665
.LBB34_663:
                                        ; implicit-def: $vgpr72_vgpr73
.LBB34_664:
	ds_read_b64 v[72:73], v74
.LBB34_665:
	s_and_saveexec_b64 s[4:5], s[6:7]
	s_cbranch_execz .LBB34_669
; %bb.666:
	v_mov_b32_e32 v75, 0
	v_add_u32_e32 v74, 0x128, v1
	v_add3_u32 v1, v1, v75, 8
	s_mov_b64 s[6:7], 0
.LBB34_667:                             ; =>This Inner Loop Header: Depth=1
	buffer_load_dword v76, v1, s[0:3], 0 offen
	buffer_load_dword v77, v1, s[0:3], 0 offen offset:4
	ds_read_b64 v[78:79], v74
	v_add_u32_e32 v0, 1, v0
	v_cmp_lt_u32_e32 vcc, 32, v0
	v_add_u32_e32 v74, 8, v74
	v_add_u32_e32 v1, 8, v1
	s_or_b64 s[6:7], vcc, s[6:7]
	s_waitcnt vmcnt(0) lgkmcnt(0)
	v_fmac_f64_e32 v[72:73], v[76:77], v[78:79]
	s_andn2_b64 exec, exec, s[6:7]
	s_cbranch_execnz .LBB34_667
; %bb.668:
	s_or_b64 exec, exec, s[6:7]
.LBB34_669:
	s_or_b64 exec, exec, s[4:5]
	v_mov_b32_e32 v0, 0
	ds_read_b64 v[0:1], v0 offset:272
	s_waitcnt lgkmcnt(0)
	v_mul_f64 v[0:1], v[72:73], v[0:1]
	buffer_store_dword v1, off, s[0:3], 0 offset:276
	buffer_store_dword v0, off, s[0:3], 0 offset:272
.LBB34_670:
	s_or_b64 exec, exec, s[8:9]
.LBB34_671:
	buffer_load_dword v0, off, s[0:3], 0
	buffer_load_dword v1, off, s[0:3], 0 offset:4
	buffer_load_dword v72, off, s[0:3], 0 offset:8
	;; [unrolled: 1-line block ×15, first 2 shown]
	s_waitcnt vmcnt(14)
	global_store_dwordx2 v[2:3], v[0:1], off
	s_waitcnt vmcnt(13)
	global_store_dwordx2 v[4:5], v[72:73], off
	;; [unrolled: 2-line block ×8, first 2 shown]
	buffer_load_dword v1, off, s[0:3], 0 offset:68
	buffer_load_dword v0, off, s[0:3], 0 offset:64
	s_waitcnt vmcnt(0)
	global_store_dwordx2 v[70:71], v[0:1], off
	buffer_load_dword v0, off, s[0:3], 0 offset:72
	s_nop 0
	buffer_load_dword v1, off, s[0:3], 0 offset:76
	s_waitcnt vmcnt(0)
	global_store_dwordx2 v[68:69], v[0:1], off
	buffer_load_dword v0, off, s[0:3], 0 offset:80
	s_nop 0
	;; [unrolled: 5-line block ×26, first 2 shown]
	buffer_load_dword v1, off, s[0:3], 0 offset:276
	s_waitcnt vmcnt(0)
	global_store_dwordx2 v[18:19], v[0:1], off
.LBB34_672:
	s_endpgm
	.section	.rodata,"a",@progbits
	.p2align	6, 0x0
	.amdhsa_kernel _ZN9rocsolver6v33100L18trti2_kernel_smallILi35EdPdEEv13rocblas_fill_17rocblas_diagonal_T1_iil
		.amdhsa_group_segment_fixed_size 568
		.amdhsa_private_segment_fixed_size 288
		.amdhsa_kernarg_size 32
		.amdhsa_user_sgpr_count 8
		.amdhsa_user_sgpr_private_segment_buffer 1
		.amdhsa_user_sgpr_dispatch_ptr 0
		.amdhsa_user_sgpr_queue_ptr 0
		.amdhsa_user_sgpr_kernarg_segment_ptr 1
		.amdhsa_user_sgpr_dispatch_id 0
		.amdhsa_user_sgpr_flat_scratch_init 1
		.amdhsa_user_sgpr_kernarg_preload_length 0
		.amdhsa_user_sgpr_kernarg_preload_offset 0
		.amdhsa_user_sgpr_private_segment_size 0
		.amdhsa_uses_dynamic_stack 0
		.amdhsa_system_sgpr_private_segment_wavefront_offset 1
		.amdhsa_system_sgpr_workgroup_id_x 1
		.amdhsa_system_sgpr_workgroup_id_y 0
		.amdhsa_system_sgpr_workgroup_id_z 0
		.amdhsa_system_sgpr_workgroup_info 0
		.amdhsa_system_vgpr_workitem_id 0
		.amdhsa_next_free_vgpr 128
		.amdhsa_next_free_sgpr 20
		.amdhsa_accum_offset 128
		.amdhsa_reserve_vcc 1
		.amdhsa_reserve_flat_scratch 0
		.amdhsa_float_round_mode_32 0
		.amdhsa_float_round_mode_16_64 0
		.amdhsa_float_denorm_mode_32 3
		.amdhsa_float_denorm_mode_16_64 3
		.amdhsa_dx10_clamp 1
		.amdhsa_ieee_mode 1
		.amdhsa_fp16_overflow 0
		.amdhsa_tg_split 0
		.amdhsa_exception_fp_ieee_invalid_op 0
		.amdhsa_exception_fp_denorm_src 0
		.amdhsa_exception_fp_ieee_div_zero 0
		.amdhsa_exception_fp_ieee_overflow 0
		.amdhsa_exception_fp_ieee_underflow 0
		.amdhsa_exception_fp_ieee_inexact 0
		.amdhsa_exception_int_div_zero 0
	.end_amdhsa_kernel
	.section	.text._ZN9rocsolver6v33100L18trti2_kernel_smallILi35EdPdEEv13rocblas_fill_17rocblas_diagonal_T1_iil,"axG",@progbits,_ZN9rocsolver6v33100L18trti2_kernel_smallILi35EdPdEEv13rocblas_fill_17rocblas_diagonal_T1_iil,comdat
.Lfunc_end34:
	.size	_ZN9rocsolver6v33100L18trti2_kernel_smallILi35EdPdEEv13rocblas_fill_17rocblas_diagonal_T1_iil, .Lfunc_end34-_ZN9rocsolver6v33100L18trti2_kernel_smallILi35EdPdEEv13rocblas_fill_17rocblas_diagonal_T1_iil
                                        ; -- End function
	.section	.AMDGPU.csdata,"",@progbits
; Kernel info:
; codeLenInByte = 20460
; NumSgprs: 24
; NumVgprs: 128
; NumAgprs: 0
; TotalNumVgprs: 128
; ScratchSize: 288
; MemoryBound: 0
; FloatMode: 240
; IeeeMode: 1
; LDSByteSize: 568 bytes/workgroup (compile time only)
; SGPRBlocks: 2
; VGPRBlocks: 15
; NumSGPRsForWavesPerEU: 24
; NumVGPRsForWavesPerEU: 128
; AccumOffset: 128
; Occupancy: 4
; WaveLimiterHint : 0
; COMPUTE_PGM_RSRC2:SCRATCH_EN: 1
; COMPUTE_PGM_RSRC2:USER_SGPR: 8
; COMPUTE_PGM_RSRC2:TRAP_HANDLER: 0
; COMPUTE_PGM_RSRC2:TGID_X_EN: 1
; COMPUTE_PGM_RSRC2:TGID_Y_EN: 0
; COMPUTE_PGM_RSRC2:TGID_Z_EN: 0
; COMPUTE_PGM_RSRC2:TIDIG_COMP_CNT: 0
; COMPUTE_PGM_RSRC3_GFX90A:ACCUM_OFFSET: 31
; COMPUTE_PGM_RSRC3_GFX90A:TG_SPLIT: 0
	.section	.text._ZN9rocsolver6v33100L18trti2_kernel_smallILi36EdPdEEv13rocblas_fill_17rocblas_diagonal_T1_iil,"axG",@progbits,_ZN9rocsolver6v33100L18trti2_kernel_smallILi36EdPdEEv13rocblas_fill_17rocblas_diagonal_T1_iil,comdat
	.globl	_ZN9rocsolver6v33100L18trti2_kernel_smallILi36EdPdEEv13rocblas_fill_17rocblas_diagonal_T1_iil ; -- Begin function _ZN9rocsolver6v33100L18trti2_kernel_smallILi36EdPdEEv13rocblas_fill_17rocblas_diagonal_T1_iil
	.p2align	8
	.type	_ZN9rocsolver6v33100L18trti2_kernel_smallILi36EdPdEEv13rocblas_fill_17rocblas_diagonal_T1_iil,@function
_ZN9rocsolver6v33100L18trti2_kernel_smallILi36EdPdEEv13rocblas_fill_17rocblas_diagonal_T1_iil: ; @_ZN9rocsolver6v33100L18trti2_kernel_smallILi36EdPdEEv13rocblas_fill_17rocblas_diagonal_T1_iil
; %bb.0:
	s_add_u32 s0, s0, s9
	s_addc_u32 s1, s1, 0
	v_cmp_gt_u32_e32 vcc, 36, v0
	s_and_saveexec_b64 s[6:7], vcc
	s_cbranch_execz .LBB35_692
; %bb.1:
	s_load_dwordx8 s[12:19], s[4:5], 0x0
	s_ashr_i32 s6, s8, 31
	v_lshlrev_b32_e32 v1, 3, v0
	v_mov_b32_e32 v109, 0
	s_waitcnt lgkmcnt(0)
	s_mul_i32 s7, s8, s19
	s_mul_hi_u32 s9, s8, s18
	s_add_i32 s7, s9, s7
	s_mul_i32 s6, s6, s18
	s_add_i32 s7, s7, s6
	s_mul_i32 s6, s8, s18
	s_ashr_i32 s5, s16, 31
	s_lshl_b64 s[6:7], s[6:7], 3
	s_mov_b32 s4, s16
	s_add_u32 s6, s14, s6
	s_addc_u32 s7, s15, s7
	s_lshl_b64 s[4:5], s[4:5], 3
	s_add_u32 s4, s6, s4
	s_addc_u32 s5, s7, s5
	v_mov_b32_e32 v3, s5
	v_add_co_u32_e32 v2, vcc, s4, v1
	s_ashr_i32 s7, s17, 31
	s_mov_b32 s6, s17
	v_addc_co_u32_e32 v3, vcc, 0, v3, vcc
	s_lshl_b64 s[6:7], s[6:7], 3
	v_add_co_u32_e32 v4, vcc, s6, v2
	s_add_i32 s6, s17, s17
	v_add_u32_e32 v8, s6, v0
	v_mov_b32_e32 v5, s7
	v_ashrrev_i32_e32 v9, 31, v8
	v_addc_co_u32_e32 v5, vcc, v3, v5, vcc
	v_lshlrev_b64 v[6:7], 3, v[8:9]
	v_add_u32_e32 v10, s17, v8
	v_mov_b32_e32 v9, s5
	v_add_co_u32_e32 v6, vcc, s4, v6
	v_ashrrev_i32_e32 v11, 31, v10
	v_addc_co_u32_e32 v7, vcc, v9, v7, vcc
	v_lshlrev_b64 v[8:9], 3, v[10:11]
	v_add_u32_e32 v12, s17, v10
	v_mov_b32_e32 v11, s5
	v_add_co_u32_e32 v8, vcc, s4, v8
	v_ashrrev_i32_e32 v13, 31, v12
	v_addc_co_u32_e32 v9, vcc, v11, v9, vcc
	v_lshlrev_b64 v[10:11], 3, v[12:13]
	v_add_u32_e32 v14, s17, v12
	v_mov_b32_e32 v13, s5
	v_add_co_u32_e32 v10, vcc, s4, v10
	v_ashrrev_i32_e32 v15, 31, v14
	v_addc_co_u32_e32 v11, vcc, v13, v11, vcc
	v_lshlrev_b64 v[12:13], 3, v[14:15]
	v_add_u32_e32 v16, s17, v14
	v_mov_b32_e32 v15, s5
	v_add_co_u32_e32 v12, vcc, s4, v12
	v_ashrrev_i32_e32 v17, 31, v16
	v_addc_co_u32_e32 v13, vcc, v15, v13, vcc
	v_lshlrev_b64 v[14:15], 3, v[16:17]
	v_add_u32_e32 v18, s17, v16
	v_mov_b32_e32 v17, s5
	v_add_co_u32_e32 v14, vcc, s4, v14
	v_ashrrev_i32_e32 v19, 31, v18
	v_addc_co_u32_e32 v15, vcc, v17, v15, vcc
	v_lshlrev_b64 v[16:17], 3, v[18:19]
	v_mov_b32_e32 v19, s5
	v_add_co_u32_e32 v16, vcc, s4, v16
	v_add_u32_e32 v18, s17, v18
	global_load_dwordx2 v[24:25], v1, s[4:5]
	global_load_dwordx2 v[32:33], v[4:5], off
	global_load_dwordx2 v[30:31], v[6:7], off
	;; [unrolled: 1-line block ×4, first 2 shown]
	v_addc_co_u32_e32 v17, vcc, v19, v17, vcc
	global_load_dwordx2 v[38:39], v[12:13], off
	global_load_dwordx2 v[36:37], v[14:15], off
	;; [unrolled: 1-line block ×3, first 2 shown]
	v_add_u32_e32 v22, s17, v18
	v_add_u32_e32 v44, s17, v22
	;; [unrolled: 1-line block ×12, first 2 shown]
	v_ashrrev_i32_e32 v19, 31, v18
	v_add_u32_e32 v72, s17, v70
	v_lshlrev_b64 v[20:21], 3, v[18:19]
	v_add_u32_e32 v74, s17, v72
	v_mov_b32_e32 v19, s5
	v_add_co_u32_e32 v20, vcc, s4, v20
	v_add_u32_e32 v76, s17, v74
	v_addc_co_u32_e32 v21, vcc, v19, v21, vcc
	v_add_u32_e32 v80, s17, v76
	global_load_dwordx2 v[42:43], v[20:21], off
	v_add_u32_e32 v82, s17, v80
	v_add_u32_e32 v84, s17, v82
	;; [unrolled: 1-line block ×8, first 2 shown]
	v_ashrrev_i32_e32 v23, 31, v22
	v_add_u32_e32 v98, s17, v96
	v_lshlrev_b64 v[18:19], 3, v[22:23]
	v_add_u32_e32 v100, s17, v98
	v_mov_b32_e32 v23, s5
	v_add_co_u32_e32 v18, vcc, s4, v18
	v_add_u32_e32 v22, s17, v100
	v_addc_co_u32_e32 v19, vcc, v23, v19, vcc
	v_ashrrev_i32_e32 v23, 31, v22
	v_lshlrev_b64 v[22:23], 3, v[22:23]
	v_mov_b32_e32 v45, s5
	v_add_co_u32_e32 v22, vcc, s4, v22
	v_addc_co_u32_e32 v23, vcc, v45, v23, vcc
	global_load_dwordx2 v[78:79], v[22:23], off
	global_load_dwordx2 v[40:41], v[18:19], off
	v_ashrrev_i32_e32 v45, 31, v44
	s_waitcnt vmcnt(10)
	buffer_store_dword v25, off, s[0:3], 0 offset:4
	buffer_store_dword v24, off, s[0:3], 0
	s_waitcnt vmcnt(11)
	buffer_store_dword v33, off, s[0:3], 0 offset:12
	buffer_store_dword v32, off, s[0:3], 0 offset:8
	s_waitcnt vmcnt(12)
	buffer_store_dword v31, off, s[0:3], 0 offset:20
	buffer_store_dword v30, off, s[0:3], 0 offset:16
	;; [unrolled: 3-line block ×8, first 2 shown]
	v_lshlrev_b64 v[24:25], 3, v[44:45]
	v_mov_b32_e32 v26, s5
	v_add_co_u32_e32 v60, vcc, s4, v24
	v_ashrrev_i32_e32 v47, 31, v46
	v_addc_co_u32_e32 v61, vcc, v26, v25, vcc
	v_lshlrev_b64 v[24:25], 3, v[46:47]
	v_add_co_u32_e32 v46, vcc, s4, v24
	v_ashrrev_i32_e32 v49, 31, v48
	v_addc_co_u32_e32 v47, vcc, v26, v25, vcc
	v_lshlrev_b64 v[24:25], 3, v[48:49]
	v_add_co_u32_e32 v24, vcc, s4, v24
	v_ashrrev_i32_e32 v51, 31, v50
	v_addc_co_u32_e32 v25, vcc, v26, v25, vcc
	v_lshlrev_b64 v[26:27], 3, v[50:51]
	v_mov_b32_e32 v28, s5
	v_add_co_u32_e32 v62, vcc, s4, v26
	v_ashrrev_i32_e32 v53, 31, v52
	v_addc_co_u32_e32 v63, vcc, v28, v27, vcc
	v_lshlrev_b64 v[26:27], 3, v[52:53]
	v_add_co_u32_e32 v48, vcc, s4, v26
	v_ashrrev_i32_e32 v55, 31, v54
	v_addc_co_u32_e32 v49, vcc, v28, v27, vcc
	v_lshlrev_b64 v[26:27], 3, v[54:55]
	v_add_co_u32_e32 v34, vcc, s4, v26
	v_ashrrev_i32_e32 v57, 31, v56
	v_addc_co_u32_e32 v35, vcc, v28, v27, vcc
	v_lshlrev_b64 v[26:27], 3, v[56:57]
	v_add_co_u32_e32 v26, vcc, s4, v26
	v_ashrrev_i32_e32 v59, 31, v58
	v_addc_co_u32_e32 v27, vcc, v28, v27, vcc
	v_lshlrev_b64 v[28:29], 3, v[58:59]
	v_mov_b32_e32 v30, s5
	v_add_co_u32_e32 v64, vcc, s4, v28
	v_ashrrev_i32_e32 v67, 31, v66
	v_addc_co_u32_e32 v65, vcc, v30, v29, vcc
	v_lshlrev_b64 v[28:29], 3, v[66:67]
	;; [unrolled: 17-line block ×3, first 2 shown]
	v_add_co_u32_e32 v52, vcc, s4, v30
	v_ashrrev_i32_e32 v77, 31, v76
	v_addc_co_u32_e32 v53, vcc, v32, v31, vcc
	v_lshlrev_b64 v[30:31], 3, v[76:77]
	v_add_co_u32_e32 v38, vcc, s4, v30
	v_ashrrev_i32_e32 v81, 31, v80
	v_addc_co_u32_e32 v39, vcc, v32, v31, vcc
	v_lshlrev_b64 v[30:31], 3, v[80:81]
	;; [unrolled: 4-line block ×3, first 2 shown]
	global_load_dwordx2 v[102:103], v[60:61], off
	global_load_dwordx2 v[104:105], v[46:47], off
	;; [unrolled: 1-line block ×3, first 2 shown]
	s_waitcnt vmcnt(21)
	buffer_store_dword v40, off, s[0:3], 0 offset:72
	buffer_store_dword v41, off, s[0:3], 0 offset:76
	v_mov_b32_e32 v40, s5
	v_add_co_u32_e32 v68, vcc, s4, v32
	v_ashrrev_i32_e32 v85, 31, v84
	v_addc_co_u32_e32 v69, vcc, v40, v33, vcc
	v_lshlrev_b64 v[32:33], 3, v[84:85]
	v_add_co_u32_e32 v54, vcc, s4, v32
	v_ashrrev_i32_e32 v87, 31, v86
	v_addc_co_u32_e32 v55, vcc, v40, v33, vcc
	v_lshlrev_b64 v[32:33], 3, v[86:87]
	v_mov_b32_e32 v41, s5
	v_add_co_u32_e32 v40, vcc, s4, v32
	v_ashrrev_i32_e32 v89, 31, v88
	v_addc_co_u32_e32 v41, vcc, v41, v33, vcc
	v_lshlrev_b64 v[32:33], 3, v[88:89]
	v_mov_b32_e32 v42, s5
	;; [unrolled: 5-line block ×3, first 2 shown]
	v_add_co_u32_e32 v70, vcc, s4, v42
	v_ashrrev_i32_e32 v93, 31, v92
	v_addc_co_u32_e32 v71, vcc, v44, v43, vcc
	v_lshlrev_b64 v[42:43], 3, v[92:93]
	v_add_co_u32_e32 v56, vcc, s4, v42
	v_ashrrev_i32_e32 v95, 31, v94
	v_addc_co_u32_e32 v57, vcc, v44, v43, vcc
	v_lshlrev_b64 v[42:43], 3, v[94:95]
	v_add_co_u32_e32 v42, vcc, s4, v42
	global_load_dwordx2 v[110:111], v[62:63], off
	global_load_dwordx2 v[112:113], v[48:49], off
	global_load_dwordx2 v[114:115], v[34:35], off
	global_load_dwordx2 v[116:117], v[26:27], off
	global_load_dwordx2 v[118:119], v[64:65], off
	global_load_dwordx2 v[120:121], v[50:51], off
	global_load_dwordx2 v[122:123], v[36:37], off
	global_load_dwordx2 v[124:125], v[28:29], off
	global_load_dwordx2 v[74:75], v[66:67], off
	global_load_dwordx2 v[76:77], v[52:53], off
	global_load_dwordx2 v[80:81], v[38:39], off
	global_load_dwordx2 v[126:127], v[30:31], off
	global_load_dwordx2 v[82:83], v[68:69], off
	global_load_dwordx2 v[84:85], v[54:55], off
	global_load_dwordx2 v[86:87], v[40:41], off
	global_load_dwordx2 v[88:89], v[32:33], off
	v_addc_co_u32_e32 v43, vcc, v44, v43, vcc
	global_load_dwordx2 v[90:91], v[70:71], off
	global_load_dwordx2 v[92:93], v[56:57], off
	;; [unrolled: 1-line block ×3, first 2 shown]
	v_ashrrev_i32_e32 v97, 31, v96
	v_lshlrev_b64 v[44:45], 3, v[96:97]
	v_mov_b32_e32 v58, s5
	v_add_co_u32_e32 v72, vcc, s4, v44
	v_ashrrev_i32_e32 v99, 31, v98
	v_addc_co_u32_e32 v73, vcc, v58, v45, vcc
	v_lshlrev_b64 v[44:45], 3, v[98:99]
	v_mov_b32_e32 v59, s5
	v_add_co_u32_e32 v58, vcc, s4, v44
	v_ashrrev_i32_e32 v101, 31, v100
	v_addc_co_u32_e32 v59, vcc, v59, v45, vcc
	v_lshlrev_b64 v[44:45], 3, v[100:101]
	v_mov_b32_e32 v96, s5
	v_add_co_u32_e32 v44, vcc, s4, v44
	v_addc_co_u32_e32 v45, vcc, v96, v45, vcc
	global_load_dwordx2 v[96:97], v[72:73], off
	global_load_dwordx2 v[98:99], v[58:59], off
	;; [unrolled: 1-line block ×3, first 2 shown]
	s_cmpk_lg_i32 s13, 0x84
	s_cselect_b64 s[8:9], -1, 0
	s_cmpk_eq_i32 s13, 0x84
	s_waitcnt vmcnt(26)
	buffer_store_dword v102, off, s[0:3], 0 offset:80
	buffer_store_dword v103, off, s[0:3], 0 offset:84
	s_waitcnt vmcnt(27)
	buffer_store_dword v104, off, s[0:3], 0 offset:88
	buffer_store_dword v105, off, s[0:3], 0 offset:92
	;; [unrolled: 3-line block ×25, first 2 shown]
	buffer_store_dword v78, off, s[0:3], 0 offset:280
	buffer_store_dword v79, off, s[0:3], 0 offset:284
	v_mov_b32_e32 v74, 0
	v_mov_b32_e32 v75, 0xbff00000
	s_cbranch_scc1 .LBB35_3
; %bb.2:
	v_lshl_add_u32 v84, v0, 3, v109
	buffer_load_dword v74, v84, s[0:3], 0 offen
	buffer_load_dword v75, v84, s[0:3], 0 offen offset:4
	s_waitcnt vmcnt(0)
	v_div_scale_f64 v[76:77], s[4:5], v[74:75], v[74:75], 1.0
	v_rcp_f64_e32 v[78:79], v[76:77]
	v_div_scale_f64 v[80:81], vcc, 1.0, v[74:75], 1.0
	v_fma_f64 v[82:83], -v[76:77], v[78:79], 1.0
	v_fmac_f64_e32 v[78:79], v[78:79], v[82:83]
	v_fma_f64 v[82:83], -v[76:77], v[78:79], 1.0
	v_fmac_f64_e32 v[78:79], v[78:79], v[82:83]
	v_mul_f64 v[82:83], v[80:81], v[78:79]
	v_fma_f64 v[76:77], -v[76:77], v[82:83], v[80:81]
	v_div_fmas_f64 v[76:77], v[76:77], v[78:79], v[82:83]
	v_div_fixup_f64 v[74:75], v[76:77], v[74:75], 1.0
	buffer_store_dword v74, v84, s[0:3], 0 offen
	buffer_store_dword v75, v84, s[0:3], 0 offen offset:4
	v_xor_b32_e32 v75, 0x80000000, v75
.LBB35_3:
	s_cmpk_eq_i32 s12, 0x79
	v_add_u32_e32 v76, 0x120, v1
	v_add_u32_e32 v77, 0, v1
	s_mov_b64 s[4:5], -1
	ds_write_b64 v1, v[74:75]
	s_cbranch_scc1 .LBB35_347
; %bb.4:
	buffer_load_dword v74, off, s[0:3], 0 offset:272
	buffer_load_dword v75, off, s[0:3], 0 offset:276
	v_cmp_eq_u32_e64 s[4:5], 35, v0
	s_waitcnt vmcnt(0)
	ds_write_b64 v76, v[74:75]
	s_waitcnt lgkmcnt(0)
	; wave barrier
	s_waitcnt lgkmcnt(0)
	s_and_saveexec_b64 s[6:7], s[4:5]
	s_cbranch_execz .LBB35_10
; %bb.5:
	s_and_b64 vcc, exec, s[8:9]
	s_cbranch_vccz .LBB35_7
; %bb.6:
	buffer_load_dword v74, v77, s[0:3], 0 offen
	buffer_load_dword v75, v77, s[0:3], 0 offen offset:4
	ds_read_b64 v[78:79], v76
	s_waitcnt vmcnt(0) lgkmcnt(0)
	v_mul_f64 v[74:75], v[74:75], v[78:79]
	s_cbranch_execz .LBB35_8
	s_branch .LBB35_9
.LBB35_7:
                                        ; implicit-def: $vgpr74_vgpr75
.LBB35_8:
	ds_read_b64 v[74:75], v76
.LBB35_9:
	v_mov_b32_e32 v78, 0
	ds_read_b64 v[78:79], v78 offset:272
	s_waitcnt lgkmcnt(0)
	v_mul_f64 v[74:75], v[74:75], v[78:79]
	buffer_store_dword v75, off, s[0:3], 0 offset:276
	buffer_store_dword v74, off, s[0:3], 0 offset:272
.LBB35_10:
	s_or_b64 exec, exec, s[6:7]
	buffer_load_dword v74, off, s[0:3], 0 offset:264
	buffer_load_dword v75, off, s[0:3], 0 offset:268
	v_or_b32_e32 v78, 8, v109
	v_add_u32_e32 v79, 16, v109
	v_add_u32_e32 v80, 24, v109
	;; [unrolled: 1-line block ×32, first 2 shown]
	v_cmp_lt_u32_e64 s[6:7], 33, v0
	s_waitcnt vmcnt(0)
	ds_write_b64 v76, v[74:75]
	s_waitcnt lgkmcnt(0)
	; wave barrier
	s_waitcnt lgkmcnt(0)
	s_and_saveexec_b64 s[10:11], s[6:7]
	s_cbranch_execz .LBB35_16
; %bb.11:
	s_andn2_b64 vcc, exec, s[8:9]
	s_cbranch_vccnz .LBB35_13
; %bb.12:
	buffer_load_dword v74, v77, s[0:3], 0 offen
	buffer_load_dword v75, v77, s[0:3], 0 offen offset:4
	ds_read_b64 v[112:113], v76
	s_waitcnt vmcnt(0) lgkmcnt(0)
	v_mul_f64 v[74:75], v[74:75], v[112:113]
	s_cbranch_execz .LBB35_14
	s_branch .LBB35_15
.LBB35_13:
                                        ; implicit-def: $vgpr74_vgpr75
.LBB35_14:
	ds_read_b64 v[74:75], v76
.LBB35_15:
	buffer_load_dword v116, off, s[0:3], 0 offset:272
	buffer_load_dword v117, off, s[0:3], 0 offset:276
	v_mov_b32_e32 v111, 0
	ds_read2_b64 v[112:115], v111 offset0:33 offset1:70
	s_waitcnt vmcnt(0) lgkmcnt(0)
	v_fma_f64 v[114:115], v[116:117], v[114:115], v[74:75]
	v_cndmask_b32_e64 v75, v75, v115, s[4:5]
	v_cndmask_b32_e64 v74, v74, v114, s[4:5]
	v_mul_f64 v[74:75], v[74:75], v[112:113]
	buffer_store_dword v75, off, s[0:3], 0 offset:268
	buffer_store_dword v74, off, s[0:3], 0 offset:264
.LBB35_16:
	s_or_b64 exec, exec, s[10:11]
	buffer_load_dword v74, off, s[0:3], 0 offset:256
	buffer_load_dword v75, off, s[0:3], 0 offset:260
	v_cmp_lt_u32_e64 s[4:5], 32, v0
	s_waitcnt vmcnt(0)
	ds_write_b64 v76, v[74:75]
	s_waitcnt lgkmcnt(0)
	; wave barrier
	s_waitcnt lgkmcnt(0)
	s_and_saveexec_b64 s[10:11], s[4:5]
	s_cbranch_execz .LBB35_26
; %bb.17:
	s_andn2_b64 vcc, exec, s[8:9]
	s_cbranch_vccnz .LBB35_19
; %bb.18:
	buffer_load_dword v74, v77, s[0:3], 0 offen
	buffer_load_dword v75, v77, s[0:3], 0 offen offset:4
	ds_read_b64 v[112:113], v76
	s_waitcnt vmcnt(0) lgkmcnt(0)
	v_mul_f64 v[74:75], v[74:75], v[112:113]
	s_cbranch_execz .LBB35_20
	s_branch .LBB35_21
.LBB35_19:
                                        ; implicit-def: $vgpr74_vgpr75
.LBB35_20:
	ds_read_b64 v[74:75], v76
.LBB35_21:
	s_and_saveexec_b64 s[12:13], s[6:7]
	s_cbranch_execz .LBB35_25
; %bb.22:
	v_subrev_u32_e32 v111, 33, v0
	s_movk_i32 s14, 0x228
	s_mov_b64 s[6:7], 0
.LBB35_23:                              ; =>This Inner Loop Header: Depth=1
	buffer_load_dword v112, v109, s[0:3], 0 offen
	buffer_load_dword v113, v109, s[0:3], 0 offen offset:4
	v_mov_b32_e32 v114, s14
	ds_read_b64 v[114:115], v114
	v_add_u32_e32 v111, -1, v111
	s_add_i32 s14, s14, 8
	v_cmp_eq_u32_e32 vcc, 0, v111
	v_add_u32_e32 v109, 8, v109
	s_or_b64 s[6:7], vcc, s[6:7]
	s_waitcnt vmcnt(0) lgkmcnt(0)
	v_fmac_f64_e32 v[74:75], v[112:113], v[114:115]
	s_andn2_b64 exec, exec, s[6:7]
	s_cbranch_execnz .LBB35_23
; %bb.24:
	s_or_b64 exec, exec, s[6:7]
.LBB35_25:
	s_or_b64 exec, exec, s[12:13]
	v_mov_b32_e32 v109, 0
	ds_read_b64 v[112:113], v109 offset:256
	s_waitcnt lgkmcnt(0)
	v_mul_f64 v[74:75], v[74:75], v[112:113]
	buffer_store_dword v75, off, s[0:3], 0 offset:260
	buffer_store_dword v74, off, s[0:3], 0 offset:256
.LBB35_26:
	s_or_b64 exec, exec, s[10:11]
	buffer_load_dword v74, off, s[0:3], 0 offset:248
	buffer_load_dword v75, off, s[0:3], 0 offset:252
	v_cmp_lt_u32_e64 s[6:7], 31, v0
	s_waitcnt vmcnt(0)
	ds_write_b64 v76, v[74:75]
	s_waitcnt lgkmcnt(0)
	; wave barrier
	s_waitcnt lgkmcnt(0)
	s_and_saveexec_b64 s[10:11], s[6:7]
	s_cbranch_execz .LBB35_36
; %bb.27:
	s_andn2_b64 vcc, exec, s[8:9]
	s_cbranch_vccnz .LBB35_29
; %bb.28:
	buffer_load_dword v74, v77, s[0:3], 0 offen
	buffer_load_dword v75, v77, s[0:3], 0 offen offset:4
	ds_read_b64 v[112:113], v76
	s_waitcnt vmcnt(0) lgkmcnt(0)
	v_mul_f64 v[74:75], v[74:75], v[112:113]
	s_cbranch_execz .LBB35_30
	s_branch .LBB35_31
.LBB35_29:
                                        ; implicit-def: $vgpr74_vgpr75
.LBB35_30:
	ds_read_b64 v[74:75], v76
.LBB35_31:
	s_and_saveexec_b64 s[12:13], s[4:5]
	s_cbranch_execz .LBB35_35
; %bb.32:
	v_subrev_u32_e32 v109, 32, v0
	s_movk_i32 s14, 0x220
	s_mov_b64 s[4:5], 0
.LBB35_33:                              ; =>This Inner Loop Header: Depth=1
	buffer_load_dword v112, v110, s[0:3], 0 offen
	buffer_load_dword v113, v110, s[0:3], 0 offen offset:4
	v_mov_b32_e32 v111, s14
	ds_read_b64 v[114:115], v111
	v_add_u32_e32 v109, -1, v109
	s_add_i32 s14, s14, 8
	v_cmp_eq_u32_e32 vcc, 0, v109
	v_add_u32_e32 v110, 8, v110
	s_or_b64 s[4:5], vcc, s[4:5]
	s_waitcnt vmcnt(0) lgkmcnt(0)
	v_fmac_f64_e32 v[74:75], v[112:113], v[114:115]
	s_andn2_b64 exec, exec, s[4:5]
	s_cbranch_execnz .LBB35_33
; %bb.34:
	s_or_b64 exec, exec, s[4:5]
.LBB35_35:
	s_or_b64 exec, exec, s[12:13]
	v_mov_b32_e32 v109, 0
	ds_read_b64 v[110:111], v109 offset:248
	s_waitcnt lgkmcnt(0)
	v_mul_f64 v[74:75], v[74:75], v[110:111]
	buffer_store_dword v75, off, s[0:3], 0 offset:252
	buffer_store_dword v74, off, s[0:3], 0 offset:248
.LBB35_36:
	s_or_b64 exec, exec, s[10:11]
	buffer_load_dword v74, off, s[0:3], 0 offset:240
	buffer_load_dword v75, off, s[0:3], 0 offset:244
	v_cmp_lt_u32_e64 s[4:5], 30, v0
	s_waitcnt vmcnt(0)
	ds_write_b64 v76, v[74:75]
	s_waitcnt lgkmcnt(0)
	; wave barrier
	s_waitcnt lgkmcnt(0)
	s_and_saveexec_b64 s[10:11], s[4:5]
	s_cbranch_execz .LBB35_46
; %bb.37:
	s_andn2_b64 vcc, exec, s[8:9]
	s_cbranch_vccnz .LBB35_39
; %bb.38:
	buffer_load_dword v74, v77, s[0:3], 0 offen
	buffer_load_dword v75, v77, s[0:3], 0 offen offset:4
	ds_read_b64 v[110:111], v76
	s_waitcnt vmcnt(0) lgkmcnt(0)
	v_mul_f64 v[74:75], v[74:75], v[110:111]
	s_cbranch_execz .LBB35_40
	s_branch .LBB35_41
.LBB35_39:
                                        ; implicit-def: $vgpr74_vgpr75
.LBB35_40:
	ds_read_b64 v[74:75], v76
.LBB35_41:
	s_and_saveexec_b64 s[12:13], s[6:7]
	s_cbranch_execz .LBB35_45
; %bb.42:
	v_subrev_u32_e32 v109, 31, v0
	s_movk_i32 s14, 0x218
	s_mov_b64 s[6:7], 0
.LBB35_43:                              ; =>This Inner Loop Header: Depth=1
	buffer_load_dword v110, v108, s[0:3], 0 offen
	buffer_load_dword v111, v108, s[0:3], 0 offen offset:4
	v_mov_b32_e32 v112, s14
	ds_read_b64 v[112:113], v112
	v_add_u32_e32 v109, -1, v109
	s_add_i32 s14, s14, 8
	v_cmp_eq_u32_e32 vcc, 0, v109
	v_add_u32_e32 v108, 8, v108
	s_or_b64 s[6:7], vcc, s[6:7]
	s_waitcnt vmcnt(0) lgkmcnt(0)
	v_fmac_f64_e32 v[74:75], v[110:111], v[112:113]
	s_andn2_b64 exec, exec, s[6:7]
	s_cbranch_execnz .LBB35_43
; %bb.44:
	s_or_b64 exec, exec, s[6:7]
.LBB35_45:
	s_or_b64 exec, exec, s[12:13]
	v_mov_b32_e32 v108, 0
	ds_read_b64 v[108:109], v108 offset:240
	s_waitcnt lgkmcnt(0)
	v_mul_f64 v[74:75], v[74:75], v[108:109]
	buffer_store_dword v75, off, s[0:3], 0 offset:244
	buffer_store_dword v74, off, s[0:3], 0 offset:240
.LBB35_46:
	s_or_b64 exec, exec, s[10:11]
	buffer_load_dword v74, off, s[0:3], 0 offset:232
	buffer_load_dword v75, off, s[0:3], 0 offset:236
	v_cmp_lt_u32_e64 s[6:7], 29, v0
	s_waitcnt vmcnt(0)
	ds_write_b64 v76, v[74:75]
	s_waitcnt lgkmcnt(0)
	; wave barrier
	s_waitcnt lgkmcnt(0)
	s_and_saveexec_b64 s[10:11], s[6:7]
	s_cbranch_execz .LBB35_56
; %bb.47:
	s_andn2_b64 vcc, exec, s[8:9]
	s_cbranch_vccnz .LBB35_49
; %bb.48:
	buffer_load_dword v74, v77, s[0:3], 0 offen
	buffer_load_dword v75, v77, s[0:3], 0 offen offset:4
	ds_read_b64 v[108:109], v76
	s_waitcnt vmcnt(0) lgkmcnt(0)
	v_mul_f64 v[74:75], v[74:75], v[108:109]
	s_cbranch_execz .LBB35_50
	s_branch .LBB35_51
.LBB35_49:
                                        ; implicit-def: $vgpr74_vgpr75
.LBB35_50:
	ds_read_b64 v[74:75], v76
.LBB35_51:
	s_and_saveexec_b64 s[12:13], s[4:5]
	s_cbranch_execz .LBB35_55
; %bb.52:
	v_subrev_u32_e32 v108, 30, v0
	s_movk_i32 s14, 0x210
	s_mov_b64 s[4:5], 0
.LBB35_53:                              ; =>This Inner Loop Header: Depth=1
	buffer_load_dword v110, v107, s[0:3], 0 offen
	buffer_load_dword v111, v107, s[0:3], 0 offen offset:4
	v_mov_b32_e32 v109, s14
	ds_read_b64 v[112:113], v109
	v_add_u32_e32 v108, -1, v108
	s_add_i32 s14, s14, 8
	v_cmp_eq_u32_e32 vcc, 0, v108
	v_add_u32_e32 v107, 8, v107
	s_or_b64 s[4:5], vcc, s[4:5]
	s_waitcnt vmcnt(0) lgkmcnt(0)
	v_fmac_f64_e32 v[74:75], v[110:111], v[112:113]
	s_andn2_b64 exec, exec, s[4:5]
	s_cbranch_execnz .LBB35_53
; %bb.54:
	s_or_b64 exec, exec, s[4:5]
.LBB35_55:
	s_or_b64 exec, exec, s[12:13]
	v_mov_b32_e32 v107, 0
	ds_read_b64 v[108:109], v107 offset:232
	s_waitcnt lgkmcnt(0)
	v_mul_f64 v[74:75], v[74:75], v[108:109]
	buffer_store_dword v75, off, s[0:3], 0 offset:236
	buffer_store_dword v74, off, s[0:3], 0 offset:232
.LBB35_56:
	s_or_b64 exec, exec, s[10:11]
	buffer_load_dword v74, off, s[0:3], 0 offset:224
	buffer_load_dword v75, off, s[0:3], 0 offset:228
	v_cmp_lt_u32_e64 s[4:5], 28, v0
	s_waitcnt vmcnt(0)
	ds_write_b64 v76, v[74:75]
	s_waitcnt lgkmcnt(0)
	; wave barrier
	s_waitcnt lgkmcnt(0)
	s_and_saveexec_b64 s[10:11], s[4:5]
	s_cbranch_execz .LBB35_66
; %bb.57:
	s_andn2_b64 vcc, exec, s[8:9]
	s_cbranch_vccnz .LBB35_59
; %bb.58:
	buffer_load_dword v74, v77, s[0:3], 0 offen
	buffer_load_dword v75, v77, s[0:3], 0 offen offset:4
	ds_read_b64 v[108:109], v76
	s_waitcnt vmcnt(0) lgkmcnt(0)
	v_mul_f64 v[74:75], v[74:75], v[108:109]
	s_cbranch_execz .LBB35_60
	s_branch .LBB35_61
.LBB35_59:
                                        ; implicit-def: $vgpr74_vgpr75
.LBB35_60:
	ds_read_b64 v[74:75], v76
.LBB35_61:
	s_and_saveexec_b64 s[12:13], s[6:7]
	s_cbranch_execz .LBB35_65
; %bb.62:
	v_subrev_u32_e32 v107, 29, v0
	s_movk_i32 s14, 0x208
	s_mov_b64 s[6:7], 0
.LBB35_63:                              ; =>This Inner Loop Header: Depth=1
	buffer_load_dword v108, v106, s[0:3], 0 offen
	buffer_load_dword v109, v106, s[0:3], 0 offen offset:4
	v_mov_b32_e32 v110, s14
	ds_read_b64 v[110:111], v110
	v_add_u32_e32 v107, -1, v107
	s_add_i32 s14, s14, 8
	v_cmp_eq_u32_e32 vcc, 0, v107
	v_add_u32_e32 v106, 8, v106
	s_or_b64 s[6:7], vcc, s[6:7]
	s_waitcnt vmcnt(0) lgkmcnt(0)
	v_fmac_f64_e32 v[74:75], v[108:109], v[110:111]
	s_andn2_b64 exec, exec, s[6:7]
	s_cbranch_execnz .LBB35_63
; %bb.64:
	s_or_b64 exec, exec, s[6:7]
.LBB35_65:
	s_or_b64 exec, exec, s[12:13]
	v_mov_b32_e32 v106, 0
	ds_read_b64 v[106:107], v106 offset:224
	s_waitcnt lgkmcnt(0)
	v_mul_f64 v[74:75], v[74:75], v[106:107]
	buffer_store_dword v75, off, s[0:3], 0 offset:228
	buffer_store_dword v74, off, s[0:3], 0 offset:224
.LBB35_66:
	s_or_b64 exec, exec, s[10:11]
	buffer_load_dword v74, off, s[0:3], 0 offset:216
	buffer_load_dword v75, off, s[0:3], 0 offset:220
	v_cmp_lt_u32_e64 s[6:7], 27, v0
	s_waitcnt vmcnt(0)
	ds_write_b64 v76, v[74:75]
	s_waitcnt lgkmcnt(0)
	; wave barrier
	s_waitcnt lgkmcnt(0)
	s_and_saveexec_b64 s[10:11], s[6:7]
	s_cbranch_execz .LBB35_76
; %bb.67:
	s_andn2_b64 vcc, exec, s[8:9]
	s_cbranch_vccnz .LBB35_69
; %bb.68:
	buffer_load_dword v74, v77, s[0:3], 0 offen
	buffer_load_dword v75, v77, s[0:3], 0 offen offset:4
	ds_read_b64 v[106:107], v76
	s_waitcnt vmcnt(0) lgkmcnt(0)
	v_mul_f64 v[74:75], v[74:75], v[106:107]
	s_cbranch_execz .LBB35_70
	s_branch .LBB35_71
.LBB35_69:
                                        ; implicit-def: $vgpr74_vgpr75
.LBB35_70:
	ds_read_b64 v[74:75], v76
.LBB35_71:
	s_and_saveexec_b64 s[12:13], s[4:5]
	s_cbranch_execz .LBB35_75
; %bb.72:
	v_subrev_u32_e32 v106, 28, v0
	s_movk_i32 s14, 0x200
	s_mov_b64 s[4:5], 0
.LBB35_73:                              ; =>This Inner Loop Header: Depth=1
	buffer_load_dword v108, v105, s[0:3], 0 offen
	buffer_load_dword v109, v105, s[0:3], 0 offen offset:4
	v_mov_b32_e32 v107, s14
	ds_read_b64 v[110:111], v107
	v_add_u32_e32 v106, -1, v106
	s_add_i32 s14, s14, 8
	v_cmp_eq_u32_e32 vcc, 0, v106
	v_add_u32_e32 v105, 8, v105
	s_or_b64 s[4:5], vcc, s[4:5]
	s_waitcnt vmcnt(0) lgkmcnt(0)
	v_fmac_f64_e32 v[74:75], v[108:109], v[110:111]
	s_andn2_b64 exec, exec, s[4:5]
	s_cbranch_execnz .LBB35_73
; %bb.74:
	s_or_b64 exec, exec, s[4:5]
.LBB35_75:
	s_or_b64 exec, exec, s[12:13]
	v_mov_b32_e32 v105, 0
	ds_read_b64 v[106:107], v105 offset:216
	s_waitcnt lgkmcnt(0)
	v_mul_f64 v[74:75], v[74:75], v[106:107]
	buffer_store_dword v75, off, s[0:3], 0 offset:220
	buffer_store_dword v74, off, s[0:3], 0 offset:216
.LBB35_76:
	s_or_b64 exec, exec, s[10:11]
	buffer_load_dword v74, off, s[0:3], 0 offset:208
	buffer_load_dword v75, off, s[0:3], 0 offset:212
	v_cmp_lt_u32_e64 s[4:5], 26, v0
	s_waitcnt vmcnt(0)
	ds_write_b64 v76, v[74:75]
	s_waitcnt lgkmcnt(0)
	; wave barrier
	s_waitcnt lgkmcnt(0)
	s_and_saveexec_b64 s[10:11], s[4:5]
	s_cbranch_execz .LBB35_86
; %bb.77:
	s_andn2_b64 vcc, exec, s[8:9]
	s_cbranch_vccnz .LBB35_79
; %bb.78:
	buffer_load_dword v74, v77, s[0:3], 0 offen
	buffer_load_dword v75, v77, s[0:3], 0 offen offset:4
	ds_read_b64 v[106:107], v76
	s_waitcnt vmcnt(0) lgkmcnt(0)
	v_mul_f64 v[74:75], v[74:75], v[106:107]
	s_cbranch_execz .LBB35_80
	s_branch .LBB35_81
.LBB35_79:
                                        ; implicit-def: $vgpr74_vgpr75
.LBB35_80:
	ds_read_b64 v[74:75], v76
.LBB35_81:
	s_and_saveexec_b64 s[12:13], s[6:7]
	s_cbranch_execz .LBB35_85
; %bb.82:
	v_subrev_u32_e32 v105, 27, v0
	s_movk_i32 s14, 0x1f8
	s_mov_b64 s[6:7], 0
.LBB35_83:                              ; =>This Inner Loop Header: Depth=1
	buffer_load_dword v106, v104, s[0:3], 0 offen
	buffer_load_dword v107, v104, s[0:3], 0 offen offset:4
	v_mov_b32_e32 v108, s14
	ds_read_b64 v[108:109], v108
	v_add_u32_e32 v105, -1, v105
	s_add_i32 s14, s14, 8
	v_cmp_eq_u32_e32 vcc, 0, v105
	v_add_u32_e32 v104, 8, v104
	s_or_b64 s[6:7], vcc, s[6:7]
	s_waitcnt vmcnt(0) lgkmcnt(0)
	v_fmac_f64_e32 v[74:75], v[106:107], v[108:109]
	s_andn2_b64 exec, exec, s[6:7]
	s_cbranch_execnz .LBB35_83
; %bb.84:
	s_or_b64 exec, exec, s[6:7]
.LBB35_85:
	s_or_b64 exec, exec, s[12:13]
	v_mov_b32_e32 v104, 0
	ds_read_b64 v[104:105], v104 offset:208
	s_waitcnt lgkmcnt(0)
	v_mul_f64 v[74:75], v[74:75], v[104:105]
	buffer_store_dword v75, off, s[0:3], 0 offset:212
	buffer_store_dword v74, off, s[0:3], 0 offset:208
.LBB35_86:
	s_or_b64 exec, exec, s[10:11]
	buffer_load_dword v74, off, s[0:3], 0 offset:200
	buffer_load_dword v75, off, s[0:3], 0 offset:204
	v_cmp_lt_u32_e64 s[6:7], 25, v0
	s_waitcnt vmcnt(0)
	ds_write_b64 v76, v[74:75]
	s_waitcnt lgkmcnt(0)
	; wave barrier
	s_waitcnt lgkmcnt(0)
	s_and_saveexec_b64 s[10:11], s[6:7]
	s_cbranch_execz .LBB35_96
; %bb.87:
	s_andn2_b64 vcc, exec, s[8:9]
	s_cbranch_vccnz .LBB35_89
; %bb.88:
	buffer_load_dword v74, v77, s[0:3], 0 offen
	buffer_load_dword v75, v77, s[0:3], 0 offen offset:4
	ds_read_b64 v[104:105], v76
	s_waitcnt vmcnt(0) lgkmcnt(0)
	v_mul_f64 v[74:75], v[74:75], v[104:105]
	s_cbranch_execz .LBB35_90
	s_branch .LBB35_91
.LBB35_89:
                                        ; implicit-def: $vgpr74_vgpr75
.LBB35_90:
	ds_read_b64 v[74:75], v76
.LBB35_91:
	s_and_saveexec_b64 s[12:13], s[4:5]
	s_cbranch_execz .LBB35_95
; %bb.92:
	v_subrev_u32_e32 v104, 26, v0
	s_movk_i32 s14, 0x1f0
	s_mov_b64 s[4:5], 0
.LBB35_93:                              ; =>This Inner Loop Header: Depth=1
	buffer_load_dword v106, v103, s[0:3], 0 offen
	buffer_load_dword v107, v103, s[0:3], 0 offen offset:4
	v_mov_b32_e32 v105, s14
	ds_read_b64 v[108:109], v105
	v_add_u32_e32 v104, -1, v104
	s_add_i32 s14, s14, 8
	v_cmp_eq_u32_e32 vcc, 0, v104
	v_add_u32_e32 v103, 8, v103
	s_or_b64 s[4:5], vcc, s[4:5]
	s_waitcnt vmcnt(0) lgkmcnt(0)
	v_fmac_f64_e32 v[74:75], v[106:107], v[108:109]
	s_andn2_b64 exec, exec, s[4:5]
	s_cbranch_execnz .LBB35_93
; %bb.94:
	s_or_b64 exec, exec, s[4:5]
.LBB35_95:
	s_or_b64 exec, exec, s[12:13]
	v_mov_b32_e32 v103, 0
	ds_read_b64 v[104:105], v103 offset:200
	s_waitcnt lgkmcnt(0)
	v_mul_f64 v[74:75], v[74:75], v[104:105]
	buffer_store_dword v75, off, s[0:3], 0 offset:204
	buffer_store_dword v74, off, s[0:3], 0 offset:200
.LBB35_96:
	s_or_b64 exec, exec, s[10:11]
	buffer_load_dword v74, off, s[0:3], 0 offset:192
	buffer_load_dword v75, off, s[0:3], 0 offset:196
	v_cmp_lt_u32_e64 s[4:5], 24, v0
	s_waitcnt vmcnt(0)
	ds_write_b64 v76, v[74:75]
	s_waitcnt lgkmcnt(0)
	; wave barrier
	s_waitcnt lgkmcnt(0)
	s_and_saveexec_b64 s[10:11], s[4:5]
	s_cbranch_execz .LBB35_106
; %bb.97:
	s_andn2_b64 vcc, exec, s[8:9]
	s_cbranch_vccnz .LBB35_99
; %bb.98:
	buffer_load_dword v74, v77, s[0:3], 0 offen
	buffer_load_dword v75, v77, s[0:3], 0 offen offset:4
	ds_read_b64 v[104:105], v76
	s_waitcnt vmcnt(0) lgkmcnt(0)
	v_mul_f64 v[74:75], v[74:75], v[104:105]
	s_cbranch_execz .LBB35_100
	s_branch .LBB35_101
.LBB35_99:
                                        ; implicit-def: $vgpr74_vgpr75
.LBB35_100:
	ds_read_b64 v[74:75], v76
.LBB35_101:
	s_and_saveexec_b64 s[12:13], s[6:7]
	s_cbranch_execz .LBB35_105
; %bb.102:
	v_subrev_u32_e32 v103, 25, v0
	s_movk_i32 s14, 0x1e8
	s_mov_b64 s[6:7], 0
.LBB35_103:                             ; =>This Inner Loop Header: Depth=1
	buffer_load_dword v104, v102, s[0:3], 0 offen
	buffer_load_dword v105, v102, s[0:3], 0 offen offset:4
	v_mov_b32_e32 v106, s14
	ds_read_b64 v[106:107], v106
	v_add_u32_e32 v103, -1, v103
	s_add_i32 s14, s14, 8
	v_cmp_eq_u32_e32 vcc, 0, v103
	v_add_u32_e32 v102, 8, v102
	s_or_b64 s[6:7], vcc, s[6:7]
	s_waitcnt vmcnt(0) lgkmcnt(0)
	v_fmac_f64_e32 v[74:75], v[104:105], v[106:107]
	s_andn2_b64 exec, exec, s[6:7]
	s_cbranch_execnz .LBB35_103
; %bb.104:
	s_or_b64 exec, exec, s[6:7]
.LBB35_105:
	s_or_b64 exec, exec, s[12:13]
	v_mov_b32_e32 v102, 0
	ds_read_b64 v[102:103], v102 offset:192
	s_waitcnt lgkmcnt(0)
	v_mul_f64 v[74:75], v[74:75], v[102:103]
	buffer_store_dword v75, off, s[0:3], 0 offset:196
	buffer_store_dword v74, off, s[0:3], 0 offset:192
.LBB35_106:
	s_or_b64 exec, exec, s[10:11]
	buffer_load_dword v74, off, s[0:3], 0 offset:184
	buffer_load_dword v75, off, s[0:3], 0 offset:188
	v_cmp_lt_u32_e64 s[6:7], 23, v0
	s_waitcnt vmcnt(0)
	ds_write_b64 v76, v[74:75]
	s_waitcnt lgkmcnt(0)
	; wave barrier
	s_waitcnt lgkmcnt(0)
	s_and_saveexec_b64 s[10:11], s[6:7]
	s_cbranch_execz .LBB35_116
; %bb.107:
	s_andn2_b64 vcc, exec, s[8:9]
	s_cbranch_vccnz .LBB35_109
; %bb.108:
	buffer_load_dword v74, v77, s[0:3], 0 offen
	buffer_load_dword v75, v77, s[0:3], 0 offen offset:4
	ds_read_b64 v[102:103], v76
	s_waitcnt vmcnt(0) lgkmcnt(0)
	v_mul_f64 v[74:75], v[74:75], v[102:103]
	s_cbranch_execz .LBB35_110
	s_branch .LBB35_111
.LBB35_109:
                                        ; implicit-def: $vgpr74_vgpr75
.LBB35_110:
	ds_read_b64 v[74:75], v76
.LBB35_111:
	s_and_saveexec_b64 s[12:13], s[4:5]
	s_cbranch_execz .LBB35_115
; %bb.112:
	v_subrev_u32_e32 v102, 24, v0
	s_movk_i32 s14, 0x1e0
	s_mov_b64 s[4:5], 0
.LBB35_113:                             ; =>This Inner Loop Header: Depth=1
	buffer_load_dword v104, v101, s[0:3], 0 offen
	buffer_load_dword v105, v101, s[0:3], 0 offen offset:4
	v_mov_b32_e32 v103, s14
	ds_read_b64 v[106:107], v103
	v_add_u32_e32 v102, -1, v102
	s_add_i32 s14, s14, 8
	v_cmp_eq_u32_e32 vcc, 0, v102
	v_add_u32_e32 v101, 8, v101
	s_or_b64 s[4:5], vcc, s[4:5]
	s_waitcnt vmcnt(0) lgkmcnt(0)
	v_fmac_f64_e32 v[74:75], v[104:105], v[106:107]
	s_andn2_b64 exec, exec, s[4:5]
	s_cbranch_execnz .LBB35_113
; %bb.114:
	s_or_b64 exec, exec, s[4:5]
.LBB35_115:
	s_or_b64 exec, exec, s[12:13]
	v_mov_b32_e32 v101, 0
	ds_read_b64 v[102:103], v101 offset:184
	s_waitcnt lgkmcnt(0)
	v_mul_f64 v[74:75], v[74:75], v[102:103]
	buffer_store_dword v75, off, s[0:3], 0 offset:188
	buffer_store_dword v74, off, s[0:3], 0 offset:184
.LBB35_116:
	;; [unrolled: 58-line block ×9, first 2 shown]
	s_or_b64 exec, exec, s[10:11]
	buffer_load_dword v74, off, s[0:3], 0 offset:120
	buffer_load_dword v75, off, s[0:3], 0 offset:124
	v_cmp_lt_u32_e64 s[6:7], 15, v0
	s_waitcnt vmcnt(0)
	ds_write_b64 v76, v[74:75]
	s_waitcnt lgkmcnt(0)
	; wave barrier
	s_waitcnt lgkmcnt(0)
	s_and_saveexec_b64 s[10:11], s[6:7]
	s_cbranch_execz .LBB35_196
; %bb.187:
	s_andn2_b64 vcc, exec, s[8:9]
	s_cbranch_vccnz .LBB35_189
; %bb.188:
	buffer_load_dword v74, v77, s[0:3], 0 offen
	buffer_load_dword v75, v77, s[0:3], 0 offen offset:4
	ds_read_b64 v[94:95], v76
	s_waitcnt vmcnt(0) lgkmcnt(0)
	v_mul_f64 v[74:75], v[74:75], v[94:95]
	s_cbranch_execz .LBB35_190
	s_branch .LBB35_191
.LBB35_189:
                                        ; implicit-def: $vgpr74_vgpr75
.LBB35_190:
	ds_read_b64 v[74:75], v76
.LBB35_191:
	s_and_saveexec_b64 s[12:13], s[4:5]
	s_cbranch_execz .LBB35_195
; %bb.192:
	v_add_u32_e32 v94, -16, v0
	s_movk_i32 s14, 0x1a0
	s_mov_b64 s[4:5], 0
.LBB35_193:                             ; =>This Inner Loop Header: Depth=1
	buffer_load_dword v96, v93, s[0:3], 0 offen
	buffer_load_dword v97, v93, s[0:3], 0 offen offset:4
	v_mov_b32_e32 v95, s14
	ds_read_b64 v[98:99], v95
	v_add_u32_e32 v94, -1, v94
	s_add_i32 s14, s14, 8
	v_cmp_eq_u32_e32 vcc, 0, v94
	v_add_u32_e32 v93, 8, v93
	s_or_b64 s[4:5], vcc, s[4:5]
	s_waitcnt vmcnt(0) lgkmcnt(0)
	v_fmac_f64_e32 v[74:75], v[96:97], v[98:99]
	s_andn2_b64 exec, exec, s[4:5]
	s_cbranch_execnz .LBB35_193
; %bb.194:
	s_or_b64 exec, exec, s[4:5]
.LBB35_195:
	s_or_b64 exec, exec, s[12:13]
	v_mov_b32_e32 v93, 0
	ds_read_b64 v[94:95], v93 offset:120
	s_waitcnt lgkmcnt(0)
	v_mul_f64 v[74:75], v[74:75], v[94:95]
	buffer_store_dword v75, off, s[0:3], 0 offset:124
	buffer_store_dword v74, off, s[0:3], 0 offset:120
.LBB35_196:
	s_or_b64 exec, exec, s[10:11]
	buffer_load_dword v74, off, s[0:3], 0 offset:112
	buffer_load_dword v75, off, s[0:3], 0 offset:116
	v_cmp_lt_u32_e64 s[4:5], 14, v0
	s_waitcnt vmcnt(0)
	ds_write_b64 v76, v[74:75]
	s_waitcnt lgkmcnt(0)
	; wave barrier
	s_waitcnt lgkmcnt(0)
	s_and_saveexec_b64 s[10:11], s[4:5]
	s_cbranch_execz .LBB35_206
; %bb.197:
	s_andn2_b64 vcc, exec, s[8:9]
	s_cbranch_vccnz .LBB35_199
; %bb.198:
	buffer_load_dword v74, v77, s[0:3], 0 offen
	buffer_load_dword v75, v77, s[0:3], 0 offen offset:4
	ds_read_b64 v[94:95], v76
	s_waitcnt vmcnt(0) lgkmcnt(0)
	v_mul_f64 v[74:75], v[74:75], v[94:95]
	s_cbranch_execz .LBB35_200
	s_branch .LBB35_201
.LBB35_199:
                                        ; implicit-def: $vgpr74_vgpr75
.LBB35_200:
	ds_read_b64 v[74:75], v76
.LBB35_201:
	s_and_saveexec_b64 s[12:13], s[6:7]
	s_cbranch_execz .LBB35_205
; %bb.202:
	v_add_u32_e32 v93, -15, v0
	s_movk_i32 s14, 0x198
	s_mov_b64 s[6:7], 0
.LBB35_203:                             ; =>This Inner Loop Header: Depth=1
	buffer_load_dword v94, v92, s[0:3], 0 offen
	buffer_load_dword v95, v92, s[0:3], 0 offen offset:4
	v_mov_b32_e32 v96, s14
	ds_read_b64 v[96:97], v96
	v_add_u32_e32 v93, -1, v93
	s_add_i32 s14, s14, 8
	v_cmp_eq_u32_e32 vcc, 0, v93
	v_add_u32_e32 v92, 8, v92
	s_or_b64 s[6:7], vcc, s[6:7]
	s_waitcnt vmcnt(0) lgkmcnt(0)
	v_fmac_f64_e32 v[74:75], v[94:95], v[96:97]
	s_andn2_b64 exec, exec, s[6:7]
	s_cbranch_execnz .LBB35_203
; %bb.204:
	s_or_b64 exec, exec, s[6:7]
.LBB35_205:
	s_or_b64 exec, exec, s[12:13]
	v_mov_b32_e32 v92, 0
	ds_read_b64 v[92:93], v92 offset:112
	s_waitcnt lgkmcnt(0)
	v_mul_f64 v[74:75], v[74:75], v[92:93]
	buffer_store_dword v75, off, s[0:3], 0 offset:116
	buffer_store_dword v74, off, s[0:3], 0 offset:112
.LBB35_206:
	s_or_b64 exec, exec, s[10:11]
	buffer_load_dword v74, off, s[0:3], 0 offset:104
	buffer_load_dword v75, off, s[0:3], 0 offset:108
	v_cmp_lt_u32_e64 s[6:7], 13, v0
	s_waitcnt vmcnt(0)
	ds_write_b64 v76, v[74:75]
	s_waitcnt lgkmcnt(0)
	; wave barrier
	s_waitcnt lgkmcnt(0)
	s_and_saveexec_b64 s[10:11], s[6:7]
	s_cbranch_execz .LBB35_216
; %bb.207:
	s_andn2_b64 vcc, exec, s[8:9]
	s_cbranch_vccnz .LBB35_209
; %bb.208:
	buffer_load_dword v74, v77, s[0:3], 0 offen
	buffer_load_dword v75, v77, s[0:3], 0 offen offset:4
	ds_read_b64 v[92:93], v76
	s_waitcnt vmcnt(0) lgkmcnt(0)
	v_mul_f64 v[74:75], v[74:75], v[92:93]
	s_cbranch_execz .LBB35_210
	s_branch .LBB35_211
.LBB35_209:
                                        ; implicit-def: $vgpr74_vgpr75
.LBB35_210:
	ds_read_b64 v[74:75], v76
.LBB35_211:
	s_and_saveexec_b64 s[12:13], s[4:5]
	s_cbranch_execz .LBB35_215
; %bb.212:
	v_add_u32_e32 v92, -14, v0
	s_movk_i32 s14, 0x190
	s_mov_b64 s[4:5], 0
.LBB35_213:                             ; =>This Inner Loop Header: Depth=1
	buffer_load_dword v94, v91, s[0:3], 0 offen
	buffer_load_dword v95, v91, s[0:3], 0 offen offset:4
	v_mov_b32_e32 v93, s14
	ds_read_b64 v[96:97], v93
	v_add_u32_e32 v92, -1, v92
	s_add_i32 s14, s14, 8
	v_cmp_eq_u32_e32 vcc, 0, v92
	v_add_u32_e32 v91, 8, v91
	s_or_b64 s[4:5], vcc, s[4:5]
	s_waitcnt vmcnt(0) lgkmcnt(0)
	v_fmac_f64_e32 v[74:75], v[94:95], v[96:97]
	s_andn2_b64 exec, exec, s[4:5]
	s_cbranch_execnz .LBB35_213
; %bb.214:
	s_or_b64 exec, exec, s[4:5]
.LBB35_215:
	s_or_b64 exec, exec, s[12:13]
	v_mov_b32_e32 v91, 0
	ds_read_b64 v[92:93], v91 offset:104
	s_waitcnt lgkmcnt(0)
	v_mul_f64 v[74:75], v[74:75], v[92:93]
	buffer_store_dword v75, off, s[0:3], 0 offset:108
	buffer_store_dword v74, off, s[0:3], 0 offset:104
.LBB35_216:
	s_or_b64 exec, exec, s[10:11]
	buffer_load_dword v74, off, s[0:3], 0 offset:96
	buffer_load_dword v75, off, s[0:3], 0 offset:100
	v_cmp_lt_u32_e64 s[4:5], 12, v0
	s_waitcnt vmcnt(0)
	ds_write_b64 v76, v[74:75]
	s_waitcnt lgkmcnt(0)
	; wave barrier
	s_waitcnt lgkmcnt(0)
	s_and_saveexec_b64 s[10:11], s[4:5]
	s_cbranch_execz .LBB35_226
; %bb.217:
	s_andn2_b64 vcc, exec, s[8:9]
	s_cbranch_vccnz .LBB35_219
; %bb.218:
	buffer_load_dword v74, v77, s[0:3], 0 offen
	buffer_load_dword v75, v77, s[0:3], 0 offen offset:4
	ds_read_b64 v[92:93], v76
	s_waitcnt vmcnt(0) lgkmcnt(0)
	v_mul_f64 v[74:75], v[74:75], v[92:93]
	s_cbranch_execz .LBB35_220
	s_branch .LBB35_221
.LBB35_219:
                                        ; implicit-def: $vgpr74_vgpr75
.LBB35_220:
	ds_read_b64 v[74:75], v76
.LBB35_221:
	s_and_saveexec_b64 s[12:13], s[6:7]
	s_cbranch_execz .LBB35_225
; %bb.222:
	v_add_u32_e32 v91, -13, v0
	s_movk_i32 s14, 0x188
	s_mov_b64 s[6:7], 0
.LBB35_223:                             ; =>This Inner Loop Header: Depth=1
	buffer_load_dword v92, v90, s[0:3], 0 offen
	buffer_load_dword v93, v90, s[0:3], 0 offen offset:4
	v_mov_b32_e32 v94, s14
	ds_read_b64 v[94:95], v94
	v_add_u32_e32 v91, -1, v91
	s_add_i32 s14, s14, 8
	v_cmp_eq_u32_e32 vcc, 0, v91
	v_add_u32_e32 v90, 8, v90
	s_or_b64 s[6:7], vcc, s[6:7]
	s_waitcnt vmcnt(0) lgkmcnt(0)
	v_fmac_f64_e32 v[74:75], v[92:93], v[94:95]
	s_andn2_b64 exec, exec, s[6:7]
	s_cbranch_execnz .LBB35_223
; %bb.224:
	s_or_b64 exec, exec, s[6:7]
.LBB35_225:
	s_or_b64 exec, exec, s[12:13]
	v_mov_b32_e32 v90, 0
	ds_read_b64 v[90:91], v90 offset:96
	s_waitcnt lgkmcnt(0)
	v_mul_f64 v[74:75], v[74:75], v[90:91]
	buffer_store_dword v75, off, s[0:3], 0 offset:100
	buffer_store_dword v74, off, s[0:3], 0 offset:96
.LBB35_226:
	s_or_b64 exec, exec, s[10:11]
	buffer_load_dword v74, off, s[0:3], 0 offset:88
	buffer_load_dword v75, off, s[0:3], 0 offset:92
	v_cmp_lt_u32_e64 s[6:7], 11, v0
	s_waitcnt vmcnt(0)
	ds_write_b64 v76, v[74:75]
	s_waitcnt lgkmcnt(0)
	; wave barrier
	s_waitcnt lgkmcnt(0)
	s_and_saveexec_b64 s[10:11], s[6:7]
	s_cbranch_execz .LBB35_236
; %bb.227:
	s_andn2_b64 vcc, exec, s[8:9]
	s_cbranch_vccnz .LBB35_229
; %bb.228:
	buffer_load_dword v74, v77, s[0:3], 0 offen
	buffer_load_dword v75, v77, s[0:3], 0 offen offset:4
	ds_read_b64 v[90:91], v76
	s_waitcnt vmcnt(0) lgkmcnt(0)
	v_mul_f64 v[74:75], v[74:75], v[90:91]
	s_cbranch_execz .LBB35_230
	s_branch .LBB35_231
.LBB35_229:
                                        ; implicit-def: $vgpr74_vgpr75
.LBB35_230:
	ds_read_b64 v[74:75], v76
.LBB35_231:
	s_and_saveexec_b64 s[12:13], s[4:5]
	s_cbranch_execz .LBB35_235
; %bb.232:
	v_add_u32_e32 v90, -12, v0
	s_movk_i32 s14, 0x180
	s_mov_b64 s[4:5], 0
.LBB35_233:                             ; =>This Inner Loop Header: Depth=1
	buffer_load_dword v92, v89, s[0:3], 0 offen
	buffer_load_dword v93, v89, s[0:3], 0 offen offset:4
	v_mov_b32_e32 v91, s14
	ds_read_b64 v[94:95], v91
	v_add_u32_e32 v90, -1, v90
	s_add_i32 s14, s14, 8
	v_cmp_eq_u32_e32 vcc, 0, v90
	v_add_u32_e32 v89, 8, v89
	s_or_b64 s[4:5], vcc, s[4:5]
	s_waitcnt vmcnt(0) lgkmcnt(0)
	v_fmac_f64_e32 v[74:75], v[92:93], v[94:95]
	s_andn2_b64 exec, exec, s[4:5]
	s_cbranch_execnz .LBB35_233
; %bb.234:
	s_or_b64 exec, exec, s[4:5]
.LBB35_235:
	s_or_b64 exec, exec, s[12:13]
	v_mov_b32_e32 v89, 0
	ds_read_b64 v[90:91], v89 offset:88
	s_waitcnt lgkmcnt(0)
	v_mul_f64 v[74:75], v[74:75], v[90:91]
	buffer_store_dword v75, off, s[0:3], 0 offset:92
	buffer_store_dword v74, off, s[0:3], 0 offset:88
.LBB35_236:
	s_or_b64 exec, exec, s[10:11]
	buffer_load_dword v74, off, s[0:3], 0 offset:80
	buffer_load_dword v75, off, s[0:3], 0 offset:84
	v_cmp_lt_u32_e64 s[4:5], 10, v0
	s_waitcnt vmcnt(0)
	ds_write_b64 v76, v[74:75]
	s_waitcnt lgkmcnt(0)
	; wave barrier
	s_waitcnt lgkmcnt(0)
	s_and_saveexec_b64 s[10:11], s[4:5]
	s_cbranch_execz .LBB35_246
; %bb.237:
	s_andn2_b64 vcc, exec, s[8:9]
	s_cbranch_vccnz .LBB35_239
; %bb.238:
	buffer_load_dword v74, v77, s[0:3], 0 offen
	buffer_load_dword v75, v77, s[0:3], 0 offen offset:4
	ds_read_b64 v[90:91], v76
	s_waitcnt vmcnt(0) lgkmcnt(0)
	v_mul_f64 v[74:75], v[74:75], v[90:91]
	s_cbranch_execz .LBB35_240
	s_branch .LBB35_241
.LBB35_239:
                                        ; implicit-def: $vgpr74_vgpr75
.LBB35_240:
	ds_read_b64 v[74:75], v76
.LBB35_241:
	s_and_saveexec_b64 s[12:13], s[6:7]
	s_cbranch_execz .LBB35_245
; %bb.242:
	v_add_u32_e32 v89, -11, v0
	s_movk_i32 s14, 0x178
	s_mov_b64 s[6:7], 0
.LBB35_243:                             ; =>This Inner Loop Header: Depth=1
	buffer_load_dword v90, v88, s[0:3], 0 offen
	buffer_load_dword v91, v88, s[0:3], 0 offen offset:4
	v_mov_b32_e32 v92, s14
	ds_read_b64 v[92:93], v92
	v_add_u32_e32 v89, -1, v89
	s_add_i32 s14, s14, 8
	v_cmp_eq_u32_e32 vcc, 0, v89
	v_add_u32_e32 v88, 8, v88
	s_or_b64 s[6:7], vcc, s[6:7]
	s_waitcnt vmcnt(0) lgkmcnt(0)
	v_fmac_f64_e32 v[74:75], v[90:91], v[92:93]
	s_andn2_b64 exec, exec, s[6:7]
	s_cbranch_execnz .LBB35_243
; %bb.244:
	s_or_b64 exec, exec, s[6:7]
.LBB35_245:
	s_or_b64 exec, exec, s[12:13]
	v_mov_b32_e32 v88, 0
	ds_read_b64 v[88:89], v88 offset:80
	s_waitcnt lgkmcnt(0)
	v_mul_f64 v[74:75], v[74:75], v[88:89]
	buffer_store_dword v75, off, s[0:3], 0 offset:84
	buffer_store_dword v74, off, s[0:3], 0 offset:80
.LBB35_246:
	s_or_b64 exec, exec, s[10:11]
	buffer_load_dword v74, off, s[0:3], 0 offset:72
	buffer_load_dword v75, off, s[0:3], 0 offset:76
	v_cmp_lt_u32_e64 s[6:7], 9, v0
	s_waitcnt vmcnt(0)
	ds_write_b64 v76, v[74:75]
	s_waitcnt lgkmcnt(0)
	; wave barrier
	s_waitcnt lgkmcnt(0)
	s_and_saveexec_b64 s[10:11], s[6:7]
	s_cbranch_execz .LBB35_256
; %bb.247:
	s_andn2_b64 vcc, exec, s[8:9]
	s_cbranch_vccnz .LBB35_249
; %bb.248:
	buffer_load_dword v74, v77, s[0:3], 0 offen
	buffer_load_dword v75, v77, s[0:3], 0 offen offset:4
	ds_read_b64 v[88:89], v76
	s_waitcnt vmcnt(0) lgkmcnt(0)
	v_mul_f64 v[74:75], v[74:75], v[88:89]
	s_cbranch_execz .LBB35_250
	s_branch .LBB35_251
.LBB35_249:
                                        ; implicit-def: $vgpr74_vgpr75
.LBB35_250:
	ds_read_b64 v[74:75], v76
.LBB35_251:
	s_and_saveexec_b64 s[12:13], s[4:5]
	s_cbranch_execz .LBB35_255
; %bb.252:
	v_add_u32_e32 v88, -10, v0
	s_movk_i32 s14, 0x170
	s_mov_b64 s[4:5], 0
.LBB35_253:                             ; =>This Inner Loop Header: Depth=1
	buffer_load_dword v90, v87, s[0:3], 0 offen
	buffer_load_dword v91, v87, s[0:3], 0 offen offset:4
	v_mov_b32_e32 v89, s14
	ds_read_b64 v[92:93], v89
	v_add_u32_e32 v88, -1, v88
	s_add_i32 s14, s14, 8
	v_cmp_eq_u32_e32 vcc, 0, v88
	v_add_u32_e32 v87, 8, v87
	s_or_b64 s[4:5], vcc, s[4:5]
	s_waitcnt vmcnt(0) lgkmcnt(0)
	v_fmac_f64_e32 v[74:75], v[90:91], v[92:93]
	s_andn2_b64 exec, exec, s[4:5]
	s_cbranch_execnz .LBB35_253
; %bb.254:
	s_or_b64 exec, exec, s[4:5]
.LBB35_255:
	s_or_b64 exec, exec, s[12:13]
	v_mov_b32_e32 v87, 0
	ds_read_b64 v[88:89], v87 offset:72
	s_waitcnt lgkmcnt(0)
	v_mul_f64 v[74:75], v[74:75], v[88:89]
	buffer_store_dword v75, off, s[0:3], 0 offset:76
	buffer_store_dword v74, off, s[0:3], 0 offset:72
.LBB35_256:
	s_or_b64 exec, exec, s[10:11]
	buffer_load_dword v74, off, s[0:3], 0 offset:64
	buffer_load_dword v75, off, s[0:3], 0 offset:68
	v_cmp_lt_u32_e64 s[4:5], 8, v0
	s_waitcnt vmcnt(0)
	ds_write_b64 v76, v[74:75]
	s_waitcnt lgkmcnt(0)
	; wave barrier
	s_waitcnt lgkmcnt(0)
	s_and_saveexec_b64 s[10:11], s[4:5]
	s_cbranch_execz .LBB35_266
; %bb.257:
	s_andn2_b64 vcc, exec, s[8:9]
	s_cbranch_vccnz .LBB35_259
; %bb.258:
	buffer_load_dword v74, v77, s[0:3], 0 offen
	buffer_load_dword v75, v77, s[0:3], 0 offen offset:4
	ds_read_b64 v[88:89], v76
	s_waitcnt vmcnt(0) lgkmcnt(0)
	v_mul_f64 v[74:75], v[74:75], v[88:89]
	s_cbranch_execz .LBB35_260
	s_branch .LBB35_261
.LBB35_259:
                                        ; implicit-def: $vgpr74_vgpr75
.LBB35_260:
	ds_read_b64 v[74:75], v76
.LBB35_261:
	s_and_saveexec_b64 s[12:13], s[6:7]
	s_cbranch_execz .LBB35_265
; %bb.262:
	v_add_u32_e32 v87, -9, v0
	s_movk_i32 s14, 0x168
	s_mov_b64 s[6:7], 0
.LBB35_263:                             ; =>This Inner Loop Header: Depth=1
	buffer_load_dword v88, v86, s[0:3], 0 offen
	buffer_load_dword v89, v86, s[0:3], 0 offen offset:4
	v_mov_b32_e32 v90, s14
	ds_read_b64 v[90:91], v90
	v_add_u32_e32 v87, -1, v87
	s_add_i32 s14, s14, 8
	v_cmp_eq_u32_e32 vcc, 0, v87
	v_add_u32_e32 v86, 8, v86
	s_or_b64 s[6:7], vcc, s[6:7]
	s_waitcnt vmcnt(0) lgkmcnt(0)
	v_fmac_f64_e32 v[74:75], v[88:89], v[90:91]
	s_andn2_b64 exec, exec, s[6:7]
	s_cbranch_execnz .LBB35_263
; %bb.264:
	s_or_b64 exec, exec, s[6:7]
.LBB35_265:
	s_or_b64 exec, exec, s[12:13]
	v_mov_b32_e32 v86, 0
	ds_read_b64 v[86:87], v86 offset:64
	s_waitcnt lgkmcnt(0)
	v_mul_f64 v[74:75], v[74:75], v[86:87]
	buffer_store_dword v75, off, s[0:3], 0 offset:68
	buffer_store_dword v74, off, s[0:3], 0 offset:64
.LBB35_266:
	s_or_b64 exec, exec, s[10:11]
	buffer_load_dword v74, off, s[0:3], 0 offset:56
	buffer_load_dword v75, off, s[0:3], 0 offset:60
	v_cmp_lt_u32_e64 s[6:7], 7, v0
	s_waitcnt vmcnt(0)
	ds_write_b64 v76, v[74:75]
	s_waitcnt lgkmcnt(0)
	; wave barrier
	s_waitcnt lgkmcnt(0)
	s_and_saveexec_b64 s[10:11], s[6:7]
	s_cbranch_execz .LBB35_276
; %bb.267:
	s_andn2_b64 vcc, exec, s[8:9]
	s_cbranch_vccnz .LBB35_269
; %bb.268:
	buffer_load_dword v74, v77, s[0:3], 0 offen
	buffer_load_dword v75, v77, s[0:3], 0 offen offset:4
	ds_read_b64 v[86:87], v76
	s_waitcnt vmcnt(0) lgkmcnt(0)
	v_mul_f64 v[74:75], v[74:75], v[86:87]
	s_cbranch_execz .LBB35_270
	s_branch .LBB35_271
.LBB35_269:
                                        ; implicit-def: $vgpr74_vgpr75
.LBB35_270:
	ds_read_b64 v[74:75], v76
.LBB35_271:
	s_and_saveexec_b64 s[12:13], s[4:5]
	s_cbranch_execz .LBB35_275
; %bb.272:
	v_add_u32_e32 v86, -8, v0
	s_movk_i32 s14, 0x160
	s_mov_b64 s[4:5], 0
.LBB35_273:                             ; =>This Inner Loop Header: Depth=1
	buffer_load_dword v88, v85, s[0:3], 0 offen
	buffer_load_dword v89, v85, s[0:3], 0 offen offset:4
	v_mov_b32_e32 v87, s14
	ds_read_b64 v[90:91], v87
	v_add_u32_e32 v86, -1, v86
	s_add_i32 s14, s14, 8
	v_cmp_eq_u32_e32 vcc, 0, v86
	v_add_u32_e32 v85, 8, v85
	s_or_b64 s[4:5], vcc, s[4:5]
	s_waitcnt vmcnt(0) lgkmcnt(0)
	v_fmac_f64_e32 v[74:75], v[88:89], v[90:91]
	s_andn2_b64 exec, exec, s[4:5]
	s_cbranch_execnz .LBB35_273
; %bb.274:
	s_or_b64 exec, exec, s[4:5]
.LBB35_275:
	s_or_b64 exec, exec, s[12:13]
	v_mov_b32_e32 v85, 0
	ds_read_b64 v[86:87], v85 offset:56
	s_waitcnt lgkmcnt(0)
	v_mul_f64 v[74:75], v[74:75], v[86:87]
	buffer_store_dword v75, off, s[0:3], 0 offset:60
	buffer_store_dword v74, off, s[0:3], 0 offset:56
.LBB35_276:
	s_or_b64 exec, exec, s[10:11]
	buffer_load_dword v74, off, s[0:3], 0 offset:48
	buffer_load_dword v75, off, s[0:3], 0 offset:52
	v_cmp_lt_u32_e64 s[4:5], 6, v0
	s_waitcnt vmcnt(0)
	ds_write_b64 v76, v[74:75]
	s_waitcnt lgkmcnt(0)
	; wave barrier
	s_waitcnt lgkmcnt(0)
	s_and_saveexec_b64 s[10:11], s[4:5]
	s_cbranch_execz .LBB35_286
; %bb.277:
	s_andn2_b64 vcc, exec, s[8:9]
	s_cbranch_vccnz .LBB35_279
; %bb.278:
	buffer_load_dword v74, v77, s[0:3], 0 offen
	buffer_load_dword v75, v77, s[0:3], 0 offen offset:4
	ds_read_b64 v[86:87], v76
	s_waitcnt vmcnt(0) lgkmcnt(0)
	v_mul_f64 v[74:75], v[74:75], v[86:87]
	s_cbranch_execz .LBB35_280
	s_branch .LBB35_281
.LBB35_279:
                                        ; implicit-def: $vgpr74_vgpr75
.LBB35_280:
	ds_read_b64 v[74:75], v76
.LBB35_281:
	s_and_saveexec_b64 s[12:13], s[6:7]
	s_cbranch_execz .LBB35_285
; %bb.282:
	v_add_u32_e32 v85, -7, v0
	s_movk_i32 s14, 0x158
	s_mov_b64 s[6:7], 0
.LBB35_283:                             ; =>This Inner Loop Header: Depth=1
	buffer_load_dword v86, v84, s[0:3], 0 offen
	buffer_load_dword v87, v84, s[0:3], 0 offen offset:4
	v_mov_b32_e32 v88, s14
	ds_read_b64 v[88:89], v88
	v_add_u32_e32 v85, -1, v85
	s_add_i32 s14, s14, 8
	v_cmp_eq_u32_e32 vcc, 0, v85
	v_add_u32_e32 v84, 8, v84
	s_or_b64 s[6:7], vcc, s[6:7]
	s_waitcnt vmcnt(0) lgkmcnt(0)
	v_fmac_f64_e32 v[74:75], v[86:87], v[88:89]
	s_andn2_b64 exec, exec, s[6:7]
	s_cbranch_execnz .LBB35_283
; %bb.284:
	s_or_b64 exec, exec, s[6:7]
.LBB35_285:
	s_or_b64 exec, exec, s[12:13]
	v_mov_b32_e32 v84, 0
	ds_read_b64 v[84:85], v84 offset:48
	s_waitcnt lgkmcnt(0)
	v_mul_f64 v[74:75], v[74:75], v[84:85]
	buffer_store_dword v75, off, s[0:3], 0 offset:52
	buffer_store_dword v74, off, s[0:3], 0 offset:48
.LBB35_286:
	s_or_b64 exec, exec, s[10:11]
	buffer_load_dword v74, off, s[0:3], 0 offset:40
	buffer_load_dword v75, off, s[0:3], 0 offset:44
	v_cmp_lt_u32_e64 s[6:7], 5, v0
	s_waitcnt vmcnt(0)
	ds_write_b64 v76, v[74:75]
	s_waitcnt lgkmcnt(0)
	; wave barrier
	s_waitcnt lgkmcnt(0)
	s_and_saveexec_b64 s[10:11], s[6:7]
	s_cbranch_execz .LBB35_296
; %bb.287:
	s_andn2_b64 vcc, exec, s[8:9]
	s_cbranch_vccnz .LBB35_289
; %bb.288:
	buffer_load_dword v74, v77, s[0:3], 0 offen
	buffer_load_dword v75, v77, s[0:3], 0 offen offset:4
	ds_read_b64 v[84:85], v76
	s_waitcnt vmcnt(0) lgkmcnt(0)
	v_mul_f64 v[74:75], v[74:75], v[84:85]
	s_cbranch_execz .LBB35_290
	s_branch .LBB35_291
.LBB35_289:
                                        ; implicit-def: $vgpr74_vgpr75
.LBB35_290:
	ds_read_b64 v[74:75], v76
.LBB35_291:
	s_and_saveexec_b64 s[12:13], s[4:5]
	s_cbranch_execz .LBB35_295
; %bb.292:
	v_add_u32_e32 v84, -6, v0
	s_movk_i32 s14, 0x150
	s_mov_b64 s[4:5], 0
.LBB35_293:                             ; =>This Inner Loop Header: Depth=1
	buffer_load_dword v86, v83, s[0:3], 0 offen
	buffer_load_dword v87, v83, s[0:3], 0 offen offset:4
	v_mov_b32_e32 v85, s14
	ds_read_b64 v[88:89], v85
	v_add_u32_e32 v84, -1, v84
	s_add_i32 s14, s14, 8
	v_cmp_eq_u32_e32 vcc, 0, v84
	v_add_u32_e32 v83, 8, v83
	s_or_b64 s[4:5], vcc, s[4:5]
	s_waitcnt vmcnt(0) lgkmcnt(0)
	v_fmac_f64_e32 v[74:75], v[86:87], v[88:89]
	s_andn2_b64 exec, exec, s[4:5]
	s_cbranch_execnz .LBB35_293
; %bb.294:
	s_or_b64 exec, exec, s[4:5]
.LBB35_295:
	s_or_b64 exec, exec, s[12:13]
	v_mov_b32_e32 v83, 0
	ds_read_b64 v[84:85], v83 offset:40
	s_waitcnt lgkmcnt(0)
	v_mul_f64 v[74:75], v[74:75], v[84:85]
	buffer_store_dword v75, off, s[0:3], 0 offset:44
	buffer_store_dword v74, off, s[0:3], 0 offset:40
.LBB35_296:
	s_or_b64 exec, exec, s[10:11]
	buffer_load_dword v74, off, s[0:3], 0 offset:32
	buffer_load_dword v75, off, s[0:3], 0 offset:36
	v_cmp_lt_u32_e64 s[4:5], 4, v0
	s_waitcnt vmcnt(0)
	ds_write_b64 v76, v[74:75]
	s_waitcnt lgkmcnt(0)
	; wave barrier
	s_waitcnt lgkmcnt(0)
	s_and_saveexec_b64 s[10:11], s[4:5]
	s_cbranch_execz .LBB35_306
; %bb.297:
	s_andn2_b64 vcc, exec, s[8:9]
	s_cbranch_vccnz .LBB35_299
; %bb.298:
	buffer_load_dword v74, v77, s[0:3], 0 offen
	buffer_load_dword v75, v77, s[0:3], 0 offen offset:4
	ds_read_b64 v[84:85], v76
	s_waitcnt vmcnt(0) lgkmcnt(0)
	v_mul_f64 v[74:75], v[74:75], v[84:85]
	s_cbranch_execz .LBB35_300
	s_branch .LBB35_301
.LBB35_299:
                                        ; implicit-def: $vgpr74_vgpr75
.LBB35_300:
	ds_read_b64 v[74:75], v76
.LBB35_301:
	s_and_saveexec_b64 s[12:13], s[6:7]
	s_cbranch_execz .LBB35_305
; %bb.302:
	v_add_u32_e32 v83, -5, v0
	s_movk_i32 s14, 0x148
	s_mov_b64 s[6:7], 0
.LBB35_303:                             ; =>This Inner Loop Header: Depth=1
	buffer_load_dword v84, v82, s[0:3], 0 offen
	buffer_load_dword v85, v82, s[0:3], 0 offen offset:4
	v_mov_b32_e32 v86, s14
	ds_read_b64 v[86:87], v86
	v_add_u32_e32 v83, -1, v83
	s_add_i32 s14, s14, 8
	v_cmp_eq_u32_e32 vcc, 0, v83
	v_add_u32_e32 v82, 8, v82
	s_or_b64 s[6:7], vcc, s[6:7]
	s_waitcnt vmcnt(0) lgkmcnt(0)
	v_fmac_f64_e32 v[74:75], v[84:85], v[86:87]
	s_andn2_b64 exec, exec, s[6:7]
	s_cbranch_execnz .LBB35_303
; %bb.304:
	s_or_b64 exec, exec, s[6:7]
.LBB35_305:
	s_or_b64 exec, exec, s[12:13]
	v_mov_b32_e32 v82, 0
	ds_read_b64 v[82:83], v82 offset:32
	s_waitcnt lgkmcnt(0)
	v_mul_f64 v[74:75], v[74:75], v[82:83]
	buffer_store_dword v75, off, s[0:3], 0 offset:36
	buffer_store_dword v74, off, s[0:3], 0 offset:32
.LBB35_306:
	s_or_b64 exec, exec, s[10:11]
	buffer_load_dword v74, off, s[0:3], 0 offset:24
	buffer_load_dword v75, off, s[0:3], 0 offset:28
	v_cmp_lt_u32_e64 s[6:7], 3, v0
	s_waitcnt vmcnt(0)
	ds_write_b64 v76, v[74:75]
	s_waitcnt lgkmcnt(0)
	; wave barrier
	s_waitcnt lgkmcnt(0)
	s_and_saveexec_b64 s[10:11], s[6:7]
	s_cbranch_execz .LBB35_316
; %bb.307:
	s_andn2_b64 vcc, exec, s[8:9]
	s_cbranch_vccnz .LBB35_309
; %bb.308:
	buffer_load_dword v74, v77, s[0:3], 0 offen
	buffer_load_dword v75, v77, s[0:3], 0 offen offset:4
	ds_read_b64 v[82:83], v76
	s_waitcnt vmcnt(0) lgkmcnt(0)
	v_mul_f64 v[74:75], v[74:75], v[82:83]
	s_cbranch_execz .LBB35_310
	s_branch .LBB35_311
.LBB35_309:
                                        ; implicit-def: $vgpr74_vgpr75
.LBB35_310:
	ds_read_b64 v[74:75], v76
.LBB35_311:
	s_and_saveexec_b64 s[12:13], s[4:5]
	s_cbranch_execz .LBB35_315
; %bb.312:
	v_add_u32_e32 v82, -4, v0
	s_movk_i32 s14, 0x140
	s_mov_b64 s[4:5], 0
.LBB35_313:                             ; =>This Inner Loop Header: Depth=1
	buffer_load_dword v84, v81, s[0:3], 0 offen
	buffer_load_dword v85, v81, s[0:3], 0 offen offset:4
	v_mov_b32_e32 v83, s14
	ds_read_b64 v[86:87], v83
	v_add_u32_e32 v82, -1, v82
	s_add_i32 s14, s14, 8
	v_cmp_eq_u32_e32 vcc, 0, v82
	v_add_u32_e32 v81, 8, v81
	s_or_b64 s[4:5], vcc, s[4:5]
	s_waitcnt vmcnt(0) lgkmcnt(0)
	v_fmac_f64_e32 v[74:75], v[84:85], v[86:87]
	s_andn2_b64 exec, exec, s[4:5]
	s_cbranch_execnz .LBB35_313
; %bb.314:
	s_or_b64 exec, exec, s[4:5]
.LBB35_315:
	s_or_b64 exec, exec, s[12:13]
	v_mov_b32_e32 v81, 0
	ds_read_b64 v[82:83], v81 offset:24
	s_waitcnt lgkmcnt(0)
	v_mul_f64 v[74:75], v[74:75], v[82:83]
	buffer_store_dword v75, off, s[0:3], 0 offset:28
	buffer_store_dword v74, off, s[0:3], 0 offset:24
.LBB35_316:
	s_or_b64 exec, exec, s[10:11]
	buffer_load_dword v74, off, s[0:3], 0 offset:16
	buffer_load_dword v75, off, s[0:3], 0 offset:20
	v_cmp_lt_u32_e64 s[4:5], 2, v0
	s_waitcnt vmcnt(0)
	ds_write_b64 v76, v[74:75]
	s_waitcnt lgkmcnt(0)
	; wave barrier
	s_waitcnt lgkmcnt(0)
	s_and_saveexec_b64 s[10:11], s[4:5]
	s_cbranch_execz .LBB35_326
; %bb.317:
	s_andn2_b64 vcc, exec, s[8:9]
	s_cbranch_vccnz .LBB35_319
; %bb.318:
	buffer_load_dword v74, v77, s[0:3], 0 offen
	buffer_load_dword v75, v77, s[0:3], 0 offen offset:4
	ds_read_b64 v[82:83], v76
	s_waitcnt vmcnt(0) lgkmcnt(0)
	v_mul_f64 v[74:75], v[74:75], v[82:83]
	s_cbranch_execz .LBB35_320
	s_branch .LBB35_321
.LBB35_319:
                                        ; implicit-def: $vgpr74_vgpr75
.LBB35_320:
	ds_read_b64 v[74:75], v76
.LBB35_321:
	s_and_saveexec_b64 s[12:13], s[6:7]
	s_cbranch_execz .LBB35_325
; %bb.322:
	v_add_u32_e32 v81, -3, v0
	s_movk_i32 s14, 0x138
	s_mov_b64 s[6:7], 0
.LBB35_323:                             ; =>This Inner Loop Header: Depth=1
	buffer_load_dword v82, v80, s[0:3], 0 offen
	buffer_load_dword v83, v80, s[0:3], 0 offen offset:4
	v_mov_b32_e32 v84, s14
	ds_read_b64 v[84:85], v84
	v_add_u32_e32 v81, -1, v81
	s_add_i32 s14, s14, 8
	v_cmp_eq_u32_e32 vcc, 0, v81
	v_add_u32_e32 v80, 8, v80
	s_or_b64 s[6:7], vcc, s[6:7]
	s_waitcnt vmcnt(0) lgkmcnt(0)
	v_fmac_f64_e32 v[74:75], v[82:83], v[84:85]
	s_andn2_b64 exec, exec, s[6:7]
	s_cbranch_execnz .LBB35_323
; %bb.324:
	s_or_b64 exec, exec, s[6:7]
.LBB35_325:
	s_or_b64 exec, exec, s[12:13]
	v_mov_b32_e32 v80, 0
	ds_read_b64 v[80:81], v80 offset:16
	s_waitcnt lgkmcnt(0)
	v_mul_f64 v[74:75], v[74:75], v[80:81]
	buffer_store_dword v75, off, s[0:3], 0 offset:20
	buffer_store_dword v74, off, s[0:3], 0 offset:16
.LBB35_326:
	s_or_b64 exec, exec, s[10:11]
	buffer_load_dword v74, off, s[0:3], 0 offset:8
	buffer_load_dword v75, off, s[0:3], 0 offset:12
	v_cmp_lt_u32_e64 s[6:7], 1, v0
	s_waitcnt vmcnt(0)
	ds_write_b64 v76, v[74:75]
	s_waitcnt lgkmcnt(0)
	; wave barrier
	s_waitcnt lgkmcnt(0)
	s_and_saveexec_b64 s[10:11], s[6:7]
	s_cbranch_execz .LBB35_336
; %bb.327:
	s_andn2_b64 vcc, exec, s[8:9]
	s_cbranch_vccnz .LBB35_329
; %bb.328:
	buffer_load_dword v74, v77, s[0:3], 0 offen
	buffer_load_dword v75, v77, s[0:3], 0 offen offset:4
	ds_read_b64 v[80:81], v76
	s_waitcnt vmcnt(0) lgkmcnt(0)
	v_mul_f64 v[74:75], v[74:75], v[80:81]
	s_cbranch_execz .LBB35_330
	s_branch .LBB35_331
.LBB35_329:
                                        ; implicit-def: $vgpr74_vgpr75
.LBB35_330:
	ds_read_b64 v[74:75], v76
.LBB35_331:
	s_and_saveexec_b64 s[12:13], s[4:5]
	s_cbranch_execz .LBB35_335
; %bb.332:
	v_add_u32_e32 v80, -2, v0
	s_movk_i32 s14, 0x130
	s_mov_b64 s[4:5], 0
.LBB35_333:                             ; =>This Inner Loop Header: Depth=1
	buffer_load_dword v82, v79, s[0:3], 0 offen
	buffer_load_dword v83, v79, s[0:3], 0 offen offset:4
	v_mov_b32_e32 v81, s14
	ds_read_b64 v[84:85], v81
	v_add_u32_e32 v80, -1, v80
	s_add_i32 s14, s14, 8
	v_cmp_eq_u32_e32 vcc, 0, v80
	v_add_u32_e32 v79, 8, v79
	s_or_b64 s[4:5], vcc, s[4:5]
	s_waitcnt vmcnt(0) lgkmcnt(0)
	v_fmac_f64_e32 v[74:75], v[82:83], v[84:85]
	s_andn2_b64 exec, exec, s[4:5]
	s_cbranch_execnz .LBB35_333
; %bb.334:
	s_or_b64 exec, exec, s[4:5]
.LBB35_335:
	s_or_b64 exec, exec, s[12:13]
	v_mov_b32_e32 v79, 0
	ds_read_b64 v[80:81], v79 offset:8
	s_waitcnt lgkmcnt(0)
	v_mul_f64 v[74:75], v[74:75], v[80:81]
	buffer_store_dword v75, off, s[0:3], 0 offset:12
	buffer_store_dword v74, off, s[0:3], 0 offset:8
.LBB35_336:
	s_or_b64 exec, exec, s[10:11]
	buffer_load_dword v74, off, s[0:3], 0
	buffer_load_dword v75, off, s[0:3], 0 offset:4
	v_cmp_ne_u32_e32 vcc, 0, v0
	s_waitcnt vmcnt(0)
	ds_write_b64 v76, v[74:75]
	s_waitcnt lgkmcnt(0)
	; wave barrier
	s_waitcnt lgkmcnt(0)
	s_and_saveexec_b64 s[4:5], vcc
	s_cbranch_execz .LBB35_346
; %bb.337:
	s_andn2_b64 vcc, exec, s[8:9]
	s_cbranch_vccnz .LBB35_339
; %bb.338:
	buffer_load_dword v74, v77, s[0:3], 0 offen
	buffer_load_dword v75, v77, s[0:3], 0 offen offset:4
	ds_read_b64 v[80:81], v76
	s_waitcnt vmcnt(0) lgkmcnt(0)
	v_mul_f64 v[74:75], v[74:75], v[80:81]
	s_cbranch_execz .LBB35_340
	s_branch .LBB35_341
.LBB35_339:
                                        ; implicit-def: $vgpr74_vgpr75
.LBB35_340:
	ds_read_b64 v[74:75], v76
.LBB35_341:
	s_and_saveexec_b64 s[10:11], s[6:7]
	s_cbranch_execz .LBB35_345
; %bb.342:
	v_add_u32_e32 v79, -1, v0
	s_movk_i32 s12, 0x128
	s_mov_b64 s[6:7], 0
.LBB35_343:                             ; =>This Inner Loop Header: Depth=1
	buffer_load_dword v80, v78, s[0:3], 0 offen
	buffer_load_dword v81, v78, s[0:3], 0 offen offset:4
	v_mov_b32_e32 v82, s12
	ds_read_b64 v[82:83], v82
	v_add_u32_e32 v79, -1, v79
	s_add_i32 s12, s12, 8
	v_cmp_eq_u32_e32 vcc, 0, v79
	v_add_u32_e32 v78, 8, v78
	s_or_b64 s[6:7], vcc, s[6:7]
	s_waitcnt vmcnt(0) lgkmcnt(0)
	v_fmac_f64_e32 v[74:75], v[80:81], v[82:83]
	s_andn2_b64 exec, exec, s[6:7]
	s_cbranch_execnz .LBB35_343
; %bb.344:
	s_or_b64 exec, exec, s[6:7]
.LBB35_345:
	s_or_b64 exec, exec, s[10:11]
	v_mov_b32_e32 v78, 0
	ds_read_b64 v[78:79], v78
	s_waitcnt lgkmcnt(0)
	v_mul_f64 v[74:75], v[74:75], v[78:79]
	buffer_store_dword v75, off, s[0:3], 0 offset:4
	buffer_store_dword v74, off, s[0:3], 0
.LBB35_346:
	s_or_b64 exec, exec, s[4:5]
	s_mov_b64 s[4:5], 0
.LBB35_347:
	s_and_b64 vcc, exec, s[4:5]
	s_cbranch_vccz .LBB35_691
; %bb.348:
	buffer_load_dword v74, off, s[0:3], 0 offset:8
	buffer_load_dword v75, off, s[0:3], 0 offset:12
	v_cmp_eq_u32_e64 s[6:7], 0, v0
	s_waitcnt vmcnt(0)
	ds_write_b64 v76, v[74:75]
	s_waitcnt lgkmcnt(0)
	; wave barrier
	s_waitcnt lgkmcnt(0)
	s_and_saveexec_b64 s[4:5], s[6:7]
	s_cbranch_execz .LBB35_354
; %bb.349:
	s_and_b64 vcc, exec, s[8:9]
	s_cbranch_vccz .LBB35_351
; %bb.350:
	buffer_load_dword v74, v77, s[0:3], 0 offen
	buffer_load_dword v75, v77, s[0:3], 0 offen offset:4
	ds_read_b64 v[78:79], v76
	s_waitcnt vmcnt(0) lgkmcnt(0)
	v_mul_f64 v[74:75], v[74:75], v[78:79]
	s_cbranch_execz .LBB35_352
	s_branch .LBB35_353
.LBB35_351:
                                        ; implicit-def: $vgpr74_vgpr75
.LBB35_352:
	ds_read_b64 v[74:75], v76
.LBB35_353:
	v_mov_b32_e32 v78, 0
	ds_read_b64 v[78:79], v78 offset:8
	s_waitcnt lgkmcnt(0)
	v_mul_f64 v[74:75], v[74:75], v[78:79]
	buffer_store_dword v75, off, s[0:3], 0 offset:12
	buffer_store_dword v74, off, s[0:3], 0 offset:8
.LBB35_354:
	s_or_b64 exec, exec, s[4:5]
	buffer_load_dword v74, off, s[0:3], 0 offset:16
	buffer_load_dword v75, off, s[0:3], 0 offset:20
	v_cndmask_b32_e64 v78, 0, 1, s[8:9]
	v_cmp_gt_u32_e32 vcc, 2, v0
	v_cmp_ne_u32_e64 s[4:5], 1, v78
	s_waitcnt vmcnt(0)
	ds_write_b64 v76, v[74:75]
	s_waitcnt lgkmcnt(0)
	; wave barrier
	s_waitcnt lgkmcnt(0)
	s_and_saveexec_b64 s[8:9], vcc
	s_cbranch_execz .LBB35_362
; %bb.355:
	s_and_b64 vcc, exec, s[4:5]
	s_cbranch_vccnz .LBB35_357
; %bb.356:
	buffer_load_dword v74, v77, s[0:3], 0 offen
	buffer_load_dword v75, v77, s[0:3], 0 offen offset:4
	ds_read_b64 v[78:79], v76
	s_waitcnt vmcnt(0) lgkmcnt(0)
	v_mul_f64 v[74:75], v[74:75], v[78:79]
	s_cbranch_execz .LBB35_358
	s_branch .LBB35_359
.LBB35_357:
                                        ; implicit-def: $vgpr74_vgpr75
.LBB35_358:
	ds_read_b64 v[74:75], v76
.LBB35_359:
	s_and_saveexec_b64 s[10:11], s[6:7]
	s_cbranch_execz .LBB35_361
; %bb.360:
	buffer_load_dword v78, v77, s[0:3], 0 offen offset:8
	buffer_load_dword v79, v77, s[0:3], 0 offen offset:12
	ds_read_b64 v[80:81], v76 offset:8
	s_waitcnt vmcnt(0) lgkmcnt(0)
	v_fmac_f64_e32 v[74:75], v[78:79], v[80:81]
.LBB35_361:
	s_or_b64 exec, exec, s[10:11]
	v_mov_b32_e32 v78, 0
	ds_read_b64 v[78:79], v78 offset:16
	s_waitcnt lgkmcnt(0)
	v_mul_f64 v[74:75], v[74:75], v[78:79]
	buffer_store_dword v75, off, s[0:3], 0 offset:20
	buffer_store_dword v74, off, s[0:3], 0 offset:16
.LBB35_362:
	s_or_b64 exec, exec, s[8:9]
	buffer_load_dword v74, off, s[0:3], 0 offset:24
	buffer_load_dword v75, off, s[0:3], 0 offset:28
	v_cmp_gt_u32_e32 vcc, 3, v0
	s_waitcnt vmcnt(0)
	ds_write_b64 v76, v[74:75]
	s_waitcnt lgkmcnt(0)
	; wave barrier
	s_waitcnt lgkmcnt(0)
	s_and_saveexec_b64 s[8:9], vcc
	s_cbranch_execz .LBB35_370
; %bb.363:
	s_and_b64 vcc, exec, s[4:5]
	s_cbranch_vccnz .LBB35_365
; %bb.364:
	buffer_load_dword v74, v77, s[0:3], 0 offen
	buffer_load_dword v75, v77, s[0:3], 0 offen offset:4
	ds_read_b64 v[78:79], v76
	s_waitcnt vmcnt(0) lgkmcnt(0)
	v_mul_f64 v[74:75], v[74:75], v[78:79]
	s_cbranch_execz .LBB35_366
	s_branch .LBB35_367
.LBB35_365:
                                        ; implicit-def: $vgpr74_vgpr75
.LBB35_366:
	ds_read_b64 v[74:75], v76
.LBB35_367:
	v_cmp_ne_u32_e32 vcc, 2, v0
	s_and_saveexec_b64 s[10:11], vcc
	s_cbranch_execz .LBB35_369
; %bb.368:
	buffer_load_dword v79, v77, s[0:3], 0 offen offset:12
	buffer_load_dword v80, off, s[0:3], 0 offset:16
	buffer_load_dword v78, v77, s[0:3], 0 offen offset:8
	buffer_load_dword v81, off, s[0:3], 0 offset:20
	v_mov_b32_e32 v84, 0
	ds_read_b64 v[82:83], v76 offset:8
	ds_read_b64 v[84:85], v84 offset:304
	s_waitcnt vmcnt(1) lgkmcnt(1)
	v_fmac_f64_e32 v[74:75], v[78:79], v[82:83]
	s_waitcnt vmcnt(0) lgkmcnt(0)
	v_fma_f64 v[78:79], v[80:81], v[84:85], v[74:75]
	v_cndmask_b32_e64 v75, v75, v79, s[6:7]
	v_cndmask_b32_e64 v74, v74, v78, s[6:7]
.LBB35_369:
	s_or_b64 exec, exec, s[10:11]
	v_mov_b32_e32 v78, 0
	ds_read_b64 v[78:79], v78 offset:24
	s_waitcnt lgkmcnt(0)
	v_mul_f64 v[74:75], v[74:75], v[78:79]
	buffer_store_dword v75, off, s[0:3], 0 offset:28
	buffer_store_dword v74, off, s[0:3], 0 offset:24
.LBB35_370:
	s_or_b64 exec, exec, s[8:9]
	buffer_load_dword v74, off, s[0:3], 0 offset:32
	buffer_load_dword v75, off, s[0:3], 0 offset:36
	v_cmp_gt_u32_e32 vcc, 4, v0
	s_waitcnt vmcnt(0)
	ds_write_b64 v76, v[74:75]
	s_waitcnt lgkmcnt(0)
	; wave barrier
	s_waitcnt lgkmcnt(0)
	s_and_saveexec_b64 s[6:7], vcc
	s_cbranch_execz .LBB35_380
; %bb.371:
	s_and_b64 vcc, exec, s[4:5]
	s_cbranch_vccnz .LBB35_373
; %bb.372:
	buffer_load_dword v74, v77, s[0:3], 0 offen
	buffer_load_dword v75, v77, s[0:3], 0 offen offset:4
	ds_read_b64 v[78:79], v76
	s_waitcnt vmcnt(0) lgkmcnt(0)
	v_mul_f64 v[74:75], v[74:75], v[78:79]
	s_cbranch_execz .LBB35_374
	s_branch .LBB35_375
.LBB35_373:
                                        ; implicit-def: $vgpr74_vgpr75
.LBB35_374:
	ds_read_b64 v[74:75], v76
.LBB35_375:
	v_cmp_ne_u32_e32 vcc, 3, v0
	s_and_saveexec_b64 s[8:9], vcc
	s_cbranch_execz .LBB35_379
; %bb.376:
	v_mov_b32_e32 v79, 0
	v_add_u32_e32 v78, 0x128, v1
	v_add3_u32 v79, v1, v79, 8
	s_mov_b64 s[10:11], 0
	v_mov_b32_e32 v80, v0
.LBB35_377:                             ; =>This Inner Loop Header: Depth=1
	buffer_load_dword v82, v79, s[0:3], 0 offen
	buffer_load_dword v83, v79, s[0:3], 0 offen offset:4
	ds_read_b64 v[84:85], v78
	v_add_u32_e32 v80, 1, v80
	v_cmp_lt_u32_e32 vcc, 2, v80
	v_add_u32_e32 v78, 8, v78
	v_add_u32_e32 v79, 8, v79
	s_or_b64 s[10:11], vcc, s[10:11]
	s_waitcnt vmcnt(0) lgkmcnt(0)
	v_fmac_f64_e32 v[74:75], v[82:83], v[84:85]
	s_andn2_b64 exec, exec, s[10:11]
	s_cbranch_execnz .LBB35_377
; %bb.378:
	s_or_b64 exec, exec, s[10:11]
.LBB35_379:
	s_or_b64 exec, exec, s[8:9]
	v_mov_b32_e32 v78, 0
	ds_read_b64 v[78:79], v78 offset:32
	s_waitcnt lgkmcnt(0)
	v_mul_f64 v[74:75], v[74:75], v[78:79]
	buffer_store_dword v75, off, s[0:3], 0 offset:36
	buffer_store_dword v74, off, s[0:3], 0 offset:32
.LBB35_380:
	s_or_b64 exec, exec, s[6:7]
	buffer_load_dword v74, off, s[0:3], 0 offset:40
	buffer_load_dword v75, off, s[0:3], 0 offset:44
	v_cmp_gt_u32_e32 vcc, 5, v0
	s_waitcnt vmcnt(0)
	ds_write_b64 v76, v[74:75]
	s_waitcnt lgkmcnt(0)
	; wave barrier
	s_waitcnt lgkmcnt(0)
	s_and_saveexec_b64 s[6:7], vcc
	s_cbranch_execz .LBB35_390
; %bb.381:
	s_and_b64 vcc, exec, s[4:5]
	s_cbranch_vccnz .LBB35_383
; %bb.382:
	buffer_load_dword v74, v77, s[0:3], 0 offen
	buffer_load_dword v75, v77, s[0:3], 0 offen offset:4
	ds_read_b64 v[78:79], v76
	s_waitcnt vmcnt(0) lgkmcnt(0)
	v_mul_f64 v[74:75], v[74:75], v[78:79]
	s_cbranch_execz .LBB35_384
	s_branch .LBB35_385
.LBB35_383:
                                        ; implicit-def: $vgpr74_vgpr75
.LBB35_384:
	ds_read_b64 v[74:75], v76
.LBB35_385:
	v_cmp_ne_u32_e32 vcc, 4, v0
	s_and_saveexec_b64 s[8:9], vcc
	s_cbranch_execz .LBB35_389
; %bb.386:
	v_mov_b32_e32 v79, 0
	v_add_u32_e32 v78, 0x128, v1
	v_add3_u32 v79, v1, v79, 8
	s_mov_b64 s[10:11], 0
	v_mov_b32_e32 v80, v0
.LBB35_387:                             ; =>This Inner Loop Header: Depth=1
	buffer_load_dword v82, v79, s[0:3], 0 offen
	buffer_load_dword v83, v79, s[0:3], 0 offen offset:4
	ds_read_b64 v[84:85], v78
	v_add_u32_e32 v80, 1, v80
	v_cmp_lt_u32_e32 vcc, 3, v80
	v_add_u32_e32 v78, 8, v78
	v_add_u32_e32 v79, 8, v79
	s_or_b64 s[10:11], vcc, s[10:11]
	s_waitcnt vmcnt(0) lgkmcnt(0)
	v_fmac_f64_e32 v[74:75], v[82:83], v[84:85]
	s_andn2_b64 exec, exec, s[10:11]
	s_cbranch_execnz .LBB35_387
; %bb.388:
	s_or_b64 exec, exec, s[10:11]
.LBB35_389:
	s_or_b64 exec, exec, s[8:9]
	v_mov_b32_e32 v78, 0
	ds_read_b64 v[78:79], v78 offset:40
	s_waitcnt lgkmcnt(0)
	v_mul_f64 v[74:75], v[74:75], v[78:79]
	buffer_store_dword v75, off, s[0:3], 0 offset:44
	buffer_store_dword v74, off, s[0:3], 0 offset:40
.LBB35_390:
	;; [unrolled: 60-line block ×30, first 2 shown]
	s_or_b64 exec, exec, s[6:7]
	buffer_load_dword v74, off, s[0:3], 0 offset:272
	buffer_load_dword v75, off, s[0:3], 0 offset:276
	v_cmp_gt_u32_e64 s[6:7], 34, v0
	s_waitcnt vmcnt(0)
	ds_write_b64 v76, v[74:75]
	s_waitcnt lgkmcnt(0)
	; wave barrier
	s_waitcnt lgkmcnt(0)
	s_and_saveexec_b64 s[8:9], s[6:7]
	s_cbranch_execz .LBB35_680
; %bb.671:
	s_and_b64 vcc, exec, s[4:5]
	s_cbranch_vccnz .LBB35_673
; %bb.672:
	buffer_load_dword v74, v77, s[0:3], 0 offen
	buffer_load_dword v75, v77, s[0:3], 0 offen offset:4
	ds_read_b64 v[78:79], v76
	s_waitcnt vmcnt(0) lgkmcnt(0)
	v_mul_f64 v[74:75], v[74:75], v[78:79]
	s_cbranch_execz .LBB35_674
	s_branch .LBB35_675
.LBB35_673:
                                        ; implicit-def: $vgpr74_vgpr75
.LBB35_674:
	ds_read_b64 v[74:75], v76
.LBB35_675:
	v_cmp_ne_u32_e32 vcc, 33, v0
	s_and_saveexec_b64 s[10:11], vcc
	s_cbranch_execz .LBB35_679
; %bb.676:
	v_mov_b32_e32 v79, 0
	v_add_u32_e32 v78, 0x128, v1
	v_add3_u32 v79, v1, v79, 8
	s_mov_b64 s[12:13], 0
	v_mov_b32_e32 v80, v0
.LBB35_677:                             ; =>This Inner Loop Header: Depth=1
	buffer_load_dword v82, v79, s[0:3], 0 offen
	buffer_load_dword v83, v79, s[0:3], 0 offen offset:4
	ds_read_b64 v[84:85], v78
	v_add_u32_e32 v80, 1, v80
	v_cmp_lt_u32_e32 vcc, 32, v80
	v_add_u32_e32 v78, 8, v78
	v_add_u32_e32 v79, 8, v79
	s_or_b64 s[12:13], vcc, s[12:13]
	s_waitcnt vmcnt(0) lgkmcnt(0)
	v_fmac_f64_e32 v[74:75], v[82:83], v[84:85]
	s_andn2_b64 exec, exec, s[12:13]
	s_cbranch_execnz .LBB35_677
; %bb.678:
	s_or_b64 exec, exec, s[12:13]
.LBB35_679:
	s_or_b64 exec, exec, s[10:11]
	v_mov_b32_e32 v78, 0
	ds_read_b64 v[78:79], v78 offset:272
	s_waitcnt lgkmcnt(0)
	v_mul_f64 v[74:75], v[74:75], v[78:79]
	buffer_store_dword v75, off, s[0:3], 0 offset:276
	buffer_store_dword v74, off, s[0:3], 0 offset:272
.LBB35_680:
	s_or_b64 exec, exec, s[8:9]
	buffer_load_dword v74, off, s[0:3], 0 offset:280
	buffer_load_dword v75, off, s[0:3], 0 offset:284
	v_cmp_ne_u32_e32 vcc, 35, v0
	s_waitcnt vmcnt(0)
	ds_write_b64 v76, v[74:75]
	s_waitcnt lgkmcnt(0)
	; wave barrier
	s_waitcnt lgkmcnt(0)
	s_and_saveexec_b64 s[8:9], vcc
	s_cbranch_execz .LBB35_690
; %bb.681:
	s_and_b64 vcc, exec, s[4:5]
	s_cbranch_vccnz .LBB35_683
; %bb.682:
	buffer_load_dword v74, v77, s[0:3], 0 offen
	buffer_load_dword v75, v77, s[0:3], 0 offen offset:4
	ds_read_b64 v[78:79], v76
	s_waitcnt vmcnt(0) lgkmcnt(0)
	v_mul_f64 v[74:75], v[74:75], v[78:79]
	s_cbranch_execz .LBB35_684
	s_branch .LBB35_685
.LBB35_683:
                                        ; implicit-def: $vgpr74_vgpr75
.LBB35_684:
	ds_read_b64 v[74:75], v76
.LBB35_685:
	s_and_saveexec_b64 s[4:5], s[6:7]
	s_cbranch_execz .LBB35_689
; %bb.686:
	v_mov_b32_e32 v77, 0
	v_add_u32_e32 v76, 0x128, v1
	v_add3_u32 v1, v1, v77, 8
	s_mov_b64 s[6:7], 0
.LBB35_687:                             ; =>This Inner Loop Header: Depth=1
	buffer_load_dword v78, v1, s[0:3], 0 offen
	buffer_load_dword v79, v1, s[0:3], 0 offen offset:4
	ds_read_b64 v[80:81], v76
	v_add_u32_e32 v0, 1, v0
	v_cmp_lt_u32_e32 vcc, 33, v0
	v_add_u32_e32 v76, 8, v76
	v_add_u32_e32 v1, 8, v1
	s_or_b64 s[6:7], vcc, s[6:7]
	s_waitcnt vmcnt(0) lgkmcnt(0)
	v_fmac_f64_e32 v[74:75], v[78:79], v[80:81]
	s_andn2_b64 exec, exec, s[6:7]
	s_cbranch_execnz .LBB35_687
; %bb.688:
	s_or_b64 exec, exec, s[6:7]
.LBB35_689:
	s_or_b64 exec, exec, s[4:5]
	v_mov_b32_e32 v0, 0
	ds_read_b64 v[0:1], v0 offset:280
	s_waitcnt lgkmcnt(0)
	v_mul_f64 v[0:1], v[74:75], v[0:1]
	buffer_store_dword v1, off, s[0:3], 0 offset:284
	buffer_store_dword v0, off, s[0:3], 0 offset:280
.LBB35_690:
	s_or_b64 exec, exec, s[8:9]
.LBB35_691:
	buffer_load_dword v0, off, s[0:3], 0
	buffer_load_dword v1, off, s[0:3], 0 offset:4
	buffer_load_dword v74, off, s[0:3], 0 offset:8
	;; [unrolled: 1-line block ×15, first 2 shown]
	s_waitcnt vmcnt(14)
	global_store_dwordx2 v[2:3], v[0:1], off
	s_waitcnt vmcnt(13)
	global_store_dwordx2 v[4:5], v[74:75], off
	;; [unrolled: 2-line block ×8, first 2 shown]
	buffer_load_dword v1, off, s[0:3], 0 offset:68
	buffer_load_dword v0, off, s[0:3], 0 offset:64
	s_waitcnt vmcnt(0)
	global_store_dwordx2 v[20:21], v[0:1], off
	buffer_load_dword v0, off, s[0:3], 0 offset:72
	s_nop 0
	buffer_load_dword v1, off, s[0:3], 0 offset:76
	s_waitcnt vmcnt(0)
	global_store_dwordx2 v[18:19], v[0:1], off
	buffer_load_dword v0, off, s[0:3], 0 offset:80
	s_nop 0
	;; [unrolled: 5-line block ×27, first 2 shown]
	buffer_load_dword v1, off, s[0:3], 0 offset:284
	s_waitcnt vmcnt(0)
	global_store_dwordx2 v[22:23], v[0:1], off
.LBB35_692:
	s_endpgm
	.section	.rodata,"a",@progbits
	.p2align	6, 0x0
	.amdhsa_kernel _ZN9rocsolver6v33100L18trti2_kernel_smallILi36EdPdEEv13rocblas_fill_17rocblas_diagonal_T1_iil
		.amdhsa_group_segment_fixed_size 576
		.amdhsa_private_segment_fixed_size 304
		.amdhsa_kernarg_size 32
		.amdhsa_user_sgpr_count 8
		.amdhsa_user_sgpr_private_segment_buffer 1
		.amdhsa_user_sgpr_dispatch_ptr 0
		.amdhsa_user_sgpr_queue_ptr 0
		.amdhsa_user_sgpr_kernarg_segment_ptr 1
		.amdhsa_user_sgpr_dispatch_id 0
		.amdhsa_user_sgpr_flat_scratch_init 1
		.amdhsa_user_sgpr_kernarg_preload_length 0
		.amdhsa_user_sgpr_kernarg_preload_offset 0
		.amdhsa_user_sgpr_private_segment_size 0
		.amdhsa_uses_dynamic_stack 0
		.amdhsa_system_sgpr_private_segment_wavefront_offset 1
		.amdhsa_system_sgpr_workgroup_id_x 1
		.amdhsa_system_sgpr_workgroup_id_y 0
		.amdhsa_system_sgpr_workgroup_id_z 0
		.amdhsa_system_sgpr_workgroup_info 0
		.amdhsa_system_vgpr_workitem_id 0
		.amdhsa_next_free_vgpr 128
		.amdhsa_next_free_sgpr 20
		.amdhsa_accum_offset 128
		.amdhsa_reserve_vcc 1
		.amdhsa_reserve_flat_scratch 0
		.amdhsa_float_round_mode_32 0
		.amdhsa_float_round_mode_16_64 0
		.amdhsa_float_denorm_mode_32 3
		.amdhsa_float_denorm_mode_16_64 3
		.amdhsa_dx10_clamp 1
		.amdhsa_ieee_mode 1
		.amdhsa_fp16_overflow 0
		.amdhsa_tg_split 0
		.amdhsa_exception_fp_ieee_invalid_op 0
		.amdhsa_exception_fp_denorm_src 0
		.amdhsa_exception_fp_ieee_div_zero 0
		.amdhsa_exception_fp_ieee_overflow 0
		.amdhsa_exception_fp_ieee_underflow 0
		.amdhsa_exception_fp_ieee_inexact 0
		.amdhsa_exception_int_div_zero 0
	.end_amdhsa_kernel
	.section	.text._ZN9rocsolver6v33100L18trti2_kernel_smallILi36EdPdEEv13rocblas_fill_17rocblas_diagonal_T1_iil,"axG",@progbits,_ZN9rocsolver6v33100L18trti2_kernel_smallILi36EdPdEEv13rocblas_fill_17rocblas_diagonal_T1_iil,comdat
.Lfunc_end35:
	.size	_ZN9rocsolver6v33100L18trti2_kernel_smallILi36EdPdEEv13rocblas_fill_17rocblas_diagonal_T1_iil, .Lfunc_end35-_ZN9rocsolver6v33100L18trti2_kernel_smallILi36EdPdEEv13rocblas_fill_17rocblas_diagonal_T1_iil
                                        ; -- End function
	.section	.AMDGPU.csdata,"",@progbits
; Kernel info:
; codeLenInByte = 21064
; NumSgprs: 24
; NumVgprs: 128
; NumAgprs: 0
; TotalNumVgprs: 128
; ScratchSize: 304
; MemoryBound: 0
; FloatMode: 240
; IeeeMode: 1
; LDSByteSize: 576 bytes/workgroup (compile time only)
; SGPRBlocks: 2
; VGPRBlocks: 15
; NumSGPRsForWavesPerEU: 24
; NumVGPRsForWavesPerEU: 128
; AccumOffset: 128
; Occupancy: 4
; WaveLimiterHint : 0
; COMPUTE_PGM_RSRC2:SCRATCH_EN: 1
; COMPUTE_PGM_RSRC2:USER_SGPR: 8
; COMPUTE_PGM_RSRC2:TRAP_HANDLER: 0
; COMPUTE_PGM_RSRC2:TGID_X_EN: 1
; COMPUTE_PGM_RSRC2:TGID_Y_EN: 0
; COMPUTE_PGM_RSRC2:TGID_Z_EN: 0
; COMPUTE_PGM_RSRC2:TIDIG_COMP_CNT: 0
; COMPUTE_PGM_RSRC3_GFX90A:ACCUM_OFFSET: 31
; COMPUTE_PGM_RSRC3_GFX90A:TG_SPLIT: 0
	.section	.text._ZN9rocsolver6v33100L18trti2_kernel_smallILi37EdPdEEv13rocblas_fill_17rocblas_diagonal_T1_iil,"axG",@progbits,_ZN9rocsolver6v33100L18trti2_kernel_smallILi37EdPdEEv13rocblas_fill_17rocblas_diagonal_T1_iil,comdat
	.globl	_ZN9rocsolver6v33100L18trti2_kernel_smallILi37EdPdEEv13rocblas_fill_17rocblas_diagonal_T1_iil ; -- Begin function _ZN9rocsolver6v33100L18trti2_kernel_smallILi37EdPdEEv13rocblas_fill_17rocblas_diagonal_T1_iil
	.p2align	8
	.type	_ZN9rocsolver6v33100L18trti2_kernel_smallILi37EdPdEEv13rocblas_fill_17rocblas_diagonal_T1_iil,@function
_ZN9rocsolver6v33100L18trti2_kernel_smallILi37EdPdEEv13rocblas_fill_17rocblas_diagonal_T1_iil: ; @_ZN9rocsolver6v33100L18trti2_kernel_smallILi37EdPdEEv13rocblas_fill_17rocblas_diagonal_T1_iil
; %bb.0:
	s_add_u32 s0, s0, s9
	s_addc_u32 s1, s1, 0
	v_cmp_gt_u32_e32 vcc, 37, v0
	s_and_saveexec_b64 s[6:7], vcc
	s_cbranch_execz .LBB36_712
; %bb.1:
	s_load_dwordx8 s[12:19], s[4:5], 0x0
	s_ashr_i32 s6, s8, 31
	v_lshlrev_b32_e32 v1, 3, v0
	v_mov_b32_e32 v113, 0
	s_waitcnt lgkmcnt(0)
	s_mul_i32 s7, s8, s19
	s_mul_hi_u32 s9, s8, s18
	s_add_i32 s7, s9, s7
	s_mul_i32 s6, s6, s18
	s_add_i32 s7, s7, s6
	s_mul_i32 s6, s8, s18
	s_ashr_i32 s5, s16, 31
	s_lshl_b64 s[6:7], s[6:7], 3
	s_mov_b32 s4, s16
	s_add_u32 s6, s14, s6
	s_addc_u32 s7, s15, s7
	s_lshl_b64 s[4:5], s[4:5], 3
	s_add_u32 s4, s6, s4
	s_addc_u32 s5, s7, s5
	v_mov_b32_e32 v3, s5
	v_add_co_u32_e32 v2, vcc, s4, v1
	s_ashr_i32 s7, s17, 31
	s_mov_b32 s6, s17
	v_addc_co_u32_e32 v3, vcc, 0, v3, vcc
	s_lshl_b64 s[6:7], s[6:7], 3
	v_add_co_u32_e32 v4, vcc, s6, v2
	s_add_i32 s6, s17, s17
	v_add_u32_e32 v8, s6, v0
	v_mov_b32_e32 v5, s7
	v_ashrrev_i32_e32 v9, 31, v8
	v_addc_co_u32_e32 v5, vcc, v3, v5, vcc
	v_lshlrev_b64 v[6:7], 3, v[8:9]
	v_add_u32_e32 v10, s17, v8
	v_mov_b32_e32 v9, s5
	v_add_co_u32_e32 v6, vcc, s4, v6
	v_ashrrev_i32_e32 v11, 31, v10
	v_addc_co_u32_e32 v7, vcc, v9, v7, vcc
	v_lshlrev_b64 v[8:9], 3, v[10:11]
	v_add_u32_e32 v12, s17, v10
	v_mov_b32_e32 v11, s5
	v_add_co_u32_e32 v8, vcc, s4, v8
	;; [unrolled: 6-line block ×5, first 2 shown]
	v_ashrrev_i32_e32 v19, 31, v18
	v_addc_co_u32_e32 v15, vcc, v17, v15, vcc
	v_lshlrev_b64 v[16:17], 3, v[18:19]
	v_mov_b32_e32 v19, s5
	v_add_co_u32_e32 v16, vcc, s4, v16
	v_add_u32_e32 v18, s17, v18
	v_addc_co_u32_e32 v17, vcc, v19, v17, vcc
	v_ashrrev_i32_e32 v19, 31, v18
	v_lshlrev_b64 v[20:21], 3, v[18:19]
	v_mov_b32_e32 v19, s5
	v_add_co_u32_e32 v20, vcc, s4, v20
	global_load_dwordx2 v[26:27], v1, s[4:5]
	global_load_dwordx2 v[28:29], v[4:5], off
	global_load_dwordx2 v[30:31], v[6:7], off
	;; [unrolled: 1-line block ×4, first 2 shown]
	v_addc_co_u32_e32 v21, vcc, v19, v21, vcc
	global_load_dwordx2 v[36:37], v[12:13], off
	global_load_dwordx2 v[38:39], v[14:15], off
	;; [unrolled: 1-line block ×4, first 2 shown]
	v_add_u32_e32 v22, s17, v18
	v_ashrrev_i32_e32 v23, 31, v22
	v_lshlrev_b64 v[18:19], 3, v[22:23]
	v_add_u32_e32 v24, s17, v22
	v_mov_b32_e32 v23, s5
	v_add_co_u32_e32 v18, vcc, s4, v18
	v_ashrrev_i32_e32 v25, 31, v24
	v_addc_co_u32_e32 v19, vcc, v23, v19, vcc
	v_lshlrev_b64 v[22:23], 3, v[24:25]
	v_mov_b32_e32 v25, s5
	v_add_co_u32_e32 v22, vcc, s4, v22
	v_add_u32_e32 v48, s17, v24
	v_addc_co_u32_e32 v23, vcc, v25, v23, vcc
	global_load_dwordx2 v[44:45], v[18:19], off
	global_load_dwordx2 v[46:47], v[22:23], off
	v_ashrrev_i32_e32 v49, 31, v48
	v_lshlrev_b64 v[24:25], 3, v[48:49]
	v_mov_b32_e32 v49, s5
	v_add_co_u32_e32 v24, vcc, s4, v24
	v_addc_co_u32_e32 v25, vcc, v49, v25, vcc
	global_load_dwordx2 v[50:51], v[24:25], off
	s_waitcnt vmcnt(11)
	buffer_store_dword v27, off, s[0:3], 0 offset:4
	buffer_store_dword v26, off, s[0:3], 0
	s_waitcnt vmcnt(12)
	buffer_store_dword v29, off, s[0:3], 0 offset:12
	buffer_store_dword v28, off, s[0:3], 0 offset:8
	s_waitcnt vmcnt(13)
	buffer_store_dword v31, off, s[0:3], 0 offset:20
	buffer_store_dword v30, off, s[0:3], 0 offset:16
	;; [unrolled: 3-line block ×8, first 2 shown]
	v_add_u32_e32 v28, s17, v48
	v_ashrrev_i32_e32 v29, 31, v28
	v_lshlrev_b64 v[26:27], 3, v[28:29]
	v_add_u32_e32 v30, s17, v28
	v_mov_b32_e32 v29, s5
	v_add_co_u32_e32 v26, vcc, s4, v26
	v_ashrrev_i32_e32 v31, 31, v30
	v_addc_co_u32_e32 v27, vcc, v29, v27, vcc
	v_lshlrev_b64 v[28:29], 3, v[30:31]
	v_add_u32_e32 v32, s17, v30
	v_mov_b32_e32 v31, s5
	v_add_co_u32_e32 v28, vcc, s4, v28
	v_ashrrev_i32_e32 v33, 31, v32
	v_addc_co_u32_e32 v29, vcc, v31, v29, vcc
	v_lshlrev_b64 v[30:31], 3, v[32:33]
	v_add_u32_e32 v34, s17, v32
	v_mov_b32_e32 v33, s5
	v_add_co_u32_e32 v30, vcc, s4, v30
	v_ashrrev_i32_e32 v35, 31, v34
	global_load_dwordx2 v[84:85], v[26:27], off
	v_addc_co_u32_e32 v31, vcc, v33, v31, vcc
	v_lshlrev_b64 v[32:33], 3, v[34:35]
	v_add_u32_e32 v36, s17, v34
	v_mov_b32_e32 v35, s5
	v_add_co_u32_e32 v32, vcc, s4, v32
	v_ashrrev_i32_e32 v37, 31, v36
	v_addc_co_u32_e32 v33, vcc, v35, v33, vcc
	v_lshlrev_b64 v[34:35], 3, v[36:37]
	v_add_u32_e32 v38, s17, v36
	v_mov_b32_e32 v37, s5
	v_add_co_u32_e32 v34, vcc, s4, v34
	v_ashrrev_i32_e32 v39, 31, v38
	v_addc_co_u32_e32 v35, vcc, v37, v35, vcc
	v_lshlrev_b64 v[36:37], 3, v[38:39]
	v_add_u32_e32 v40, s17, v38
	v_mov_b32_e32 v39, s5
	v_add_co_u32_e32 v36, vcc, s4, v36
	v_ashrrev_i32_e32 v41, 31, v40
	v_addc_co_u32_e32 v37, vcc, v39, v37, vcc
	v_lshlrev_b64 v[38:39], 3, v[40:41]
	v_add_u32_e32 v42, s17, v40
	v_mov_b32_e32 v41, s5
	v_add_co_u32_e32 v38, vcc, s4, v38
	v_ashrrev_i32_e32 v43, 31, v42
	s_waitcnt vmcnt(21)
	buffer_store_dword v44, off, s[0:3], 0 offset:72
	buffer_store_dword v45, off, s[0:3], 0 offset:76
	s_waitcnt vmcnt(22)
	buffer_store_dword v46, off, s[0:3], 0 offset:80
	buffer_store_dword v47, off, s[0:3], 0 offset:84
	;; [unrolled: 3-line block ×3, first 2 shown]
	v_addc_co_u32_e32 v39, vcc, v41, v39, vcc
	v_lshlrev_b64 v[40:41], 3, v[42:43]
	v_add_u32_e32 v44, s17, v42
	v_mov_b32_e32 v43, s5
	v_add_co_u32_e32 v40, vcc, s4, v40
	v_ashrrev_i32_e32 v45, 31, v44
	v_addc_co_u32_e32 v41, vcc, v43, v41, vcc
	v_lshlrev_b64 v[42:43], 3, v[44:45]
	v_add_u32_e32 v46, s17, v44
	v_mov_b32_e32 v45, s5
	v_add_co_u32_e32 v42, vcc, s4, v42
	v_ashrrev_i32_e32 v47, 31, v46
	;; [unrolled: 6-line block ×13, first 2 shown]
	v_addc_co_u32_e32 v65, vcc, v67, v65, vcc
	v_lshlrev_b64 v[66:67], 3, v[68:69]
	v_mov_b32_e32 v69, s5
	v_add_co_u32_e32 v66, vcc, s4, v66
	global_load_dwordx2 v[82:83], v[28:29], off
	global_load_dwordx2 v[80:81], v[30:31], off
	;; [unrolled: 1-line block ×16, first 2 shown]
	v_addc_co_u32_e32 v67, vcc, v69, v67, vcc
	global_load_dwordx2 v[110:111], v[60:61], off
	global_load_dwordx2 v[114:115], v[62:63], off
	;; [unrolled: 1-line block ×4, first 2 shown]
	v_add_u32_e32 v70, s17, v68
	v_ashrrev_i32_e32 v71, 31, v70
	v_lshlrev_b64 v[68:69], 3, v[70:71]
	v_mov_b32_e32 v71, s5
	v_add_co_u32_e32 v68, vcc, s4, v68
	v_add_u32_e32 v70, s17, v70
	v_addc_co_u32_e32 v69, vcc, v71, v69, vcc
	v_ashrrev_i32_e32 v71, 31, v70
	v_lshlrev_b64 v[72:73], 3, v[70:71]
	v_mov_b32_e32 v71, s5
	v_add_co_u32_e32 v72, vcc, s4, v72
	v_add_u32_e32 v70, s17, v70
	v_addc_co_u32_e32 v73, vcc, v71, v73, vcc
	v_ashrrev_i32_e32 v71, 31, v70
	global_load_dwordx2 v[120:121], v[68:69], off
	v_lshlrev_b64 v[74:75], 3, v[70:71]
	v_mov_b32_e32 v71, s5
	v_add_co_u32_e32 v74, vcc, s4, v74
	v_add_u32_e32 v70, s17, v70
	v_addc_co_u32_e32 v75, vcc, v71, v75, vcc
	v_ashrrev_i32_e32 v71, 31, v70
	global_load_dwordx2 v[122:123], v[72:73], off
	global_load_dwordx2 v[124:125], v[74:75], off
	v_lshlrev_b64 v[70:71], 3, v[70:71]
	v_mov_b32_e32 v112, s5
	v_add_co_u32_e32 v70, vcc, s4, v70
	v_addc_co_u32_e32 v71, vcc, v112, v71, vcc
	s_waitcnt vmcnt(29)
	buffer_store_dword v84, off, s[0:3], 0 offset:96
	buffer_store_dword v85, off, s[0:3], 0 offset:100
	global_load_dwordx2 v[84:85], v[70:71], off
	s_waitcnt vmcnt(25)
	buffer_store_dword v82, off, s[0:3], 0 offset:104
	buffer_store_dword v83, off, s[0:3], 0 offset:108
	s_waitcnt vmcnt(26)
	buffer_store_dword v81, off, s[0:3], 0 offset:116
	buffer_store_dword v80, off, s[0:3], 0 offset:112
	;; [unrolled: 3-line block ×24, first 2 shown]
	s_cmpk_lg_i32 s13, 0x84
	v_mov_b32_e32 v76, 0
	s_cselect_b64 s[8:9], -1, 0
	s_cmpk_eq_i32 s13, 0x84
	v_mov_b32_e32 v77, 0xbff00000
	s_cbranch_scc1 .LBB36_3
; %bb.2:
	v_lshl_add_u32 v86, v0, 3, v113
	buffer_load_dword v76, v86, s[0:3], 0 offen
	buffer_load_dword v77, v86, s[0:3], 0 offen offset:4
	s_waitcnt vmcnt(0)
	v_div_scale_f64 v[78:79], s[4:5], v[76:77], v[76:77], 1.0
	v_rcp_f64_e32 v[80:81], v[78:79]
	v_div_scale_f64 v[82:83], vcc, 1.0, v[76:77], 1.0
	v_fma_f64 v[84:85], -v[78:79], v[80:81], 1.0
	v_fmac_f64_e32 v[80:81], v[80:81], v[84:85]
	v_fma_f64 v[84:85], -v[78:79], v[80:81], 1.0
	v_fmac_f64_e32 v[80:81], v[80:81], v[84:85]
	v_mul_f64 v[84:85], v[82:83], v[80:81]
	v_fma_f64 v[78:79], -v[78:79], v[84:85], v[82:83]
	v_div_fmas_f64 v[78:79], v[78:79], v[80:81], v[84:85]
	v_div_fixup_f64 v[76:77], v[78:79], v[76:77], 1.0
	buffer_store_dword v76, v86, s[0:3], 0 offen
	buffer_store_dword v77, v86, s[0:3], 0 offen offset:4
	v_xor_b32_e32 v77, 0x80000000, v77
.LBB36_3:
	s_cmpk_eq_i32 s12, 0x79
	v_add_u32_e32 v78, 0x130, v1
	v_add_u32_e32 v79, 0, v1
	s_mov_b64 s[4:5], -1
	ds_write_b64 v1, v[76:77]
	s_cbranch_scc1 .LBB36_357
; %bb.4:
	buffer_load_dword v76, off, s[0:3], 0 offset:280
	buffer_load_dword v77, off, s[0:3], 0 offset:284
	v_cmp_eq_u32_e64 s[4:5], 36, v0
	s_waitcnt vmcnt(0)
	ds_write_b64 v78, v[76:77]
	s_waitcnt lgkmcnt(0)
	; wave barrier
	s_waitcnt lgkmcnt(0)
	s_and_saveexec_b64 s[6:7], s[4:5]
	s_cbranch_execz .LBB36_10
; %bb.5:
	s_and_b64 vcc, exec, s[8:9]
	s_cbranch_vccz .LBB36_7
; %bb.6:
	buffer_load_dword v76, v79, s[0:3], 0 offen
	buffer_load_dword v77, v79, s[0:3], 0 offen offset:4
	ds_read_b64 v[80:81], v78
	s_waitcnt vmcnt(0) lgkmcnt(0)
	v_mul_f64 v[76:77], v[76:77], v[80:81]
	s_cbranch_execz .LBB36_8
	s_branch .LBB36_9
.LBB36_7:
                                        ; implicit-def: $vgpr76_vgpr77
.LBB36_8:
	ds_read_b64 v[76:77], v78
.LBB36_9:
	v_mov_b32_e32 v80, 0
	ds_read_b64 v[80:81], v80 offset:280
	s_waitcnt lgkmcnt(0)
	v_mul_f64 v[76:77], v[76:77], v[80:81]
	buffer_store_dword v77, off, s[0:3], 0 offset:284
	buffer_store_dword v76, off, s[0:3], 0 offset:280
.LBB36_10:
	s_or_b64 exec, exec, s[6:7]
	buffer_load_dword v76, off, s[0:3], 0 offset:272
	buffer_load_dword v77, off, s[0:3], 0 offset:276
	v_or_b32_e32 v80, 8, v113
	v_add_u32_e32 v81, 16, v113
	v_add_u32_e32 v82, 24, v113
	v_add_u32_e32 v83, 32, v113
	v_add_u32_e32 v84, 40, v113
	v_add_u32_e32 v85, 48, v113
	v_add_u32_e32 v86, 56, v113
	v_add_u32_e32 v87, 64, v113
	v_add_u32_e32 v88, 0x48, v113
	v_add_u32_e32 v89, 0x50, v113
	v_add_u32_e32 v90, 0x58, v113
	v_add_u32_e32 v91, 0x60, v113
	v_add_u32_e32 v92, 0x68, v113
	v_add_u32_e32 v93, 0x70, v113
	v_add_u32_e32 v94, 0x78, v113
	v_add_u32_e32 v95, 0x80, v113
	v_add_u32_e32 v96, 0x88, v113
	v_add_u32_e32 v97, 0x90, v113
	v_add_u32_e32 v98, 0x98, v113
	v_add_u32_e32 v99, 0xa0, v113
	v_add_u32_e32 v100, 0xa8, v113
	v_add_u32_e32 v101, 0xb0, v113
	v_add_u32_e32 v102, 0xb8, v113
	v_add_u32_e32 v103, 0xc0, v113
	v_add_u32_e32 v104, 0xc8, v113
	v_add_u32_e32 v105, 0xd0, v113
	v_add_u32_e32 v106, 0xd8, v113
	v_add_u32_e32 v107, 0xe0, v113
	v_add_u32_e32 v108, 0xe8, v113
	v_add_u32_e32 v109, 0xf0, v113
	v_add_u32_e32 v110, 0xf8, v113
	v_add_u32_e32 v111, 0x100, v113
	v_add_u32_e32 v112, 0x108, v113
	v_add_u32_e32 v113, 0x110, v113
	v_cmp_lt_u32_e64 s[6:7], 34, v0
	s_waitcnt vmcnt(0)
	ds_write_b64 v78, v[76:77]
	s_waitcnt lgkmcnt(0)
	; wave barrier
	s_waitcnt lgkmcnt(0)
	s_and_saveexec_b64 s[10:11], s[6:7]
	s_cbranch_execz .LBB36_16
; %bb.11:
	s_andn2_b64 vcc, exec, s[8:9]
	s_cbranch_vccnz .LBB36_13
; %bb.12:
	buffer_load_dword v76, v79, s[0:3], 0 offen
	buffer_load_dword v77, v79, s[0:3], 0 offen offset:4
	ds_read_b64 v[114:115], v78
	s_waitcnt vmcnt(0) lgkmcnt(0)
	v_mul_f64 v[76:77], v[76:77], v[114:115]
	s_cbranch_execz .LBB36_14
	s_branch .LBB36_15
.LBB36_13:
                                        ; implicit-def: $vgpr76_vgpr77
.LBB36_14:
	ds_read_b64 v[76:77], v78
.LBB36_15:
	buffer_load_dword v118, off, s[0:3], 0 offset:280
	buffer_load_dword v119, off, s[0:3], 0 offset:284
	v_mov_b32_e32 v114, 0
	ds_read2_b64 v[114:117], v114 offset0:34 offset1:73
	s_waitcnt vmcnt(0) lgkmcnt(0)
	v_fma_f64 v[116:117], v[118:119], v[116:117], v[76:77]
	v_cndmask_b32_e64 v77, v77, v117, s[4:5]
	v_cndmask_b32_e64 v76, v76, v116, s[4:5]
	v_mul_f64 v[76:77], v[76:77], v[114:115]
	buffer_store_dword v77, off, s[0:3], 0 offset:276
	buffer_store_dword v76, off, s[0:3], 0 offset:272
.LBB36_16:
	s_or_b64 exec, exec, s[10:11]
	buffer_load_dword v76, off, s[0:3], 0 offset:264
	buffer_load_dword v77, off, s[0:3], 0 offset:268
	v_cmp_lt_u32_e64 s[4:5], 33, v0
	s_waitcnt vmcnt(0)
	ds_write_b64 v78, v[76:77]
	s_waitcnt lgkmcnt(0)
	; wave barrier
	s_waitcnt lgkmcnt(0)
	s_and_saveexec_b64 s[10:11], s[4:5]
	s_cbranch_execz .LBB36_26
; %bb.17:
	s_andn2_b64 vcc, exec, s[8:9]
	s_cbranch_vccnz .LBB36_19
; %bb.18:
	buffer_load_dword v76, v79, s[0:3], 0 offen
	buffer_load_dword v77, v79, s[0:3], 0 offen offset:4
	ds_read_b64 v[114:115], v78
	s_waitcnt vmcnt(0) lgkmcnt(0)
	v_mul_f64 v[76:77], v[76:77], v[114:115]
	s_cbranch_execz .LBB36_20
	s_branch .LBB36_21
.LBB36_19:
                                        ; implicit-def: $vgpr76_vgpr77
.LBB36_20:
	ds_read_b64 v[76:77], v78
.LBB36_21:
	s_and_saveexec_b64 s[12:13], s[6:7]
	s_cbranch_execz .LBB36_25
; %bb.22:
	v_subrev_u32_e32 v114, 34, v0
	s_movk_i32 s14, 0x240
	s_mov_b64 s[6:7], 0
.LBB36_23:                              ; =>This Inner Loop Header: Depth=1
	buffer_load_dword v116, v113, s[0:3], 0 offen
	buffer_load_dword v117, v113, s[0:3], 0 offen offset:4
	v_mov_b32_e32 v115, s14
	ds_read_b64 v[118:119], v115
	v_add_u32_e32 v114, -1, v114
	s_add_i32 s14, s14, 8
	v_cmp_eq_u32_e32 vcc, 0, v114
	v_add_u32_e32 v113, 8, v113
	s_or_b64 s[6:7], vcc, s[6:7]
	s_waitcnt vmcnt(0) lgkmcnt(0)
	v_fmac_f64_e32 v[76:77], v[116:117], v[118:119]
	s_andn2_b64 exec, exec, s[6:7]
	s_cbranch_execnz .LBB36_23
; %bb.24:
	s_or_b64 exec, exec, s[6:7]
.LBB36_25:
	s_or_b64 exec, exec, s[12:13]
	v_mov_b32_e32 v113, 0
	ds_read_b64 v[114:115], v113 offset:264
	s_waitcnt lgkmcnt(0)
	v_mul_f64 v[76:77], v[76:77], v[114:115]
	buffer_store_dword v77, off, s[0:3], 0 offset:268
	buffer_store_dword v76, off, s[0:3], 0 offset:264
.LBB36_26:
	s_or_b64 exec, exec, s[10:11]
	buffer_load_dword v76, off, s[0:3], 0 offset:256
	buffer_load_dword v77, off, s[0:3], 0 offset:260
	v_cmp_lt_u32_e64 s[6:7], 32, v0
	s_waitcnt vmcnt(0)
	ds_write_b64 v78, v[76:77]
	s_waitcnt lgkmcnt(0)
	; wave barrier
	s_waitcnt lgkmcnt(0)
	s_and_saveexec_b64 s[10:11], s[6:7]
	s_cbranch_execz .LBB36_36
; %bb.27:
	s_andn2_b64 vcc, exec, s[8:9]
	s_cbranch_vccnz .LBB36_29
; %bb.28:
	buffer_load_dword v76, v79, s[0:3], 0 offen
	buffer_load_dword v77, v79, s[0:3], 0 offen offset:4
	ds_read_b64 v[114:115], v78
	s_waitcnt vmcnt(0) lgkmcnt(0)
	v_mul_f64 v[76:77], v[76:77], v[114:115]
	s_cbranch_execz .LBB36_30
	s_branch .LBB36_31
.LBB36_29:
                                        ; implicit-def: $vgpr76_vgpr77
.LBB36_30:
	ds_read_b64 v[76:77], v78
.LBB36_31:
	s_and_saveexec_b64 s[12:13], s[4:5]
	s_cbranch_execz .LBB36_35
; %bb.32:
	v_subrev_u32_e32 v113, 33, v0
	s_movk_i32 s14, 0x238
	s_mov_b64 s[4:5], 0
.LBB36_33:                              ; =>This Inner Loop Header: Depth=1
	buffer_load_dword v114, v112, s[0:3], 0 offen
	buffer_load_dword v115, v112, s[0:3], 0 offen offset:4
	v_mov_b32_e32 v116, s14
	ds_read_b64 v[116:117], v116
	v_add_u32_e32 v113, -1, v113
	s_add_i32 s14, s14, 8
	v_cmp_eq_u32_e32 vcc, 0, v113
	v_add_u32_e32 v112, 8, v112
	s_or_b64 s[4:5], vcc, s[4:5]
	s_waitcnt vmcnt(0) lgkmcnt(0)
	v_fmac_f64_e32 v[76:77], v[114:115], v[116:117]
	s_andn2_b64 exec, exec, s[4:5]
	s_cbranch_execnz .LBB36_33
; %bb.34:
	s_or_b64 exec, exec, s[4:5]
.LBB36_35:
	s_or_b64 exec, exec, s[12:13]
	v_mov_b32_e32 v112, 0
	ds_read_b64 v[112:113], v112 offset:256
	s_waitcnt lgkmcnt(0)
	v_mul_f64 v[76:77], v[76:77], v[112:113]
	buffer_store_dword v77, off, s[0:3], 0 offset:260
	buffer_store_dword v76, off, s[0:3], 0 offset:256
.LBB36_36:
	;; [unrolled: 58-line block ×8, first 2 shown]
	s_or_b64 exec, exec, s[10:11]
	buffer_load_dword v76, off, s[0:3], 0 offset:200
	buffer_load_dword v77, off, s[0:3], 0 offset:204
	v_cmp_lt_u32_e64 s[4:5], 25, v0
	s_waitcnt vmcnt(0)
	ds_write_b64 v78, v[76:77]
	s_waitcnt lgkmcnt(0)
	; wave barrier
	s_waitcnt lgkmcnt(0)
	s_and_saveexec_b64 s[10:11], s[4:5]
	s_cbranch_execz .LBB36_106
; %bb.97:
	s_andn2_b64 vcc, exec, s[8:9]
	s_cbranch_vccnz .LBB36_99
; %bb.98:
	buffer_load_dword v76, v79, s[0:3], 0 offen
	buffer_load_dword v77, v79, s[0:3], 0 offen offset:4
	ds_read_b64 v[106:107], v78
	s_waitcnt vmcnt(0) lgkmcnt(0)
	v_mul_f64 v[76:77], v[76:77], v[106:107]
	s_cbranch_execz .LBB36_100
	s_branch .LBB36_101
.LBB36_99:
                                        ; implicit-def: $vgpr76_vgpr77
.LBB36_100:
	ds_read_b64 v[76:77], v78
.LBB36_101:
	s_and_saveexec_b64 s[12:13], s[6:7]
	s_cbranch_execz .LBB36_105
; %bb.102:
	v_subrev_u32_e32 v106, 26, v0
	s_movk_i32 s14, 0x200
	s_mov_b64 s[6:7], 0
.LBB36_103:                             ; =>This Inner Loop Header: Depth=1
	buffer_load_dword v108, v105, s[0:3], 0 offen
	buffer_load_dword v109, v105, s[0:3], 0 offen offset:4
	v_mov_b32_e32 v107, s14
	ds_read_b64 v[110:111], v107
	v_add_u32_e32 v106, -1, v106
	s_add_i32 s14, s14, 8
	v_cmp_eq_u32_e32 vcc, 0, v106
	v_add_u32_e32 v105, 8, v105
	s_or_b64 s[6:7], vcc, s[6:7]
	s_waitcnt vmcnt(0) lgkmcnt(0)
	v_fmac_f64_e32 v[76:77], v[108:109], v[110:111]
	s_andn2_b64 exec, exec, s[6:7]
	s_cbranch_execnz .LBB36_103
; %bb.104:
	s_or_b64 exec, exec, s[6:7]
.LBB36_105:
	s_or_b64 exec, exec, s[12:13]
	v_mov_b32_e32 v105, 0
	ds_read_b64 v[106:107], v105 offset:200
	s_waitcnt lgkmcnt(0)
	v_mul_f64 v[76:77], v[76:77], v[106:107]
	buffer_store_dword v77, off, s[0:3], 0 offset:204
	buffer_store_dword v76, off, s[0:3], 0 offset:200
.LBB36_106:
	s_or_b64 exec, exec, s[10:11]
	buffer_load_dword v76, off, s[0:3], 0 offset:192
	buffer_load_dword v77, off, s[0:3], 0 offset:196
	v_cmp_lt_u32_e64 s[6:7], 24, v0
	s_waitcnt vmcnt(0)
	ds_write_b64 v78, v[76:77]
	s_waitcnt lgkmcnt(0)
	; wave barrier
	s_waitcnt lgkmcnt(0)
	s_and_saveexec_b64 s[10:11], s[6:7]
	s_cbranch_execz .LBB36_116
; %bb.107:
	s_andn2_b64 vcc, exec, s[8:9]
	s_cbranch_vccnz .LBB36_109
; %bb.108:
	buffer_load_dword v76, v79, s[0:3], 0 offen
	buffer_load_dword v77, v79, s[0:3], 0 offen offset:4
	ds_read_b64 v[106:107], v78
	s_waitcnt vmcnt(0) lgkmcnt(0)
	v_mul_f64 v[76:77], v[76:77], v[106:107]
	s_cbranch_execz .LBB36_110
	s_branch .LBB36_111
.LBB36_109:
                                        ; implicit-def: $vgpr76_vgpr77
.LBB36_110:
	ds_read_b64 v[76:77], v78
.LBB36_111:
	s_and_saveexec_b64 s[12:13], s[4:5]
	s_cbranch_execz .LBB36_115
; %bb.112:
	v_subrev_u32_e32 v105, 25, v0
	s_movk_i32 s14, 0x1f8
	s_mov_b64 s[4:5], 0
.LBB36_113:                             ; =>This Inner Loop Header: Depth=1
	buffer_load_dword v106, v104, s[0:3], 0 offen
	buffer_load_dword v107, v104, s[0:3], 0 offen offset:4
	v_mov_b32_e32 v108, s14
	ds_read_b64 v[108:109], v108
	v_add_u32_e32 v105, -1, v105
	s_add_i32 s14, s14, 8
	v_cmp_eq_u32_e32 vcc, 0, v105
	v_add_u32_e32 v104, 8, v104
	s_or_b64 s[4:5], vcc, s[4:5]
	s_waitcnt vmcnt(0) lgkmcnt(0)
	v_fmac_f64_e32 v[76:77], v[106:107], v[108:109]
	s_andn2_b64 exec, exec, s[4:5]
	s_cbranch_execnz .LBB36_113
; %bb.114:
	s_or_b64 exec, exec, s[4:5]
.LBB36_115:
	s_or_b64 exec, exec, s[12:13]
	v_mov_b32_e32 v104, 0
	ds_read_b64 v[104:105], v104 offset:192
	s_waitcnt lgkmcnt(0)
	v_mul_f64 v[76:77], v[76:77], v[104:105]
	buffer_store_dword v77, off, s[0:3], 0 offset:196
	buffer_store_dword v76, off, s[0:3], 0 offset:192
.LBB36_116:
	;; [unrolled: 58-line block ×10, first 2 shown]
	s_or_b64 exec, exec, s[10:11]
	buffer_load_dword v76, off, s[0:3], 0 offset:120
	buffer_load_dword v77, off, s[0:3], 0 offset:124
	v_cmp_lt_u32_e64 s[4:5], 15, v0
	s_waitcnt vmcnt(0)
	ds_write_b64 v78, v[76:77]
	s_waitcnt lgkmcnt(0)
	; wave barrier
	s_waitcnt lgkmcnt(0)
	s_and_saveexec_b64 s[10:11], s[4:5]
	s_cbranch_execz .LBB36_206
; %bb.197:
	s_andn2_b64 vcc, exec, s[8:9]
	s_cbranch_vccnz .LBB36_199
; %bb.198:
	buffer_load_dword v76, v79, s[0:3], 0 offen
	buffer_load_dword v77, v79, s[0:3], 0 offen offset:4
	ds_read_b64 v[96:97], v78
	s_waitcnt vmcnt(0) lgkmcnt(0)
	v_mul_f64 v[76:77], v[76:77], v[96:97]
	s_cbranch_execz .LBB36_200
	s_branch .LBB36_201
.LBB36_199:
                                        ; implicit-def: $vgpr76_vgpr77
.LBB36_200:
	ds_read_b64 v[76:77], v78
.LBB36_201:
	s_and_saveexec_b64 s[12:13], s[6:7]
	s_cbranch_execz .LBB36_205
; %bb.202:
	v_add_u32_e32 v96, -16, v0
	s_movk_i32 s14, 0x1b0
	s_mov_b64 s[6:7], 0
.LBB36_203:                             ; =>This Inner Loop Header: Depth=1
	buffer_load_dword v98, v95, s[0:3], 0 offen
	buffer_load_dword v99, v95, s[0:3], 0 offen offset:4
	v_mov_b32_e32 v97, s14
	ds_read_b64 v[100:101], v97
	v_add_u32_e32 v96, -1, v96
	s_add_i32 s14, s14, 8
	v_cmp_eq_u32_e32 vcc, 0, v96
	v_add_u32_e32 v95, 8, v95
	s_or_b64 s[6:7], vcc, s[6:7]
	s_waitcnt vmcnt(0) lgkmcnt(0)
	v_fmac_f64_e32 v[76:77], v[98:99], v[100:101]
	s_andn2_b64 exec, exec, s[6:7]
	s_cbranch_execnz .LBB36_203
; %bb.204:
	s_or_b64 exec, exec, s[6:7]
.LBB36_205:
	s_or_b64 exec, exec, s[12:13]
	v_mov_b32_e32 v95, 0
	ds_read_b64 v[96:97], v95 offset:120
	s_waitcnt lgkmcnt(0)
	v_mul_f64 v[76:77], v[76:77], v[96:97]
	buffer_store_dword v77, off, s[0:3], 0 offset:124
	buffer_store_dword v76, off, s[0:3], 0 offset:120
.LBB36_206:
	s_or_b64 exec, exec, s[10:11]
	buffer_load_dword v76, off, s[0:3], 0 offset:112
	buffer_load_dword v77, off, s[0:3], 0 offset:116
	v_cmp_lt_u32_e64 s[6:7], 14, v0
	s_waitcnt vmcnt(0)
	ds_write_b64 v78, v[76:77]
	s_waitcnt lgkmcnt(0)
	; wave barrier
	s_waitcnt lgkmcnt(0)
	s_and_saveexec_b64 s[10:11], s[6:7]
	s_cbranch_execz .LBB36_216
; %bb.207:
	s_andn2_b64 vcc, exec, s[8:9]
	s_cbranch_vccnz .LBB36_209
; %bb.208:
	buffer_load_dword v76, v79, s[0:3], 0 offen
	buffer_load_dword v77, v79, s[0:3], 0 offen offset:4
	ds_read_b64 v[96:97], v78
	s_waitcnt vmcnt(0) lgkmcnt(0)
	v_mul_f64 v[76:77], v[76:77], v[96:97]
	s_cbranch_execz .LBB36_210
	s_branch .LBB36_211
.LBB36_209:
                                        ; implicit-def: $vgpr76_vgpr77
.LBB36_210:
	ds_read_b64 v[76:77], v78
.LBB36_211:
	s_and_saveexec_b64 s[12:13], s[4:5]
	s_cbranch_execz .LBB36_215
; %bb.212:
	v_add_u32_e32 v95, -15, v0
	s_movk_i32 s14, 0x1a8
	s_mov_b64 s[4:5], 0
.LBB36_213:                             ; =>This Inner Loop Header: Depth=1
	buffer_load_dword v96, v94, s[0:3], 0 offen
	buffer_load_dword v97, v94, s[0:3], 0 offen offset:4
	v_mov_b32_e32 v98, s14
	ds_read_b64 v[98:99], v98
	v_add_u32_e32 v95, -1, v95
	s_add_i32 s14, s14, 8
	v_cmp_eq_u32_e32 vcc, 0, v95
	v_add_u32_e32 v94, 8, v94
	s_or_b64 s[4:5], vcc, s[4:5]
	s_waitcnt vmcnt(0) lgkmcnt(0)
	v_fmac_f64_e32 v[76:77], v[96:97], v[98:99]
	s_andn2_b64 exec, exec, s[4:5]
	s_cbranch_execnz .LBB36_213
; %bb.214:
	s_or_b64 exec, exec, s[4:5]
.LBB36_215:
	s_or_b64 exec, exec, s[12:13]
	v_mov_b32_e32 v94, 0
	ds_read_b64 v[94:95], v94 offset:112
	s_waitcnt lgkmcnt(0)
	v_mul_f64 v[76:77], v[76:77], v[94:95]
	buffer_store_dword v77, off, s[0:3], 0 offset:116
	buffer_store_dword v76, off, s[0:3], 0 offset:112
.LBB36_216:
	;; [unrolled: 58-line block ×15, first 2 shown]
	s_or_b64 exec, exec, s[10:11]
	buffer_load_dword v76, off, s[0:3], 0
	buffer_load_dword v77, off, s[0:3], 0 offset:4
	v_cmp_ne_u32_e32 vcc, 0, v0
	s_waitcnt vmcnt(0)
	ds_write_b64 v78, v[76:77]
	s_waitcnt lgkmcnt(0)
	; wave barrier
	s_waitcnt lgkmcnt(0)
	s_and_saveexec_b64 s[6:7], vcc
	s_cbranch_execz .LBB36_356
; %bb.347:
	s_andn2_b64 vcc, exec, s[8:9]
	s_cbranch_vccnz .LBB36_349
; %bb.348:
	buffer_load_dword v76, v79, s[0:3], 0 offen
	buffer_load_dword v77, v79, s[0:3], 0 offen offset:4
	ds_read_b64 v[82:83], v78
	s_waitcnt vmcnt(0) lgkmcnt(0)
	v_mul_f64 v[76:77], v[76:77], v[82:83]
	s_cbranch_execz .LBB36_350
	s_branch .LBB36_351
.LBB36_349:
                                        ; implicit-def: $vgpr76_vgpr77
.LBB36_350:
	ds_read_b64 v[76:77], v78
.LBB36_351:
	s_and_saveexec_b64 s[10:11], s[4:5]
	s_cbranch_execz .LBB36_355
; %bb.352:
	v_add_u32_e32 v81, -1, v0
	s_movk_i32 s12, 0x138
	s_mov_b64 s[4:5], 0
.LBB36_353:                             ; =>This Inner Loop Header: Depth=1
	buffer_load_dword v82, v80, s[0:3], 0 offen
	buffer_load_dword v83, v80, s[0:3], 0 offen offset:4
	v_mov_b32_e32 v84, s12
	ds_read_b64 v[84:85], v84
	v_add_u32_e32 v81, -1, v81
	s_add_i32 s12, s12, 8
	v_cmp_eq_u32_e32 vcc, 0, v81
	v_add_u32_e32 v80, 8, v80
	s_or_b64 s[4:5], vcc, s[4:5]
	s_waitcnt vmcnt(0) lgkmcnt(0)
	v_fmac_f64_e32 v[76:77], v[82:83], v[84:85]
	s_andn2_b64 exec, exec, s[4:5]
	s_cbranch_execnz .LBB36_353
; %bb.354:
	s_or_b64 exec, exec, s[4:5]
.LBB36_355:
	s_or_b64 exec, exec, s[10:11]
	v_mov_b32_e32 v80, 0
	ds_read_b64 v[80:81], v80
	s_waitcnt lgkmcnt(0)
	v_mul_f64 v[76:77], v[76:77], v[80:81]
	buffer_store_dword v77, off, s[0:3], 0 offset:4
	buffer_store_dword v76, off, s[0:3], 0
.LBB36_356:
	s_or_b64 exec, exec, s[6:7]
	s_mov_b64 s[4:5], 0
.LBB36_357:
	s_and_b64 vcc, exec, s[4:5]
	s_cbranch_vccz .LBB36_711
; %bb.358:
	buffer_load_dword v76, off, s[0:3], 0 offset:8
	buffer_load_dword v77, off, s[0:3], 0 offset:12
	v_cmp_eq_u32_e64 s[6:7], 0, v0
	s_waitcnt vmcnt(0)
	ds_write_b64 v78, v[76:77]
	s_waitcnt lgkmcnt(0)
	; wave barrier
	s_waitcnt lgkmcnt(0)
	s_and_saveexec_b64 s[4:5], s[6:7]
	s_cbranch_execz .LBB36_364
; %bb.359:
	s_and_b64 vcc, exec, s[8:9]
	s_cbranch_vccz .LBB36_361
; %bb.360:
	buffer_load_dword v76, v79, s[0:3], 0 offen
	buffer_load_dword v77, v79, s[0:3], 0 offen offset:4
	ds_read_b64 v[80:81], v78
	s_waitcnt vmcnt(0) lgkmcnt(0)
	v_mul_f64 v[76:77], v[76:77], v[80:81]
	s_cbranch_execz .LBB36_362
	s_branch .LBB36_363
.LBB36_361:
                                        ; implicit-def: $vgpr76_vgpr77
.LBB36_362:
	ds_read_b64 v[76:77], v78
.LBB36_363:
	v_mov_b32_e32 v80, 0
	ds_read_b64 v[80:81], v80 offset:8
	s_waitcnt lgkmcnt(0)
	v_mul_f64 v[76:77], v[76:77], v[80:81]
	buffer_store_dword v77, off, s[0:3], 0 offset:12
	buffer_store_dword v76, off, s[0:3], 0 offset:8
.LBB36_364:
	s_or_b64 exec, exec, s[4:5]
	buffer_load_dword v76, off, s[0:3], 0 offset:16
	buffer_load_dword v77, off, s[0:3], 0 offset:20
	v_cndmask_b32_e64 v80, 0, 1, s[8:9]
	v_cmp_gt_u32_e32 vcc, 2, v0
	v_cmp_ne_u32_e64 s[4:5], 1, v80
	s_waitcnt vmcnt(0)
	ds_write_b64 v78, v[76:77]
	s_waitcnt lgkmcnt(0)
	; wave barrier
	s_waitcnt lgkmcnt(0)
	s_and_saveexec_b64 s[8:9], vcc
	s_cbranch_execz .LBB36_372
; %bb.365:
	s_and_b64 vcc, exec, s[4:5]
	s_cbranch_vccnz .LBB36_367
; %bb.366:
	buffer_load_dword v76, v79, s[0:3], 0 offen
	buffer_load_dword v77, v79, s[0:3], 0 offen offset:4
	ds_read_b64 v[80:81], v78
	s_waitcnt vmcnt(0) lgkmcnt(0)
	v_mul_f64 v[76:77], v[76:77], v[80:81]
	s_cbranch_execz .LBB36_368
	s_branch .LBB36_369
.LBB36_367:
                                        ; implicit-def: $vgpr76_vgpr77
.LBB36_368:
	ds_read_b64 v[76:77], v78
.LBB36_369:
	s_and_saveexec_b64 s[10:11], s[6:7]
	s_cbranch_execz .LBB36_371
; %bb.370:
	buffer_load_dword v80, v79, s[0:3], 0 offen offset:8
	buffer_load_dword v81, v79, s[0:3], 0 offen offset:12
	ds_read_b64 v[82:83], v78 offset:8
	s_waitcnt vmcnt(0) lgkmcnt(0)
	v_fmac_f64_e32 v[76:77], v[80:81], v[82:83]
.LBB36_371:
	s_or_b64 exec, exec, s[10:11]
	v_mov_b32_e32 v80, 0
	ds_read_b64 v[80:81], v80 offset:16
	s_waitcnt lgkmcnt(0)
	v_mul_f64 v[76:77], v[76:77], v[80:81]
	buffer_store_dword v77, off, s[0:3], 0 offset:20
	buffer_store_dword v76, off, s[0:3], 0 offset:16
.LBB36_372:
	s_or_b64 exec, exec, s[8:9]
	buffer_load_dword v76, off, s[0:3], 0 offset:24
	buffer_load_dword v77, off, s[0:3], 0 offset:28
	v_cmp_gt_u32_e32 vcc, 3, v0
	s_waitcnt vmcnt(0)
	ds_write_b64 v78, v[76:77]
	s_waitcnt lgkmcnt(0)
	; wave barrier
	s_waitcnt lgkmcnt(0)
	s_and_saveexec_b64 s[8:9], vcc
	s_cbranch_execz .LBB36_380
; %bb.373:
	s_and_b64 vcc, exec, s[4:5]
	s_cbranch_vccnz .LBB36_375
; %bb.374:
	buffer_load_dword v76, v79, s[0:3], 0 offen
	buffer_load_dword v77, v79, s[0:3], 0 offen offset:4
	ds_read_b64 v[80:81], v78
	s_waitcnt vmcnt(0) lgkmcnt(0)
	v_mul_f64 v[76:77], v[76:77], v[80:81]
	s_cbranch_execz .LBB36_376
	s_branch .LBB36_377
.LBB36_375:
                                        ; implicit-def: $vgpr76_vgpr77
.LBB36_376:
	ds_read_b64 v[76:77], v78
.LBB36_377:
	v_cmp_ne_u32_e32 vcc, 2, v0
	s_and_saveexec_b64 s[10:11], vcc
	s_cbranch_execz .LBB36_379
; %bb.378:
	buffer_load_dword v81, v79, s[0:3], 0 offen offset:12
	buffer_load_dword v82, off, s[0:3], 0 offset:16
	buffer_load_dword v80, v79, s[0:3], 0 offen offset:8
	buffer_load_dword v83, off, s[0:3], 0 offset:20
	v_mov_b32_e32 v86, 0
	ds_read_b64 v[84:85], v78 offset:8
	ds_read_b64 v[86:87], v86 offset:320
	s_waitcnt vmcnt(1) lgkmcnt(1)
	v_fmac_f64_e32 v[76:77], v[80:81], v[84:85]
	s_waitcnt vmcnt(0) lgkmcnt(0)
	v_fma_f64 v[80:81], v[82:83], v[86:87], v[76:77]
	v_cndmask_b32_e64 v77, v77, v81, s[6:7]
	v_cndmask_b32_e64 v76, v76, v80, s[6:7]
.LBB36_379:
	s_or_b64 exec, exec, s[10:11]
	v_mov_b32_e32 v80, 0
	ds_read_b64 v[80:81], v80 offset:24
	s_waitcnt lgkmcnt(0)
	v_mul_f64 v[76:77], v[76:77], v[80:81]
	buffer_store_dword v77, off, s[0:3], 0 offset:28
	buffer_store_dword v76, off, s[0:3], 0 offset:24
.LBB36_380:
	s_or_b64 exec, exec, s[8:9]
	buffer_load_dword v76, off, s[0:3], 0 offset:32
	buffer_load_dword v77, off, s[0:3], 0 offset:36
	v_cmp_gt_u32_e32 vcc, 4, v0
	s_waitcnt vmcnt(0)
	ds_write_b64 v78, v[76:77]
	s_waitcnt lgkmcnt(0)
	; wave barrier
	s_waitcnt lgkmcnt(0)
	s_and_saveexec_b64 s[6:7], vcc
	s_cbranch_execz .LBB36_390
; %bb.381:
	s_and_b64 vcc, exec, s[4:5]
	s_cbranch_vccnz .LBB36_383
; %bb.382:
	buffer_load_dword v76, v79, s[0:3], 0 offen
	buffer_load_dword v77, v79, s[0:3], 0 offen offset:4
	ds_read_b64 v[80:81], v78
	s_waitcnt vmcnt(0) lgkmcnt(0)
	v_mul_f64 v[76:77], v[76:77], v[80:81]
	s_cbranch_execz .LBB36_384
	s_branch .LBB36_385
.LBB36_383:
                                        ; implicit-def: $vgpr76_vgpr77
.LBB36_384:
	ds_read_b64 v[76:77], v78
.LBB36_385:
	v_cmp_ne_u32_e32 vcc, 3, v0
	s_and_saveexec_b64 s[8:9], vcc
	s_cbranch_execz .LBB36_389
; %bb.386:
	v_mov_b32_e32 v81, 0
	v_add_u32_e32 v80, 0x138, v1
	v_add3_u32 v81, v1, v81, 8
	s_mov_b64 s[10:11], 0
	v_mov_b32_e32 v82, v0
.LBB36_387:                             ; =>This Inner Loop Header: Depth=1
	buffer_load_dword v84, v81, s[0:3], 0 offen
	buffer_load_dword v85, v81, s[0:3], 0 offen offset:4
	ds_read_b64 v[86:87], v80
	v_add_u32_e32 v82, 1, v82
	v_cmp_lt_u32_e32 vcc, 2, v82
	v_add_u32_e32 v80, 8, v80
	v_add_u32_e32 v81, 8, v81
	s_or_b64 s[10:11], vcc, s[10:11]
	s_waitcnt vmcnt(0) lgkmcnt(0)
	v_fmac_f64_e32 v[76:77], v[84:85], v[86:87]
	s_andn2_b64 exec, exec, s[10:11]
	s_cbranch_execnz .LBB36_387
; %bb.388:
	s_or_b64 exec, exec, s[10:11]
.LBB36_389:
	s_or_b64 exec, exec, s[8:9]
	v_mov_b32_e32 v80, 0
	ds_read_b64 v[80:81], v80 offset:32
	s_waitcnt lgkmcnt(0)
	v_mul_f64 v[76:77], v[76:77], v[80:81]
	buffer_store_dword v77, off, s[0:3], 0 offset:36
	buffer_store_dword v76, off, s[0:3], 0 offset:32
.LBB36_390:
	s_or_b64 exec, exec, s[6:7]
	buffer_load_dword v76, off, s[0:3], 0 offset:40
	buffer_load_dword v77, off, s[0:3], 0 offset:44
	v_cmp_gt_u32_e32 vcc, 5, v0
	s_waitcnt vmcnt(0)
	ds_write_b64 v78, v[76:77]
	s_waitcnt lgkmcnt(0)
	; wave barrier
	s_waitcnt lgkmcnt(0)
	s_and_saveexec_b64 s[6:7], vcc
	s_cbranch_execz .LBB36_400
; %bb.391:
	s_and_b64 vcc, exec, s[4:5]
	s_cbranch_vccnz .LBB36_393
; %bb.392:
	buffer_load_dword v76, v79, s[0:3], 0 offen
	buffer_load_dword v77, v79, s[0:3], 0 offen offset:4
	ds_read_b64 v[80:81], v78
	s_waitcnt vmcnt(0) lgkmcnt(0)
	v_mul_f64 v[76:77], v[76:77], v[80:81]
	s_cbranch_execz .LBB36_394
	s_branch .LBB36_395
.LBB36_393:
                                        ; implicit-def: $vgpr76_vgpr77
.LBB36_394:
	ds_read_b64 v[76:77], v78
.LBB36_395:
	v_cmp_ne_u32_e32 vcc, 4, v0
	s_and_saveexec_b64 s[8:9], vcc
	s_cbranch_execz .LBB36_399
; %bb.396:
	v_mov_b32_e32 v81, 0
	v_add_u32_e32 v80, 0x138, v1
	v_add3_u32 v81, v1, v81, 8
	s_mov_b64 s[10:11], 0
	v_mov_b32_e32 v82, v0
.LBB36_397:                             ; =>This Inner Loop Header: Depth=1
	buffer_load_dword v84, v81, s[0:3], 0 offen
	buffer_load_dword v85, v81, s[0:3], 0 offen offset:4
	ds_read_b64 v[86:87], v80
	v_add_u32_e32 v82, 1, v82
	v_cmp_lt_u32_e32 vcc, 3, v82
	v_add_u32_e32 v80, 8, v80
	v_add_u32_e32 v81, 8, v81
	s_or_b64 s[10:11], vcc, s[10:11]
	s_waitcnt vmcnt(0) lgkmcnt(0)
	v_fmac_f64_e32 v[76:77], v[84:85], v[86:87]
	s_andn2_b64 exec, exec, s[10:11]
	s_cbranch_execnz .LBB36_397
; %bb.398:
	s_or_b64 exec, exec, s[10:11]
.LBB36_399:
	s_or_b64 exec, exec, s[8:9]
	v_mov_b32_e32 v80, 0
	ds_read_b64 v[80:81], v80 offset:40
	s_waitcnt lgkmcnt(0)
	v_mul_f64 v[76:77], v[76:77], v[80:81]
	buffer_store_dword v77, off, s[0:3], 0 offset:44
	buffer_store_dword v76, off, s[0:3], 0 offset:40
.LBB36_400:
	;; [unrolled: 60-line block ×31, first 2 shown]
	s_or_b64 exec, exec, s[6:7]
	buffer_load_dword v76, off, s[0:3], 0 offset:280
	buffer_load_dword v77, off, s[0:3], 0 offset:284
	v_cmp_gt_u32_e64 s[6:7], 35, v0
	s_waitcnt vmcnt(0)
	ds_write_b64 v78, v[76:77]
	s_waitcnt lgkmcnt(0)
	; wave barrier
	s_waitcnt lgkmcnt(0)
	s_and_saveexec_b64 s[8:9], s[6:7]
	s_cbranch_execz .LBB36_700
; %bb.691:
	s_and_b64 vcc, exec, s[4:5]
	s_cbranch_vccnz .LBB36_693
; %bb.692:
	buffer_load_dword v76, v79, s[0:3], 0 offen
	buffer_load_dword v77, v79, s[0:3], 0 offen offset:4
	ds_read_b64 v[80:81], v78
	s_waitcnt vmcnt(0) lgkmcnt(0)
	v_mul_f64 v[76:77], v[76:77], v[80:81]
	s_cbranch_execz .LBB36_694
	s_branch .LBB36_695
.LBB36_693:
                                        ; implicit-def: $vgpr76_vgpr77
.LBB36_694:
	ds_read_b64 v[76:77], v78
.LBB36_695:
	v_cmp_ne_u32_e32 vcc, 34, v0
	s_and_saveexec_b64 s[10:11], vcc
	s_cbranch_execz .LBB36_699
; %bb.696:
	v_mov_b32_e32 v81, 0
	v_add_u32_e32 v80, 0x138, v1
	v_add3_u32 v81, v1, v81, 8
	s_mov_b64 s[12:13], 0
	v_mov_b32_e32 v82, v0
.LBB36_697:                             ; =>This Inner Loop Header: Depth=1
	buffer_load_dword v84, v81, s[0:3], 0 offen
	buffer_load_dword v85, v81, s[0:3], 0 offen offset:4
	ds_read_b64 v[86:87], v80
	v_add_u32_e32 v82, 1, v82
	v_cmp_lt_u32_e32 vcc, 33, v82
	v_add_u32_e32 v80, 8, v80
	v_add_u32_e32 v81, 8, v81
	s_or_b64 s[12:13], vcc, s[12:13]
	s_waitcnt vmcnt(0) lgkmcnt(0)
	v_fmac_f64_e32 v[76:77], v[84:85], v[86:87]
	s_andn2_b64 exec, exec, s[12:13]
	s_cbranch_execnz .LBB36_697
; %bb.698:
	s_or_b64 exec, exec, s[12:13]
.LBB36_699:
	s_or_b64 exec, exec, s[10:11]
	v_mov_b32_e32 v80, 0
	ds_read_b64 v[80:81], v80 offset:280
	s_waitcnt lgkmcnt(0)
	v_mul_f64 v[76:77], v[76:77], v[80:81]
	buffer_store_dword v77, off, s[0:3], 0 offset:284
	buffer_store_dword v76, off, s[0:3], 0 offset:280
.LBB36_700:
	s_or_b64 exec, exec, s[8:9]
	buffer_load_dword v76, off, s[0:3], 0 offset:288
	buffer_load_dword v77, off, s[0:3], 0 offset:292
	v_cmp_ne_u32_e32 vcc, 36, v0
	s_waitcnt vmcnt(0)
	ds_write_b64 v78, v[76:77]
	s_waitcnt lgkmcnt(0)
	; wave barrier
	s_waitcnt lgkmcnt(0)
	s_and_saveexec_b64 s[8:9], vcc
	s_cbranch_execz .LBB36_710
; %bb.701:
	s_and_b64 vcc, exec, s[4:5]
	s_cbranch_vccnz .LBB36_703
; %bb.702:
	buffer_load_dword v76, v79, s[0:3], 0 offen
	buffer_load_dword v77, v79, s[0:3], 0 offen offset:4
	ds_read_b64 v[80:81], v78
	s_waitcnt vmcnt(0) lgkmcnt(0)
	v_mul_f64 v[76:77], v[76:77], v[80:81]
	s_cbranch_execz .LBB36_704
	s_branch .LBB36_705
.LBB36_703:
                                        ; implicit-def: $vgpr76_vgpr77
.LBB36_704:
	ds_read_b64 v[76:77], v78
.LBB36_705:
	s_and_saveexec_b64 s[4:5], s[6:7]
	s_cbranch_execz .LBB36_709
; %bb.706:
	v_mov_b32_e32 v79, 0
	v_add_u32_e32 v78, 0x138, v1
	v_add3_u32 v1, v1, v79, 8
	s_mov_b64 s[6:7], 0
.LBB36_707:                             ; =>This Inner Loop Header: Depth=1
	buffer_load_dword v80, v1, s[0:3], 0 offen
	buffer_load_dword v81, v1, s[0:3], 0 offen offset:4
	ds_read_b64 v[82:83], v78
	v_add_u32_e32 v0, 1, v0
	v_cmp_lt_u32_e32 vcc, 34, v0
	v_add_u32_e32 v78, 8, v78
	v_add_u32_e32 v1, 8, v1
	s_or_b64 s[6:7], vcc, s[6:7]
	s_waitcnt vmcnt(0) lgkmcnt(0)
	v_fmac_f64_e32 v[76:77], v[80:81], v[82:83]
	s_andn2_b64 exec, exec, s[6:7]
	s_cbranch_execnz .LBB36_707
; %bb.708:
	s_or_b64 exec, exec, s[6:7]
.LBB36_709:
	s_or_b64 exec, exec, s[4:5]
	v_mov_b32_e32 v0, 0
	ds_read_b64 v[0:1], v0 offset:288
	s_waitcnt lgkmcnt(0)
	v_mul_f64 v[0:1], v[76:77], v[0:1]
	buffer_store_dword v1, off, s[0:3], 0 offset:292
	buffer_store_dword v0, off, s[0:3], 0 offset:288
.LBB36_710:
	s_or_b64 exec, exec, s[8:9]
.LBB36_711:
	buffer_load_dword v0, off, s[0:3], 0
	buffer_load_dword v1, off, s[0:3], 0 offset:4
	buffer_load_dword v76, off, s[0:3], 0 offset:8
	;; [unrolled: 1-line block ×15, first 2 shown]
	s_waitcnt vmcnt(14)
	global_store_dwordx2 v[2:3], v[0:1], off
	s_waitcnt vmcnt(13)
	global_store_dwordx2 v[4:5], v[76:77], off
	;; [unrolled: 2-line block ×8, first 2 shown]
	buffer_load_dword v1, off, s[0:3], 0 offset:68
	buffer_load_dword v0, off, s[0:3], 0 offset:64
	s_waitcnt vmcnt(0)
	global_store_dwordx2 v[20:21], v[0:1], off
	buffer_load_dword v0, off, s[0:3], 0 offset:72
	s_nop 0
	buffer_load_dword v1, off, s[0:3], 0 offset:76
	s_waitcnt vmcnt(0)
	global_store_dwordx2 v[18:19], v[0:1], off
	buffer_load_dword v0, off, s[0:3], 0 offset:80
	s_nop 0
	;; [unrolled: 5-line block ×28, first 2 shown]
	buffer_load_dword v1, off, s[0:3], 0 offset:292
	s_waitcnt vmcnt(0)
	global_store_dwordx2 v[70:71], v[0:1], off
.LBB36_712:
	s_endpgm
	.section	.rodata,"a",@progbits
	.p2align	6, 0x0
	.amdhsa_kernel _ZN9rocsolver6v33100L18trti2_kernel_smallILi37EdPdEEv13rocblas_fill_17rocblas_diagonal_T1_iil
		.amdhsa_group_segment_fixed_size 600
		.amdhsa_private_segment_fixed_size 304
		.amdhsa_kernarg_size 32
		.amdhsa_user_sgpr_count 8
		.amdhsa_user_sgpr_private_segment_buffer 1
		.amdhsa_user_sgpr_dispatch_ptr 0
		.amdhsa_user_sgpr_queue_ptr 0
		.amdhsa_user_sgpr_kernarg_segment_ptr 1
		.amdhsa_user_sgpr_dispatch_id 0
		.amdhsa_user_sgpr_flat_scratch_init 1
		.amdhsa_user_sgpr_kernarg_preload_length 0
		.amdhsa_user_sgpr_kernarg_preload_offset 0
		.amdhsa_user_sgpr_private_segment_size 0
		.amdhsa_uses_dynamic_stack 0
		.amdhsa_system_sgpr_private_segment_wavefront_offset 1
		.amdhsa_system_sgpr_workgroup_id_x 1
		.amdhsa_system_sgpr_workgroup_id_y 0
		.amdhsa_system_sgpr_workgroup_id_z 0
		.amdhsa_system_sgpr_workgroup_info 0
		.amdhsa_system_vgpr_workitem_id 0
		.amdhsa_next_free_vgpr 126
		.amdhsa_next_free_sgpr 20
		.amdhsa_accum_offset 128
		.amdhsa_reserve_vcc 1
		.amdhsa_reserve_flat_scratch 0
		.amdhsa_float_round_mode_32 0
		.amdhsa_float_round_mode_16_64 0
		.amdhsa_float_denorm_mode_32 3
		.amdhsa_float_denorm_mode_16_64 3
		.amdhsa_dx10_clamp 1
		.amdhsa_ieee_mode 1
		.amdhsa_fp16_overflow 0
		.amdhsa_tg_split 0
		.amdhsa_exception_fp_ieee_invalid_op 0
		.amdhsa_exception_fp_denorm_src 0
		.amdhsa_exception_fp_ieee_div_zero 0
		.amdhsa_exception_fp_ieee_overflow 0
		.amdhsa_exception_fp_ieee_underflow 0
		.amdhsa_exception_fp_ieee_inexact 0
		.amdhsa_exception_int_div_zero 0
	.end_amdhsa_kernel
	.section	.text._ZN9rocsolver6v33100L18trti2_kernel_smallILi37EdPdEEv13rocblas_fill_17rocblas_diagonal_T1_iil,"axG",@progbits,_ZN9rocsolver6v33100L18trti2_kernel_smallILi37EdPdEEv13rocblas_fill_17rocblas_diagonal_T1_iil,comdat
.Lfunc_end36:
	.size	_ZN9rocsolver6v33100L18trti2_kernel_smallILi37EdPdEEv13rocblas_fill_17rocblas_diagonal_T1_iil, .Lfunc_end36-_ZN9rocsolver6v33100L18trti2_kernel_smallILi37EdPdEEv13rocblas_fill_17rocblas_diagonal_T1_iil
                                        ; -- End function
	.section	.AMDGPU.csdata,"",@progbits
; Kernel info:
; codeLenInByte = 21728
; NumSgprs: 24
; NumVgprs: 126
; NumAgprs: 0
; TotalNumVgprs: 126
; ScratchSize: 304
; MemoryBound: 0
; FloatMode: 240
; IeeeMode: 1
; LDSByteSize: 600 bytes/workgroup (compile time only)
; SGPRBlocks: 2
; VGPRBlocks: 15
; NumSGPRsForWavesPerEU: 24
; NumVGPRsForWavesPerEU: 126
; AccumOffset: 128
; Occupancy: 4
; WaveLimiterHint : 0
; COMPUTE_PGM_RSRC2:SCRATCH_EN: 1
; COMPUTE_PGM_RSRC2:USER_SGPR: 8
; COMPUTE_PGM_RSRC2:TRAP_HANDLER: 0
; COMPUTE_PGM_RSRC2:TGID_X_EN: 1
; COMPUTE_PGM_RSRC2:TGID_Y_EN: 0
; COMPUTE_PGM_RSRC2:TGID_Z_EN: 0
; COMPUTE_PGM_RSRC2:TIDIG_COMP_CNT: 0
; COMPUTE_PGM_RSRC3_GFX90A:ACCUM_OFFSET: 31
; COMPUTE_PGM_RSRC3_GFX90A:TG_SPLIT: 0
	.section	.text._ZN9rocsolver6v33100L18trti2_kernel_smallILi38EdPdEEv13rocblas_fill_17rocblas_diagonal_T1_iil,"axG",@progbits,_ZN9rocsolver6v33100L18trti2_kernel_smallILi38EdPdEEv13rocblas_fill_17rocblas_diagonal_T1_iil,comdat
	.globl	_ZN9rocsolver6v33100L18trti2_kernel_smallILi38EdPdEEv13rocblas_fill_17rocblas_diagonal_T1_iil ; -- Begin function _ZN9rocsolver6v33100L18trti2_kernel_smallILi38EdPdEEv13rocblas_fill_17rocblas_diagonal_T1_iil
	.p2align	8
	.type	_ZN9rocsolver6v33100L18trti2_kernel_smallILi38EdPdEEv13rocblas_fill_17rocblas_diagonal_T1_iil,@function
_ZN9rocsolver6v33100L18trti2_kernel_smallILi38EdPdEEv13rocblas_fill_17rocblas_diagonal_T1_iil: ; @_ZN9rocsolver6v33100L18trti2_kernel_smallILi38EdPdEEv13rocblas_fill_17rocblas_diagonal_T1_iil
; %bb.0:
	s_add_u32 s0, s0, s9
	s_addc_u32 s1, s1, 0
	v_cmp_gt_u32_e32 vcc, 38, v0
	s_and_saveexec_b64 s[6:7], vcc
	s_cbranch_execz .LBB37_732
; %bb.1:
	s_load_dwordx8 s[12:19], s[4:5], 0x0
	s_ashr_i32 s6, s8, 31
	s_waitcnt lgkmcnt(0)
	s_mul_i32 s7, s8, s19
	s_mul_hi_u32 s9, s8, s18
	s_add_i32 s7, s9, s7
	s_mul_i32 s6, s6, s18
	s_add_i32 s7, s7, s6
	s_mul_i32 s6, s8, s18
	s_ashr_i32 s5, s16, 31
	s_lshl_b64 s[6:7], s[6:7], 3
	s_mov_b32 s4, s16
	s_add_u32 s6, s14, s6
	s_addc_u32 s7, s15, s7
	s_lshl_b64 s[4:5], s[4:5], 3
	s_add_u32 s4, s6, s4
	s_addc_u32 s5, s7, s5
	s_add_i32 s6, s17, s17
	v_add_u32_e32 v4, s6, v0
	v_ashrrev_i32_e32 v5, 31, v4
	v_lshlrev_b64 v[2:3], 3, v[4:5]
	v_add_u32_e32 v6, s17, v4
	v_mov_b32_e32 v1, s5
	v_add_co_u32_e32 v2, vcc, s4, v2
	v_ashrrev_i32_e32 v7, 31, v6
	v_addc_co_u32_e32 v3, vcc, v1, v3, vcc
	v_lshlrev_b64 v[4:5], 3, v[6:7]
	v_add_u32_e32 v8, s17, v6
	v_add_co_u32_e32 v4, vcc, s4, v4
	v_ashrrev_i32_e32 v9, 31, v8
	v_addc_co_u32_e32 v5, vcc, v1, v5, vcc
	v_lshlrev_b64 v[6:7], 3, v[8:9]
	v_add_u32_e32 v10, s17, v8
	;; [unrolled: 5-line block ×5, first 2 shown]
	v_add_co_u32_e32 v14, vcc, s4, v14
	v_ashrrev_i32_e32 v13, 31, v12
	v_addc_co_u32_e32 v15, vcc, v1, v15, vcc
	v_lshlrev_b64 v[16:17], 3, v[12:13]
	v_add_co_u32_e32 v20, vcc, s4, v16
	v_add_u32_e32 v16, s17, v12
	v_addc_co_u32_e32 v21, vcc, v1, v17, vcc
	v_ashrrev_i32_e32 v17, 31, v16
	v_lshlrev_b64 v[12:13], 3, v[16:17]
	v_add_u32_e32 v18, s17, v16
	v_add_co_u32_e32 v12, vcc, s4, v12
	v_ashrrev_i32_e32 v19, 31, v18
	v_addc_co_u32_e32 v13, vcc, v1, v13, vcc
	v_lshlrev_b64 v[16:17], 3, v[18:19]
	v_add_u32_e32 v22, s17, v18
	v_add_co_u32_e32 v16, vcc, s4, v16
	v_ashrrev_i32_e32 v23, 31, v22
	v_addc_co_u32_e32 v17, vcc, v1, v17, vcc
	;; [unrolled: 5-line block ×20, first 2 shown]
	v_lshlrev_b64 v[56:57], 3, v[58:59]
	v_add_co_u32_e32 v56, vcc, s4, v56
	v_addc_co_u32_e32 v57, vcc, v1, v57, vcc
	v_lshlrev_b32_e32 v1, 3, v0
	v_mov_b32_e32 v59, s5
	v_add_co_u32_e32 v74, vcc, s4, v1
	s_ashr_i32 s7, s17, 31
	s_mov_b32 s6, s17
	v_addc_co_u32_e32 v75, vcc, 0, v59, vcc
	s_lshl_b64 s[6:7], s[6:7], 3
	v_mov_b32_e32 v59, s7
	v_add_co_u32_e32 v76, vcc, s6, v74
	global_load_dwordx2 v[78:79], v1, s[4:5]
	global_load_dwordx2 v[82:83], v[2:3], off
	global_load_dwordx2 v[84:85], v[4:5], off
	v_addc_co_u32_e32 v77, vcc, v75, v59, vcc
	global_load_dwordx2 v[80:81], v[76:77], off
	global_load_dwordx2 v[86:87], v[6:7], off
	;; [unrolled: 1-line block ×12, first 2 shown]
	v_add_u32_e32 v58, s17, v58
	v_ashrrev_i32_e32 v59, 31, v58
	v_lshlrev_b64 v[60:61], 3, v[58:59]
	v_add_u32_e32 v58, s17, v58
	v_mov_b32_e32 v62, s5
	v_add_co_u32_e32 v60, vcc, s4, v60
	v_ashrrev_i32_e32 v59, 31, v58
	v_addc_co_u32_e32 v61, vcc, v62, v61, vcc
	v_lshlrev_b64 v[62:63], 3, v[58:59]
	v_add_u32_e32 v58, s17, v58
	v_mov_b32_e32 v64, s5
	v_add_co_u32_e32 v62, vcc, s4, v62
	v_ashrrev_i32_e32 v59, 31, v58
	v_addc_co_u32_e32 v63, vcc, v64, v63, vcc
	;; [unrolled: 6-line block ×7, first 2 shown]
	v_lshlrev_b64 v[58:59], 3, v[58:59]
	v_add_co_u32_e32 v58, vcc, s4, v58
	v_addc_co_u32_e32 v59, vcc, v108, v59, vcc
	global_load_dwordx2 v[108:109], v[58:59], off
	s_waitcnt vmcnt(15)
	buffer_store_dword v79, off, s[0:3], 0 offset:4
	buffer_store_dword v78, off, s[0:3], 0
	s_waitcnt vmcnt(14)
	buffer_store_dword v81, off, s[0:3], 0 offset:12
	buffer_store_dword v80, off, s[0:3], 0 offset:8
	;; [unrolled: 1-line block ×6, first 2 shown]
	s_waitcnt vmcnt(19)
	buffer_store_dword v87, off, s[0:3], 0 offset:36
	global_load_dwordx2 v[78:79], v[28:29], off
	global_load_dwordx2 v[80:81], v[30:31], off
	global_load_dwordx2 v[82:83], v[32:33], off
	global_load_dwordx2 v[84:85], v[34:35], off
	global_load_dwordx2 v[110:111], v[44:45], off
	global_load_dwordx2 v[112:113], v[48:49], off
	global_load_dwordx2 v[114:115], v[52:53], off
	global_load_dwordx2 v[116:117], v[56:57], off
	global_load_dwordx2 v[118:119], v[62:63], off
	global_load_dwordx2 v[120:121], v[66:67], off
	global_load_dwordx2 v[122:123], v[70:71], off
	s_cmpk_lg_i32 s13, 0x84
	buffer_store_dword v86, off, s[0:3], 0 offset:32
	global_load_dwordx2 v[86:87], v[36:37], off
	s_cselect_b64 s[8:9], -1, 0
	s_waitcnt vmcnt(32)
	buffer_store_dword v89, off, s[0:3], 0 offset:44
	buffer_store_dword v88, off, s[0:3], 0 offset:40
	global_load_dwordx2 v[88:89], v[38:39], off
	s_cmpk_eq_i32 s13, 0x84
	s_waitcnt vmcnt(34)
	buffer_store_dword v91, off, s[0:3], 0 offset:52
	buffer_store_dword v90, off, s[0:3], 0 offset:48
	global_load_dwordx2 v[90:91], v[40:41], off
	s_waitcnt vmcnt(36)
	buffer_store_dword v93, off, s[0:3], 0 offset:60
	buffer_store_dword v92, off, s[0:3], 0 offset:56
	global_load_dwordx2 v[92:93], v[42:43], off
	;; [unrolled: 4-line block ×4, first 2 shown]
	s_nop 0
	buffer_store_dword v98, off, s[0:3], 0 offset:80
	buffer_store_dword v99, off, s[0:3], 0 offset:84
	global_load_dwordx2 v[98:99], v[54:55], off
	s_nop 0
	buffer_store_dword v100, off, s[0:3], 0 offset:88
	buffer_store_dword v101, off, s[0:3], 0 offset:92
	global_load_dwordx2 v[100:101], v[60:61], off
	s_waitcnt vmcnt(46)
	buffer_store_dword v102, off, s[0:3], 0 offset:96
	buffer_store_dword v103, off, s[0:3], 0 offset:100
	global_load_dwordx2 v[102:103], v[64:65], off
	s_waitcnt vmcnt(48)
	;; [unrolled: 4-line block ×4, first 2 shown]
	buffer_store_dword v78, off, s[0:3], 0 offset:120
	buffer_store_dword v79, off, s[0:3], 0 offset:124
	s_waitcnt vmcnt(43)
	buffer_store_dword v80, off, s[0:3], 0 offset:128
	buffer_store_dword v81, off, s[0:3], 0 offset:132
	s_waitcnt vmcnt(44)
	;; [unrolled: 3-line block ×7, first 2 shown]
	buffer_store_dword v92, off, s[0:3], 0 offset:176
	buffer_store_dword v93, off, s[0:3], 0 offset:180
	buffer_store_dword v110, off, s[0:3], 0 offset:184
	buffer_store_dword v111, off, s[0:3], 0 offset:188
	s_waitcnt vmcnt(36)
	buffer_store_dword v94, off, s[0:3], 0 offset:192
	buffer_store_dword v95, off, s[0:3], 0 offset:196
	buffer_store_dword v113, off, s[0:3], 0 offset:204
	buffer_store_dword v112, off, s[0:3], 0 offset:200
	s_waitcnt vmcnt(37)
	;; [unrolled: 5-line block ×7, first 2 shown]
	buffer_store_dword v106, off, s[0:3], 0 offset:288
	buffer_store_dword v107, off, s[0:3], 0 offset:292
	;; [unrolled: 1-line block ×4, first 2 shown]
	v_mov_b32_e32 v78, 0
	v_mov_b32_e32 v116, 0
	;; [unrolled: 1-line block ×3, first 2 shown]
	s_cbranch_scc1 .LBB37_3
; %bb.2:
	v_lshl_add_u32 v88, v0, 3, v116
	buffer_load_dword v78, v88, s[0:3], 0 offen
	buffer_load_dword v79, v88, s[0:3], 0 offen offset:4
	s_waitcnt vmcnt(0)
	v_div_scale_f64 v[80:81], s[4:5], v[78:79], v[78:79], 1.0
	v_rcp_f64_e32 v[82:83], v[80:81]
	v_div_scale_f64 v[84:85], vcc, 1.0, v[78:79], 1.0
	v_fma_f64 v[86:87], -v[80:81], v[82:83], 1.0
	v_fmac_f64_e32 v[82:83], v[82:83], v[86:87]
	v_fma_f64 v[86:87], -v[80:81], v[82:83], 1.0
	v_fmac_f64_e32 v[82:83], v[82:83], v[86:87]
	v_mul_f64 v[86:87], v[84:85], v[82:83]
	v_fma_f64 v[80:81], -v[80:81], v[86:87], v[84:85]
	v_div_fmas_f64 v[80:81], v[80:81], v[82:83], v[86:87]
	v_div_fixup_f64 v[78:79], v[80:81], v[78:79], 1.0
	buffer_store_dword v78, v88, s[0:3], 0 offen
	buffer_store_dword v79, v88, s[0:3], 0 offen offset:4
	v_xor_b32_e32 v79, 0x80000000, v79
.LBB37_3:
	s_cmpk_eq_i32 s12, 0x79
	v_add_u32_e32 v80, 0x130, v1
	v_add_u32_e32 v81, 0, v1
	s_mov_b64 s[4:5], -1
	ds_write_b64 v1, v[78:79]
	s_cbranch_scc1 .LBB37_367
; %bb.4:
	buffer_load_dword v78, off, s[0:3], 0 offset:288
	buffer_load_dword v79, off, s[0:3], 0 offset:292
	v_cmp_eq_u32_e64 s[4:5], 37, v0
	s_waitcnt vmcnt(0)
	ds_write_b64 v80, v[78:79]
	s_waitcnt lgkmcnt(0)
	; wave barrier
	s_waitcnt lgkmcnt(0)
	s_and_saveexec_b64 s[6:7], s[4:5]
	s_cbranch_execz .LBB37_10
; %bb.5:
	s_and_b64 vcc, exec, s[8:9]
	s_cbranch_vccz .LBB37_7
; %bb.6:
	buffer_load_dword v78, v81, s[0:3], 0 offen
	buffer_load_dword v79, v81, s[0:3], 0 offen offset:4
	ds_read_b64 v[82:83], v80
	s_waitcnt vmcnt(0) lgkmcnt(0)
	v_mul_f64 v[78:79], v[78:79], v[82:83]
	s_cbranch_execz .LBB37_8
	s_branch .LBB37_9
.LBB37_7:
                                        ; implicit-def: $vgpr78_vgpr79
.LBB37_8:
	ds_read_b64 v[78:79], v80
.LBB37_9:
	v_mov_b32_e32 v82, 0
	ds_read_b64 v[82:83], v82 offset:288
	s_waitcnt lgkmcnt(0)
	v_mul_f64 v[78:79], v[78:79], v[82:83]
	buffer_store_dword v79, off, s[0:3], 0 offset:292
	buffer_store_dword v78, off, s[0:3], 0 offset:288
.LBB37_10:
	s_or_b64 exec, exec, s[6:7]
	buffer_load_dword v78, off, s[0:3], 0 offset:280
	buffer_load_dword v79, off, s[0:3], 0 offset:284
	v_or_b32_e32 v82, 8, v116
	v_add_u32_e32 v83, 16, v116
	v_add_u32_e32 v84, 24, v116
	;; [unrolled: 1-line block ×34, first 2 shown]
	v_cmp_lt_u32_e64 s[6:7], 35, v0
	s_waitcnt vmcnt(0)
	ds_write_b64 v80, v[78:79]
	s_waitcnt lgkmcnt(0)
	; wave barrier
	s_waitcnt lgkmcnt(0)
	s_and_saveexec_b64 s[10:11], s[6:7]
	s_cbranch_execz .LBB37_16
; %bb.11:
	s_andn2_b64 vcc, exec, s[8:9]
	s_cbranch_vccnz .LBB37_13
; %bb.12:
	buffer_load_dword v78, v81, s[0:3], 0 offen
	buffer_load_dword v79, v81, s[0:3], 0 offen offset:4
	ds_read_b64 v[118:119], v80
	s_waitcnt vmcnt(0) lgkmcnt(0)
	v_mul_f64 v[78:79], v[78:79], v[118:119]
	s_cbranch_execz .LBB37_14
	s_branch .LBB37_15
.LBB37_13:
                                        ; implicit-def: $vgpr78_vgpr79
.LBB37_14:
	ds_read_b64 v[78:79], v80
.LBB37_15:
	buffer_load_dword v122, off, s[0:3], 0 offset:288
	buffer_load_dword v123, off, s[0:3], 0 offset:292
	v_mov_b32_e32 v117, 0
	ds_read2_b64 v[118:121], v117 offset0:35 offset1:74
	s_waitcnt vmcnt(0) lgkmcnt(0)
	v_fma_f64 v[120:121], v[122:123], v[120:121], v[78:79]
	v_cndmask_b32_e64 v79, v79, v121, s[4:5]
	v_cndmask_b32_e64 v78, v78, v120, s[4:5]
	v_mul_f64 v[78:79], v[78:79], v[118:119]
	buffer_store_dword v79, off, s[0:3], 0 offset:284
	buffer_store_dword v78, off, s[0:3], 0 offset:280
.LBB37_16:
	s_or_b64 exec, exec, s[10:11]
	buffer_load_dword v78, off, s[0:3], 0 offset:272
	buffer_load_dword v79, off, s[0:3], 0 offset:276
	v_cmp_lt_u32_e64 s[4:5], 34, v0
	s_waitcnt vmcnt(0)
	ds_write_b64 v80, v[78:79]
	s_waitcnt lgkmcnt(0)
	; wave barrier
	s_waitcnt lgkmcnt(0)
	s_and_saveexec_b64 s[10:11], s[4:5]
	s_cbranch_execz .LBB37_26
; %bb.17:
	s_andn2_b64 vcc, exec, s[8:9]
	s_cbranch_vccnz .LBB37_19
; %bb.18:
	buffer_load_dword v78, v81, s[0:3], 0 offen
	buffer_load_dword v79, v81, s[0:3], 0 offen offset:4
	ds_read_b64 v[118:119], v80
	s_waitcnt vmcnt(0) lgkmcnt(0)
	v_mul_f64 v[78:79], v[78:79], v[118:119]
	s_cbranch_execz .LBB37_20
	s_branch .LBB37_21
.LBB37_19:
                                        ; implicit-def: $vgpr78_vgpr79
.LBB37_20:
	ds_read_b64 v[78:79], v80
.LBB37_21:
	s_and_saveexec_b64 s[12:13], s[6:7]
	s_cbranch_execz .LBB37_25
; %bb.22:
	v_subrev_u32_e32 v117, 35, v0
	s_movk_i32 s14, 0x248
	s_mov_b64 s[6:7], 0
.LBB37_23:                              ; =>This Inner Loop Header: Depth=1
	buffer_load_dword v118, v116, s[0:3], 0 offen
	buffer_load_dword v119, v116, s[0:3], 0 offen offset:4
	v_mov_b32_e32 v120, s14
	ds_read_b64 v[120:121], v120
	v_add_u32_e32 v117, -1, v117
	s_add_i32 s14, s14, 8
	v_cmp_eq_u32_e32 vcc, 0, v117
	v_add_u32_e32 v116, 8, v116
	s_or_b64 s[6:7], vcc, s[6:7]
	s_waitcnt vmcnt(0) lgkmcnt(0)
	v_fmac_f64_e32 v[78:79], v[118:119], v[120:121]
	s_andn2_b64 exec, exec, s[6:7]
	s_cbranch_execnz .LBB37_23
; %bb.24:
	s_or_b64 exec, exec, s[6:7]
.LBB37_25:
	s_or_b64 exec, exec, s[12:13]
	v_mov_b32_e32 v116, 0
	ds_read_b64 v[116:117], v116 offset:272
	s_waitcnt lgkmcnt(0)
	v_mul_f64 v[78:79], v[78:79], v[116:117]
	buffer_store_dword v79, off, s[0:3], 0 offset:276
	buffer_store_dword v78, off, s[0:3], 0 offset:272
.LBB37_26:
	s_or_b64 exec, exec, s[10:11]
	buffer_load_dword v78, off, s[0:3], 0 offset:264
	buffer_load_dword v79, off, s[0:3], 0 offset:268
	v_cmp_lt_u32_e64 s[6:7], 33, v0
	s_waitcnt vmcnt(0)
	ds_write_b64 v80, v[78:79]
	s_waitcnt lgkmcnt(0)
	; wave barrier
	s_waitcnt lgkmcnt(0)
	s_and_saveexec_b64 s[10:11], s[6:7]
	s_cbranch_execz .LBB37_36
; %bb.27:
	s_andn2_b64 vcc, exec, s[8:9]
	s_cbranch_vccnz .LBB37_29
; %bb.28:
	buffer_load_dword v78, v81, s[0:3], 0 offen
	buffer_load_dword v79, v81, s[0:3], 0 offen offset:4
	ds_read_b64 v[116:117], v80
	s_waitcnt vmcnt(0) lgkmcnt(0)
	v_mul_f64 v[78:79], v[78:79], v[116:117]
	s_cbranch_execz .LBB37_30
	s_branch .LBB37_31
.LBB37_29:
                                        ; implicit-def: $vgpr78_vgpr79
.LBB37_30:
	ds_read_b64 v[78:79], v80
.LBB37_31:
	s_and_saveexec_b64 s[12:13], s[4:5]
	s_cbranch_execz .LBB37_35
; %bb.32:
	v_subrev_u32_e32 v116, 34, v0
	s_movk_i32 s14, 0x240
	s_mov_b64 s[4:5], 0
.LBB37_33:                              ; =>This Inner Loop Header: Depth=1
	buffer_load_dword v118, v115, s[0:3], 0 offen
	buffer_load_dword v119, v115, s[0:3], 0 offen offset:4
	v_mov_b32_e32 v117, s14
	ds_read_b64 v[120:121], v117
	v_add_u32_e32 v116, -1, v116
	s_add_i32 s14, s14, 8
	v_cmp_eq_u32_e32 vcc, 0, v116
	v_add_u32_e32 v115, 8, v115
	s_or_b64 s[4:5], vcc, s[4:5]
	s_waitcnt vmcnt(0) lgkmcnt(0)
	v_fmac_f64_e32 v[78:79], v[118:119], v[120:121]
	s_andn2_b64 exec, exec, s[4:5]
	s_cbranch_execnz .LBB37_33
; %bb.34:
	s_or_b64 exec, exec, s[4:5]
.LBB37_35:
	s_or_b64 exec, exec, s[12:13]
	v_mov_b32_e32 v115, 0
	ds_read_b64 v[116:117], v115 offset:264
	s_waitcnt lgkmcnt(0)
	v_mul_f64 v[78:79], v[78:79], v[116:117]
	buffer_store_dword v79, off, s[0:3], 0 offset:268
	buffer_store_dword v78, off, s[0:3], 0 offset:264
.LBB37_36:
	;; [unrolled: 58-line block ×8, first 2 shown]
	s_or_b64 exec, exec, s[10:11]
	buffer_load_dword v78, off, s[0:3], 0 offset:208
	buffer_load_dword v79, off, s[0:3], 0 offset:212
	v_cmp_lt_u32_e64 s[4:5], 26, v0
	s_waitcnt vmcnt(0)
	ds_write_b64 v80, v[78:79]
	s_waitcnt lgkmcnt(0)
	; wave barrier
	s_waitcnt lgkmcnt(0)
	s_and_saveexec_b64 s[10:11], s[4:5]
	s_cbranch_execz .LBB37_106
; %bb.97:
	s_andn2_b64 vcc, exec, s[8:9]
	s_cbranch_vccnz .LBB37_99
; %bb.98:
	buffer_load_dword v78, v81, s[0:3], 0 offen
	buffer_load_dword v79, v81, s[0:3], 0 offen offset:4
	ds_read_b64 v[110:111], v80
	s_waitcnt vmcnt(0) lgkmcnt(0)
	v_mul_f64 v[78:79], v[78:79], v[110:111]
	s_cbranch_execz .LBB37_100
	s_branch .LBB37_101
.LBB37_99:
                                        ; implicit-def: $vgpr78_vgpr79
.LBB37_100:
	ds_read_b64 v[78:79], v80
.LBB37_101:
	s_and_saveexec_b64 s[12:13], s[6:7]
	s_cbranch_execz .LBB37_105
; %bb.102:
	v_subrev_u32_e32 v109, 27, v0
	s_movk_i32 s14, 0x208
	s_mov_b64 s[6:7], 0
.LBB37_103:                             ; =>This Inner Loop Header: Depth=1
	buffer_load_dword v110, v108, s[0:3], 0 offen
	buffer_load_dword v111, v108, s[0:3], 0 offen offset:4
	v_mov_b32_e32 v112, s14
	ds_read_b64 v[112:113], v112
	v_add_u32_e32 v109, -1, v109
	s_add_i32 s14, s14, 8
	v_cmp_eq_u32_e32 vcc, 0, v109
	v_add_u32_e32 v108, 8, v108
	s_or_b64 s[6:7], vcc, s[6:7]
	s_waitcnt vmcnt(0) lgkmcnt(0)
	v_fmac_f64_e32 v[78:79], v[110:111], v[112:113]
	s_andn2_b64 exec, exec, s[6:7]
	s_cbranch_execnz .LBB37_103
; %bb.104:
	s_or_b64 exec, exec, s[6:7]
.LBB37_105:
	s_or_b64 exec, exec, s[12:13]
	v_mov_b32_e32 v108, 0
	ds_read_b64 v[108:109], v108 offset:208
	s_waitcnt lgkmcnt(0)
	v_mul_f64 v[78:79], v[78:79], v[108:109]
	buffer_store_dword v79, off, s[0:3], 0 offset:212
	buffer_store_dword v78, off, s[0:3], 0 offset:208
.LBB37_106:
	s_or_b64 exec, exec, s[10:11]
	buffer_load_dword v78, off, s[0:3], 0 offset:200
	buffer_load_dword v79, off, s[0:3], 0 offset:204
	v_cmp_lt_u32_e64 s[6:7], 25, v0
	s_waitcnt vmcnt(0)
	ds_write_b64 v80, v[78:79]
	s_waitcnt lgkmcnt(0)
	; wave barrier
	s_waitcnt lgkmcnt(0)
	s_and_saveexec_b64 s[10:11], s[6:7]
	s_cbranch_execz .LBB37_116
; %bb.107:
	s_andn2_b64 vcc, exec, s[8:9]
	s_cbranch_vccnz .LBB37_109
; %bb.108:
	buffer_load_dword v78, v81, s[0:3], 0 offen
	buffer_load_dword v79, v81, s[0:3], 0 offen offset:4
	ds_read_b64 v[108:109], v80
	s_waitcnt vmcnt(0) lgkmcnt(0)
	v_mul_f64 v[78:79], v[78:79], v[108:109]
	s_cbranch_execz .LBB37_110
	s_branch .LBB37_111
.LBB37_109:
                                        ; implicit-def: $vgpr78_vgpr79
.LBB37_110:
	ds_read_b64 v[78:79], v80
.LBB37_111:
	s_and_saveexec_b64 s[12:13], s[4:5]
	s_cbranch_execz .LBB37_115
; %bb.112:
	v_subrev_u32_e32 v108, 26, v0
	s_movk_i32 s14, 0x200
	s_mov_b64 s[4:5], 0
.LBB37_113:                             ; =>This Inner Loop Header: Depth=1
	buffer_load_dword v110, v107, s[0:3], 0 offen
	buffer_load_dword v111, v107, s[0:3], 0 offen offset:4
	v_mov_b32_e32 v109, s14
	ds_read_b64 v[112:113], v109
	v_add_u32_e32 v108, -1, v108
	s_add_i32 s14, s14, 8
	v_cmp_eq_u32_e32 vcc, 0, v108
	v_add_u32_e32 v107, 8, v107
	s_or_b64 s[4:5], vcc, s[4:5]
	s_waitcnt vmcnt(0) lgkmcnt(0)
	v_fmac_f64_e32 v[78:79], v[110:111], v[112:113]
	s_andn2_b64 exec, exec, s[4:5]
	s_cbranch_execnz .LBB37_113
; %bb.114:
	s_or_b64 exec, exec, s[4:5]
.LBB37_115:
	s_or_b64 exec, exec, s[12:13]
	v_mov_b32_e32 v107, 0
	ds_read_b64 v[108:109], v107 offset:200
	s_waitcnt lgkmcnt(0)
	v_mul_f64 v[78:79], v[78:79], v[108:109]
	buffer_store_dword v79, off, s[0:3], 0 offset:204
	buffer_store_dword v78, off, s[0:3], 0 offset:200
.LBB37_116:
	s_or_b64 exec, exec, s[10:11]
	buffer_load_dword v78, off, s[0:3], 0 offset:192
	buffer_load_dword v79, off, s[0:3], 0 offset:196
	v_cmp_lt_u32_e64 s[4:5], 24, v0
	s_waitcnt vmcnt(0)
	ds_write_b64 v80, v[78:79]
	s_waitcnt lgkmcnt(0)
	; wave barrier
	s_waitcnt lgkmcnt(0)
	s_and_saveexec_b64 s[10:11], s[4:5]
	s_cbranch_execz .LBB37_126
; %bb.117:
	s_andn2_b64 vcc, exec, s[8:9]
	s_cbranch_vccnz .LBB37_119
; %bb.118:
	buffer_load_dword v78, v81, s[0:3], 0 offen
	buffer_load_dword v79, v81, s[0:3], 0 offen offset:4
	ds_read_b64 v[108:109], v80
	s_waitcnt vmcnt(0) lgkmcnt(0)
	v_mul_f64 v[78:79], v[78:79], v[108:109]
	s_cbranch_execz .LBB37_120
	s_branch .LBB37_121
.LBB37_119:
                                        ; implicit-def: $vgpr78_vgpr79
.LBB37_120:
	ds_read_b64 v[78:79], v80
.LBB37_121:
	s_and_saveexec_b64 s[12:13], s[6:7]
	s_cbranch_execz .LBB37_125
; %bb.122:
	v_subrev_u32_e32 v107, 25, v0
	s_movk_i32 s14, 0x1f8
	s_mov_b64 s[6:7], 0
.LBB37_123:                             ; =>This Inner Loop Header: Depth=1
	buffer_load_dword v108, v106, s[0:3], 0 offen
	buffer_load_dword v109, v106, s[0:3], 0 offen offset:4
	v_mov_b32_e32 v110, s14
	ds_read_b64 v[110:111], v110
	v_add_u32_e32 v107, -1, v107
	s_add_i32 s14, s14, 8
	v_cmp_eq_u32_e32 vcc, 0, v107
	v_add_u32_e32 v106, 8, v106
	s_or_b64 s[6:7], vcc, s[6:7]
	s_waitcnt vmcnt(0) lgkmcnt(0)
	v_fmac_f64_e32 v[78:79], v[108:109], v[110:111]
	s_andn2_b64 exec, exec, s[6:7]
	s_cbranch_execnz .LBB37_123
; %bb.124:
	s_or_b64 exec, exec, s[6:7]
.LBB37_125:
	s_or_b64 exec, exec, s[12:13]
	v_mov_b32_e32 v106, 0
	ds_read_b64 v[106:107], v106 offset:192
	s_waitcnt lgkmcnt(0)
	v_mul_f64 v[78:79], v[78:79], v[106:107]
	buffer_store_dword v79, off, s[0:3], 0 offset:196
	buffer_store_dword v78, off, s[0:3], 0 offset:192
.LBB37_126:
	s_or_b64 exec, exec, s[10:11]
	buffer_load_dword v78, off, s[0:3], 0 offset:184
	buffer_load_dword v79, off, s[0:3], 0 offset:188
	v_cmp_lt_u32_e64 s[6:7], 23, v0
	s_waitcnt vmcnt(0)
	ds_write_b64 v80, v[78:79]
	s_waitcnt lgkmcnt(0)
	; wave barrier
	s_waitcnt lgkmcnt(0)
	s_and_saveexec_b64 s[10:11], s[6:7]
	s_cbranch_execz .LBB37_136
; %bb.127:
	s_andn2_b64 vcc, exec, s[8:9]
	s_cbranch_vccnz .LBB37_129
; %bb.128:
	buffer_load_dword v78, v81, s[0:3], 0 offen
	buffer_load_dword v79, v81, s[0:3], 0 offen offset:4
	ds_read_b64 v[106:107], v80
	s_waitcnt vmcnt(0) lgkmcnt(0)
	v_mul_f64 v[78:79], v[78:79], v[106:107]
	s_cbranch_execz .LBB37_130
	s_branch .LBB37_131
.LBB37_129:
                                        ; implicit-def: $vgpr78_vgpr79
.LBB37_130:
	ds_read_b64 v[78:79], v80
.LBB37_131:
	s_and_saveexec_b64 s[12:13], s[4:5]
	s_cbranch_execz .LBB37_135
; %bb.132:
	v_subrev_u32_e32 v106, 24, v0
	s_movk_i32 s14, 0x1f0
	s_mov_b64 s[4:5], 0
.LBB37_133:                             ; =>This Inner Loop Header: Depth=1
	buffer_load_dword v108, v105, s[0:3], 0 offen
	buffer_load_dword v109, v105, s[0:3], 0 offen offset:4
	v_mov_b32_e32 v107, s14
	ds_read_b64 v[110:111], v107
	v_add_u32_e32 v106, -1, v106
	s_add_i32 s14, s14, 8
	v_cmp_eq_u32_e32 vcc, 0, v106
	v_add_u32_e32 v105, 8, v105
	s_or_b64 s[4:5], vcc, s[4:5]
	s_waitcnt vmcnt(0) lgkmcnt(0)
	v_fmac_f64_e32 v[78:79], v[108:109], v[110:111]
	s_andn2_b64 exec, exec, s[4:5]
	s_cbranch_execnz .LBB37_133
; %bb.134:
	s_or_b64 exec, exec, s[4:5]
.LBB37_135:
	s_or_b64 exec, exec, s[12:13]
	v_mov_b32_e32 v105, 0
	ds_read_b64 v[106:107], v105 offset:184
	s_waitcnt lgkmcnt(0)
	v_mul_f64 v[78:79], v[78:79], v[106:107]
	buffer_store_dword v79, off, s[0:3], 0 offset:188
	buffer_store_dword v78, off, s[0:3], 0 offset:184
.LBB37_136:
	s_or_b64 exec, exec, s[10:11]
	buffer_load_dword v78, off, s[0:3], 0 offset:176
	buffer_load_dword v79, off, s[0:3], 0 offset:180
	v_cmp_lt_u32_e64 s[4:5], 22, v0
	s_waitcnt vmcnt(0)
	ds_write_b64 v80, v[78:79]
	s_waitcnt lgkmcnt(0)
	; wave barrier
	s_waitcnt lgkmcnt(0)
	s_and_saveexec_b64 s[10:11], s[4:5]
	s_cbranch_execz .LBB37_146
; %bb.137:
	s_andn2_b64 vcc, exec, s[8:9]
	s_cbranch_vccnz .LBB37_139
; %bb.138:
	buffer_load_dword v78, v81, s[0:3], 0 offen
	buffer_load_dword v79, v81, s[0:3], 0 offen offset:4
	ds_read_b64 v[106:107], v80
	s_waitcnt vmcnt(0) lgkmcnt(0)
	v_mul_f64 v[78:79], v[78:79], v[106:107]
	s_cbranch_execz .LBB37_140
	s_branch .LBB37_141
.LBB37_139:
                                        ; implicit-def: $vgpr78_vgpr79
.LBB37_140:
	ds_read_b64 v[78:79], v80
.LBB37_141:
	s_and_saveexec_b64 s[12:13], s[6:7]
	s_cbranch_execz .LBB37_145
; %bb.142:
	v_subrev_u32_e32 v105, 23, v0
	s_movk_i32 s14, 0x1e8
	s_mov_b64 s[6:7], 0
.LBB37_143:                             ; =>This Inner Loop Header: Depth=1
	buffer_load_dword v106, v104, s[0:3], 0 offen
	buffer_load_dword v107, v104, s[0:3], 0 offen offset:4
	v_mov_b32_e32 v108, s14
	ds_read_b64 v[108:109], v108
	v_add_u32_e32 v105, -1, v105
	s_add_i32 s14, s14, 8
	v_cmp_eq_u32_e32 vcc, 0, v105
	v_add_u32_e32 v104, 8, v104
	s_or_b64 s[6:7], vcc, s[6:7]
	s_waitcnt vmcnt(0) lgkmcnt(0)
	v_fmac_f64_e32 v[78:79], v[106:107], v[108:109]
	s_andn2_b64 exec, exec, s[6:7]
	s_cbranch_execnz .LBB37_143
; %bb.144:
	s_or_b64 exec, exec, s[6:7]
.LBB37_145:
	s_or_b64 exec, exec, s[12:13]
	v_mov_b32_e32 v104, 0
	ds_read_b64 v[104:105], v104 offset:176
	s_waitcnt lgkmcnt(0)
	v_mul_f64 v[78:79], v[78:79], v[104:105]
	buffer_store_dword v79, off, s[0:3], 0 offset:180
	buffer_store_dword v78, off, s[0:3], 0 offset:176
.LBB37_146:
	s_or_b64 exec, exec, s[10:11]
	buffer_load_dword v78, off, s[0:3], 0 offset:168
	buffer_load_dword v79, off, s[0:3], 0 offset:172
	v_cmp_lt_u32_e64 s[6:7], 21, v0
	s_waitcnt vmcnt(0)
	ds_write_b64 v80, v[78:79]
	s_waitcnt lgkmcnt(0)
	; wave barrier
	s_waitcnt lgkmcnt(0)
	s_and_saveexec_b64 s[10:11], s[6:7]
	s_cbranch_execz .LBB37_156
; %bb.147:
	s_andn2_b64 vcc, exec, s[8:9]
	s_cbranch_vccnz .LBB37_149
; %bb.148:
	buffer_load_dword v78, v81, s[0:3], 0 offen
	buffer_load_dword v79, v81, s[0:3], 0 offen offset:4
	ds_read_b64 v[104:105], v80
	s_waitcnt vmcnt(0) lgkmcnt(0)
	v_mul_f64 v[78:79], v[78:79], v[104:105]
	s_cbranch_execz .LBB37_150
	s_branch .LBB37_151
.LBB37_149:
                                        ; implicit-def: $vgpr78_vgpr79
.LBB37_150:
	ds_read_b64 v[78:79], v80
.LBB37_151:
	s_and_saveexec_b64 s[12:13], s[4:5]
	s_cbranch_execz .LBB37_155
; %bb.152:
	v_subrev_u32_e32 v104, 22, v0
	s_movk_i32 s14, 0x1e0
	s_mov_b64 s[4:5], 0
.LBB37_153:                             ; =>This Inner Loop Header: Depth=1
	buffer_load_dword v106, v103, s[0:3], 0 offen
	buffer_load_dword v107, v103, s[0:3], 0 offen offset:4
	v_mov_b32_e32 v105, s14
	ds_read_b64 v[108:109], v105
	v_add_u32_e32 v104, -1, v104
	s_add_i32 s14, s14, 8
	v_cmp_eq_u32_e32 vcc, 0, v104
	v_add_u32_e32 v103, 8, v103
	s_or_b64 s[4:5], vcc, s[4:5]
	s_waitcnt vmcnt(0) lgkmcnt(0)
	v_fmac_f64_e32 v[78:79], v[106:107], v[108:109]
	s_andn2_b64 exec, exec, s[4:5]
	s_cbranch_execnz .LBB37_153
; %bb.154:
	s_or_b64 exec, exec, s[4:5]
.LBB37_155:
	s_or_b64 exec, exec, s[12:13]
	v_mov_b32_e32 v103, 0
	ds_read_b64 v[104:105], v103 offset:168
	s_waitcnt lgkmcnt(0)
	v_mul_f64 v[78:79], v[78:79], v[104:105]
	buffer_store_dword v79, off, s[0:3], 0 offset:172
	buffer_store_dword v78, off, s[0:3], 0 offset:168
.LBB37_156:
	s_or_b64 exec, exec, s[10:11]
	buffer_load_dword v78, off, s[0:3], 0 offset:160
	buffer_load_dword v79, off, s[0:3], 0 offset:164
	v_cmp_lt_u32_e64 s[4:5], 20, v0
	s_waitcnt vmcnt(0)
	ds_write_b64 v80, v[78:79]
	s_waitcnt lgkmcnt(0)
	; wave barrier
	s_waitcnt lgkmcnt(0)
	s_and_saveexec_b64 s[10:11], s[4:5]
	s_cbranch_execz .LBB37_166
; %bb.157:
	s_andn2_b64 vcc, exec, s[8:9]
	s_cbranch_vccnz .LBB37_159
; %bb.158:
	buffer_load_dword v78, v81, s[0:3], 0 offen
	buffer_load_dword v79, v81, s[0:3], 0 offen offset:4
	ds_read_b64 v[104:105], v80
	s_waitcnt vmcnt(0) lgkmcnt(0)
	v_mul_f64 v[78:79], v[78:79], v[104:105]
	s_cbranch_execz .LBB37_160
	s_branch .LBB37_161
.LBB37_159:
                                        ; implicit-def: $vgpr78_vgpr79
.LBB37_160:
	ds_read_b64 v[78:79], v80
.LBB37_161:
	s_and_saveexec_b64 s[12:13], s[6:7]
	s_cbranch_execz .LBB37_165
; %bb.162:
	v_subrev_u32_e32 v103, 21, v0
	s_movk_i32 s14, 0x1d8
	s_mov_b64 s[6:7], 0
.LBB37_163:                             ; =>This Inner Loop Header: Depth=1
	buffer_load_dword v104, v102, s[0:3], 0 offen
	buffer_load_dword v105, v102, s[0:3], 0 offen offset:4
	v_mov_b32_e32 v106, s14
	ds_read_b64 v[106:107], v106
	v_add_u32_e32 v103, -1, v103
	s_add_i32 s14, s14, 8
	v_cmp_eq_u32_e32 vcc, 0, v103
	v_add_u32_e32 v102, 8, v102
	s_or_b64 s[6:7], vcc, s[6:7]
	s_waitcnt vmcnt(0) lgkmcnt(0)
	v_fmac_f64_e32 v[78:79], v[104:105], v[106:107]
	s_andn2_b64 exec, exec, s[6:7]
	s_cbranch_execnz .LBB37_163
; %bb.164:
	s_or_b64 exec, exec, s[6:7]
.LBB37_165:
	s_or_b64 exec, exec, s[12:13]
	v_mov_b32_e32 v102, 0
	ds_read_b64 v[102:103], v102 offset:160
	s_waitcnt lgkmcnt(0)
	v_mul_f64 v[78:79], v[78:79], v[102:103]
	buffer_store_dword v79, off, s[0:3], 0 offset:164
	buffer_store_dword v78, off, s[0:3], 0 offset:160
.LBB37_166:
	s_or_b64 exec, exec, s[10:11]
	buffer_load_dword v78, off, s[0:3], 0 offset:152
	buffer_load_dword v79, off, s[0:3], 0 offset:156
	v_cmp_lt_u32_e64 s[6:7], 19, v0
	s_waitcnt vmcnt(0)
	ds_write_b64 v80, v[78:79]
	s_waitcnt lgkmcnt(0)
	; wave barrier
	s_waitcnt lgkmcnt(0)
	s_and_saveexec_b64 s[10:11], s[6:7]
	s_cbranch_execz .LBB37_176
; %bb.167:
	s_andn2_b64 vcc, exec, s[8:9]
	s_cbranch_vccnz .LBB37_169
; %bb.168:
	buffer_load_dword v78, v81, s[0:3], 0 offen
	buffer_load_dword v79, v81, s[0:3], 0 offen offset:4
	ds_read_b64 v[102:103], v80
	s_waitcnt vmcnt(0) lgkmcnt(0)
	v_mul_f64 v[78:79], v[78:79], v[102:103]
	s_cbranch_execz .LBB37_170
	s_branch .LBB37_171
.LBB37_169:
                                        ; implicit-def: $vgpr78_vgpr79
.LBB37_170:
	ds_read_b64 v[78:79], v80
.LBB37_171:
	s_and_saveexec_b64 s[12:13], s[4:5]
	s_cbranch_execz .LBB37_175
; %bb.172:
	v_subrev_u32_e32 v102, 20, v0
	s_movk_i32 s14, 0x1d0
	s_mov_b64 s[4:5], 0
.LBB37_173:                             ; =>This Inner Loop Header: Depth=1
	buffer_load_dword v104, v101, s[0:3], 0 offen
	buffer_load_dword v105, v101, s[0:3], 0 offen offset:4
	v_mov_b32_e32 v103, s14
	ds_read_b64 v[106:107], v103
	v_add_u32_e32 v102, -1, v102
	s_add_i32 s14, s14, 8
	v_cmp_eq_u32_e32 vcc, 0, v102
	v_add_u32_e32 v101, 8, v101
	s_or_b64 s[4:5], vcc, s[4:5]
	s_waitcnt vmcnt(0) lgkmcnt(0)
	v_fmac_f64_e32 v[78:79], v[104:105], v[106:107]
	s_andn2_b64 exec, exec, s[4:5]
	s_cbranch_execnz .LBB37_173
; %bb.174:
	s_or_b64 exec, exec, s[4:5]
.LBB37_175:
	s_or_b64 exec, exec, s[12:13]
	v_mov_b32_e32 v101, 0
	ds_read_b64 v[102:103], v101 offset:152
	s_waitcnt lgkmcnt(0)
	v_mul_f64 v[78:79], v[78:79], v[102:103]
	buffer_store_dword v79, off, s[0:3], 0 offset:156
	buffer_store_dword v78, off, s[0:3], 0 offset:152
.LBB37_176:
	s_or_b64 exec, exec, s[10:11]
	buffer_load_dword v78, off, s[0:3], 0 offset:144
	buffer_load_dword v79, off, s[0:3], 0 offset:148
	v_cmp_lt_u32_e64 s[4:5], 18, v0
	s_waitcnt vmcnt(0)
	ds_write_b64 v80, v[78:79]
	s_waitcnt lgkmcnt(0)
	; wave barrier
	s_waitcnt lgkmcnt(0)
	s_and_saveexec_b64 s[10:11], s[4:5]
	s_cbranch_execz .LBB37_186
; %bb.177:
	s_andn2_b64 vcc, exec, s[8:9]
	s_cbranch_vccnz .LBB37_179
; %bb.178:
	buffer_load_dword v78, v81, s[0:3], 0 offen
	buffer_load_dword v79, v81, s[0:3], 0 offen offset:4
	ds_read_b64 v[102:103], v80
	s_waitcnt vmcnt(0) lgkmcnt(0)
	v_mul_f64 v[78:79], v[78:79], v[102:103]
	s_cbranch_execz .LBB37_180
	s_branch .LBB37_181
.LBB37_179:
                                        ; implicit-def: $vgpr78_vgpr79
.LBB37_180:
	ds_read_b64 v[78:79], v80
.LBB37_181:
	s_and_saveexec_b64 s[12:13], s[6:7]
	s_cbranch_execz .LBB37_185
; %bb.182:
	v_subrev_u32_e32 v101, 19, v0
	s_movk_i32 s14, 0x1c8
	s_mov_b64 s[6:7], 0
.LBB37_183:                             ; =>This Inner Loop Header: Depth=1
	buffer_load_dword v102, v100, s[0:3], 0 offen
	buffer_load_dword v103, v100, s[0:3], 0 offen offset:4
	v_mov_b32_e32 v104, s14
	ds_read_b64 v[104:105], v104
	v_add_u32_e32 v101, -1, v101
	s_add_i32 s14, s14, 8
	v_cmp_eq_u32_e32 vcc, 0, v101
	v_add_u32_e32 v100, 8, v100
	s_or_b64 s[6:7], vcc, s[6:7]
	s_waitcnt vmcnt(0) lgkmcnt(0)
	v_fmac_f64_e32 v[78:79], v[102:103], v[104:105]
	s_andn2_b64 exec, exec, s[6:7]
	s_cbranch_execnz .LBB37_183
; %bb.184:
	s_or_b64 exec, exec, s[6:7]
.LBB37_185:
	s_or_b64 exec, exec, s[12:13]
	v_mov_b32_e32 v100, 0
	ds_read_b64 v[100:101], v100 offset:144
	s_waitcnt lgkmcnt(0)
	v_mul_f64 v[78:79], v[78:79], v[100:101]
	buffer_store_dword v79, off, s[0:3], 0 offset:148
	buffer_store_dword v78, off, s[0:3], 0 offset:144
.LBB37_186:
	s_or_b64 exec, exec, s[10:11]
	buffer_load_dword v78, off, s[0:3], 0 offset:136
	buffer_load_dword v79, off, s[0:3], 0 offset:140
	v_cmp_lt_u32_e64 s[6:7], 17, v0
	s_waitcnt vmcnt(0)
	ds_write_b64 v80, v[78:79]
	s_waitcnt lgkmcnt(0)
	; wave barrier
	s_waitcnt lgkmcnt(0)
	s_and_saveexec_b64 s[10:11], s[6:7]
	s_cbranch_execz .LBB37_196
; %bb.187:
	s_andn2_b64 vcc, exec, s[8:9]
	s_cbranch_vccnz .LBB37_189
; %bb.188:
	buffer_load_dword v78, v81, s[0:3], 0 offen
	buffer_load_dword v79, v81, s[0:3], 0 offen offset:4
	ds_read_b64 v[100:101], v80
	s_waitcnt vmcnt(0) lgkmcnt(0)
	v_mul_f64 v[78:79], v[78:79], v[100:101]
	s_cbranch_execz .LBB37_190
	s_branch .LBB37_191
.LBB37_189:
                                        ; implicit-def: $vgpr78_vgpr79
.LBB37_190:
	ds_read_b64 v[78:79], v80
.LBB37_191:
	s_and_saveexec_b64 s[12:13], s[4:5]
	s_cbranch_execz .LBB37_195
; %bb.192:
	v_subrev_u32_e32 v100, 18, v0
	s_movk_i32 s14, 0x1c0
	s_mov_b64 s[4:5], 0
.LBB37_193:                             ; =>This Inner Loop Header: Depth=1
	buffer_load_dword v102, v99, s[0:3], 0 offen
	buffer_load_dword v103, v99, s[0:3], 0 offen offset:4
	v_mov_b32_e32 v101, s14
	ds_read_b64 v[104:105], v101
	v_add_u32_e32 v100, -1, v100
	s_add_i32 s14, s14, 8
	v_cmp_eq_u32_e32 vcc, 0, v100
	v_add_u32_e32 v99, 8, v99
	s_or_b64 s[4:5], vcc, s[4:5]
	s_waitcnt vmcnt(0) lgkmcnt(0)
	v_fmac_f64_e32 v[78:79], v[102:103], v[104:105]
	s_andn2_b64 exec, exec, s[4:5]
	s_cbranch_execnz .LBB37_193
; %bb.194:
	s_or_b64 exec, exec, s[4:5]
.LBB37_195:
	s_or_b64 exec, exec, s[12:13]
	v_mov_b32_e32 v99, 0
	ds_read_b64 v[100:101], v99 offset:136
	s_waitcnt lgkmcnt(0)
	v_mul_f64 v[78:79], v[78:79], v[100:101]
	buffer_store_dword v79, off, s[0:3], 0 offset:140
	buffer_store_dword v78, off, s[0:3], 0 offset:136
.LBB37_196:
	s_or_b64 exec, exec, s[10:11]
	buffer_load_dword v78, off, s[0:3], 0 offset:128
	buffer_load_dword v79, off, s[0:3], 0 offset:132
	v_cmp_lt_u32_e64 s[4:5], 16, v0
	s_waitcnt vmcnt(0)
	ds_write_b64 v80, v[78:79]
	s_waitcnt lgkmcnt(0)
	; wave barrier
	s_waitcnt lgkmcnt(0)
	s_and_saveexec_b64 s[10:11], s[4:5]
	s_cbranch_execz .LBB37_206
; %bb.197:
	s_andn2_b64 vcc, exec, s[8:9]
	s_cbranch_vccnz .LBB37_199
; %bb.198:
	buffer_load_dword v78, v81, s[0:3], 0 offen
	buffer_load_dword v79, v81, s[0:3], 0 offen offset:4
	ds_read_b64 v[100:101], v80
	s_waitcnt vmcnt(0) lgkmcnt(0)
	v_mul_f64 v[78:79], v[78:79], v[100:101]
	s_cbranch_execz .LBB37_200
	s_branch .LBB37_201
.LBB37_199:
                                        ; implicit-def: $vgpr78_vgpr79
.LBB37_200:
	ds_read_b64 v[78:79], v80
.LBB37_201:
	s_and_saveexec_b64 s[12:13], s[6:7]
	s_cbranch_execz .LBB37_205
; %bb.202:
	v_subrev_u32_e32 v99, 17, v0
	s_movk_i32 s14, 0x1b8
	s_mov_b64 s[6:7], 0
.LBB37_203:                             ; =>This Inner Loop Header: Depth=1
	buffer_load_dword v100, v98, s[0:3], 0 offen
	buffer_load_dword v101, v98, s[0:3], 0 offen offset:4
	v_mov_b32_e32 v102, s14
	ds_read_b64 v[102:103], v102
	v_add_u32_e32 v99, -1, v99
	s_add_i32 s14, s14, 8
	v_cmp_eq_u32_e32 vcc, 0, v99
	v_add_u32_e32 v98, 8, v98
	s_or_b64 s[6:7], vcc, s[6:7]
	s_waitcnt vmcnt(0) lgkmcnt(0)
	v_fmac_f64_e32 v[78:79], v[100:101], v[102:103]
	s_andn2_b64 exec, exec, s[6:7]
	s_cbranch_execnz .LBB37_203
; %bb.204:
	s_or_b64 exec, exec, s[6:7]
.LBB37_205:
	s_or_b64 exec, exec, s[12:13]
	v_mov_b32_e32 v98, 0
	ds_read_b64 v[98:99], v98 offset:128
	s_waitcnt lgkmcnt(0)
	v_mul_f64 v[78:79], v[78:79], v[98:99]
	buffer_store_dword v79, off, s[0:3], 0 offset:132
	buffer_store_dword v78, off, s[0:3], 0 offset:128
.LBB37_206:
	s_or_b64 exec, exec, s[10:11]
	buffer_load_dword v78, off, s[0:3], 0 offset:120
	buffer_load_dword v79, off, s[0:3], 0 offset:124
	v_cmp_lt_u32_e64 s[6:7], 15, v0
	s_waitcnt vmcnt(0)
	ds_write_b64 v80, v[78:79]
	s_waitcnt lgkmcnt(0)
	; wave barrier
	s_waitcnt lgkmcnt(0)
	s_and_saveexec_b64 s[10:11], s[6:7]
	s_cbranch_execz .LBB37_216
; %bb.207:
	s_andn2_b64 vcc, exec, s[8:9]
	s_cbranch_vccnz .LBB37_209
; %bb.208:
	buffer_load_dword v78, v81, s[0:3], 0 offen
	buffer_load_dword v79, v81, s[0:3], 0 offen offset:4
	ds_read_b64 v[98:99], v80
	s_waitcnt vmcnt(0) lgkmcnt(0)
	v_mul_f64 v[78:79], v[78:79], v[98:99]
	s_cbranch_execz .LBB37_210
	s_branch .LBB37_211
.LBB37_209:
                                        ; implicit-def: $vgpr78_vgpr79
.LBB37_210:
	ds_read_b64 v[78:79], v80
.LBB37_211:
	s_and_saveexec_b64 s[12:13], s[4:5]
	s_cbranch_execz .LBB37_215
; %bb.212:
	v_add_u32_e32 v98, -16, v0
	s_movk_i32 s14, 0x1b0
	s_mov_b64 s[4:5], 0
.LBB37_213:                             ; =>This Inner Loop Header: Depth=1
	buffer_load_dword v100, v97, s[0:3], 0 offen
	buffer_load_dword v101, v97, s[0:3], 0 offen offset:4
	v_mov_b32_e32 v99, s14
	ds_read_b64 v[102:103], v99
	v_add_u32_e32 v98, -1, v98
	s_add_i32 s14, s14, 8
	v_cmp_eq_u32_e32 vcc, 0, v98
	v_add_u32_e32 v97, 8, v97
	s_or_b64 s[4:5], vcc, s[4:5]
	s_waitcnt vmcnt(0) lgkmcnt(0)
	v_fmac_f64_e32 v[78:79], v[100:101], v[102:103]
	s_andn2_b64 exec, exec, s[4:5]
	s_cbranch_execnz .LBB37_213
; %bb.214:
	s_or_b64 exec, exec, s[4:5]
.LBB37_215:
	s_or_b64 exec, exec, s[12:13]
	v_mov_b32_e32 v97, 0
	ds_read_b64 v[98:99], v97 offset:120
	s_waitcnt lgkmcnt(0)
	v_mul_f64 v[78:79], v[78:79], v[98:99]
	buffer_store_dword v79, off, s[0:3], 0 offset:124
	buffer_store_dword v78, off, s[0:3], 0 offset:120
.LBB37_216:
	s_or_b64 exec, exec, s[10:11]
	buffer_load_dword v78, off, s[0:3], 0 offset:112
	buffer_load_dword v79, off, s[0:3], 0 offset:116
	v_cmp_lt_u32_e64 s[4:5], 14, v0
	s_waitcnt vmcnt(0)
	ds_write_b64 v80, v[78:79]
	s_waitcnt lgkmcnt(0)
	; wave barrier
	s_waitcnt lgkmcnt(0)
	s_and_saveexec_b64 s[10:11], s[4:5]
	s_cbranch_execz .LBB37_226
; %bb.217:
	s_andn2_b64 vcc, exec, s[8:9]
	s_cbranch_vccnz .LBB37_219
; %bb.218:
	buffer_load_dword v78, v81, s[0:3], 0 offen
	buffer_load_dword v79, v81, s[0:3], 0 offen offset:4
	ds_read_b64 v[98:99], v80
	s_waitcnt vmcnt(0) lgkmcnt(0)
	v_mul_f64 v[78:79], v[78:79], v[98:99]
	s_cbranch_execz .LBB37_220
	s_branch .LBB37_221
.LBB37_219:
                                        ; implicit-def: $vgpr78_vgpr79
.LBB37_220:
	ds_read_b64 v[78:79], v80
.LBB37_221:
	s_and_saveexec_b64 s[12:13], s[6:7]
	s_cbranch_execz .LBB37_225
; %bb.222:
	v_add_u32_e32 v97, -15, v0
	s_movk_i32 s14, 0x1a8
	s_mov_b64 s[6:7], 0
.LBB37_223:                             ; =>This Inner Loop Header: Depth=1
	buffer_load_dword v98, v96, s[0:3], 0 offen
	buffer_load_dword v99, v96, s[0:3], 0 offen offset:4
	v_mov_b32_e32 v100, s14
	ds_read_b64 v[100:101], v100
	v_add_u32_e32 v97, -1, v97
	s_add_i32 s14, s14, 8
	v_cmp_eq_u32_e32 vcc, 0, v97
	v_add_u32_e32 v96, 8, v96
	s_or_b64 s[6:7], vcc, s[6:7]
	s_waitcnt vmcnt(0) lgkmcnt(0)
	v_fmac_f64_e32 v[78:79], v[98:99], v[100:101]
	s_andn2_b64 exec, exec, s[6:7]
	s_cbranch_execnz .LBB37_223
; %bb.224:
	s_or_b64 exec, exec, s[6:7]
.LBB37_225:
	s_or_b64 exec, exec, s[12:13]
	v_mov_b32_e32 v96, 0
	ds_read_b64 v[96:97], v96 offset:112
	s_waitcnt lgkmcnt(0)
	v_mul_f64 v[78:79], v[78:79], v[96:97]
	buffer_store_dword v79, off, s[0:3], 0 offset:116
	buffer_store_dword v78, off, s[0:3], 0 offset:112
.LBB37_226:
	s_or_b64 exec, exec, s[10:11]
	buffer_load_dword v78, off, s[0:3], 0 offset:104
	buffer_load_dword v79, off, s[0:3], 0 offset:108
	v_cmp_lt_u32_e64 s[6:7], 13, v0
	s_waitcnt vmcnt(0)
	ds_write_b64 v80, v[78:79]
	s_waitcnt lgkmcnt(0)
	; wave barrier
	s_waitcnt lgkmcnt(0)
	s_and_saveexec_b64 s[10:11], s[6:7]
	s_cbranch_execz .LBB37_236
; %bb.227:
	s_andn2_b64 vcc, exec, s[8:9]
	s_cbranch_vccnz .LBB37_229
; %bb.228:
	buffer_load_dword v78, v81, s[0:3], 0 offen
	buffer_load_dword v79, v81, s[0:3], 0 offen offset:4
	ds_read_b64 v[96:97], v80
	s_waitcnt vmcnt(0) lgkmcnt(0)
	v_mul_f64 v[78:79], v[78:79], v[96:97]
	s_cbranch_execz .LBB37_230
	s_branch .LBB37_231
.LBB37_229:
                                        ; implicit-def: $vgpr78_vgpr79
.LBB37_230:
	ds_read_b64 v[78:79], v80
.LBB37_231:
	s_and_saveexec_b64 s[12:13], s[4:5]
	s_cbranch_execz .LBB37_235
; %bb.232:
	v_add_u32_e32 v96, -14, v0
	s_movk_i32 s14, 0x1a0
	s_mov_b64 s[4:5], 0
.LBB37_233:                             ; =>This Inner Loop Header: Depth=1
	buffer_load_dword v98, v95, s[0:3], 0 offen
	buffer_load_dword v99, v95, s[0:3], 0 offen offset:4
	v_mov_b32_e32 v97, s14
	ds_read_b64 v[100:101], v97
	v_add_u32_e32 v96, -1, v96
	s_add_i32 s14, s14, 8
	v_cmp_eq_u32_e32 vcc, 0, v96
	v_add_u32_e32 v95, 8, v95
	s_or_b64 s[4:5], vcc, s[4:5]
	s_waitcnt vmcnt(0) lgkmcnt(0)
	v_fmac_f64_e32 v[78:79], v[98:99], v[100:101]
	s_andn2_b64 exec, exec, s[4:5]
	s_cbranch_execnz .LBB37_233
; %bb.234:
	s_or_b64 exec, exec, s[4:5]
.LBB37_235:
	s_or_b64 exec, exec, s[12:13]
	v_mov_b32_e32 v95, 0
	ds_read_b64 v[96:97], v95 offset:104
	s_waitcnt lgkmcnt(0)
	v_mul_f64 v[78:79], v[78:79], v[96:97]
	buffer_store_dword v79, off, s[0:3], 0 offset:108
	buffer_store_dword v78, off, s[0:3], 0 offset:104
.LBB37_236:
	s_or_b64 exec, exec, s[10:11]
	buffer_load_dword v78, off, s[0:3], 0 offset:96
	buffer_load_dword v79, off, s[0:3], 0 offset:100
	v_cmp_lt_u32_e64 s[4:5], 12, v0
	s_waitcnt vmcnt(0)
	ds_write_b64 v80, v[78:79]
	s_waitcnt lgkmcnt(0)
	; wave barrier
	s_waitcnt lgkmcnt(0)
	s_and_saveexec_b64 s[10:11], s[4:5]
	s_cbranch_execz .LBB37_246
; %bb.237:
	s_andn2_b64 vcc, exec, s[8:9]
	s_cbranch_vccnz .LBB37_239
; %bb.238:
	buffer_load_dword v78, v81, s[0:3], 0 offen
	buffer_load_dword v79, v81, s[0:3], 0 offen offset:4
	ds_read_b64 v[96:97], v80
	s_waitcnt vmcnt(0) lgkmcnt(0)
	v_mul_f64 v[78:79], v[78:79], v[96:97]
	s_cbranch_execz .LBB37_240
	s_branch .LBB37_241
.LBB37_239:
                                        ; implicit-def: $vgpr78_vgpr79
.LBB37_240:
	ds_read_b64 v[78:79], v80
.LBB37_241:
	s_and_saveexec_b64 s[12:13], s[6:7]
	s_cbranch_execz .LBB37_245
; %bb.242:
	v_add_u32_e32 v95, -13, v0
	s_movk_i32 s14, 0x198
	s_mov_b64 s[6:7], 0
.LBB37_243:                             ; =>This Inner Loop Header: Depth=1
	buffer_load_dword v96, v94, s[0:3], 0 offen
	buffer_load_dword v97, v94, s[0:3], 0 offen offset:4
	v_mov_b32_e32 v98, s14
	ds_read_b64 v[98:99], v98
	v_add_u32_e32 v95, -1, v95
	s_add_i32 s14, s14, 8
	v_cmp_eq_u32_e32 vcc, 0, v95
	v_add_u32_e32 v94, 8, v94
	s_or_b64 s[6:7], vcc, s[6:7]
	s_waitcnt vmcnt(0) lgkmcnt(0)
	v_fmac_f64_e32 v[78:79], v[96:97], v[98:99]
	s_andn2_b64 exec, exec, s[6:7]
	s_cbranch_execnz .LBB37_243
; %bb.244:
	s_or_b64 exec, exec, s[6:7]
.LBB37_245:
	s_or_b64 exec, exec, s[12:13]
	v_mov_b32_e32 v94, 0
	ds_read_b64 v[94:95], v94 offset:96
	s_waitcnt lgkmcnt(0)
	v_mul_f64 v[78:79], v[78:79], v[94:95]
	buffer_store_dword v79, off, s[0:3], 0 offset:100
	buffer_store_dword v78, off, s[0:3], 0 offset:96
.LBB37_246:
	s_or_b64 exec, exec, s[10:11]
	buffer_load_dword v78, off, s[0:3], 0 offset:88
	buffer_load_dword v79, off, s[0:3], 0 offset:92
	v_cmp_lt_u32_e64 s[6:7], 11, v0
	s_waitcnt vmcnt(0)
	ds_write_b64 v80, v[78:79]
	s_waitcnt lgkmcnt(0)
	; wave barrier
	s_waitcnt lgkmcnt(0)
	s_and_saveexec_b64 s[10:11], s[6:7]
	s_cbranch_execz .LBB37_256
; %bb.247:
	s_andn2_b64 vcc, exec, s[8:9]
	s_cbranch_vccnz .LBB37_249
; %bb.248:
	buffer_load_dword v78, v81, s[0:3], 0 offen
	buffer_load_dword v79, v81, s[0:3], 0 offen offset:4
	ds_read_b64 v[94:95], v80
	s_waitcnt vmcnt(0) lgkmcnt(0)
	v_mul_f64 v[78:79], v[78:79], v[94:95]
	s_cbranch_execz .LBB37_250
	s_branch .LBB37_251
.LBB37_249:
                                        ; implicit-def: $vgpr78_vgpr79
.LBB37_250:
	ds_read_b64 v[78:79], v80
.LBB37_251:
	s_and_saveexec_b64 s[12:13], s[4:5]
	s_cbranch_execz .LBB37_255
; %bb.252:
	v_add_u32_e32 v94, -12, v0
	s_movk_i32 s14, 0x190
	s_mov_b64 s[4:5], 0
.LBB37_253:                             ; =>This Inner Loop Header: Depth=1
	buffer_load_dword v96, v93, s[0:3], 0 offen
	buffer_load_dword v97, v93, s[0:3], 0 offen offset:4
	v_mov_b32_e32 v95, s14
	ds_read_b64 v[98:99], v95
	v_add_u32_e32 v94, -1, v94
	s_add_i32 s14, s14, 8
	v_cmp_eq_u32_e32 vcc, 0, v94
	v_add_u32_e32 v93, 8, v93
	s_or_b64 s[4:5], vcc, s[4:5]
	s_waitcnt vmcnt(0) lgkmcnt(0)
	v_fmac_f64_e32 v[78:79], v[96:97], v[98:99]
	s_andn2_b64 exec, exec, s[4:5]
	s_cbranch_execnz .LBB37_253
; %bb.254:
	s_or_b64 exec, exec, s[4:5]
.LBB37_255:
	s_or_b64 exec, exec, s[12:13]
	v_mov_b32_e32 v93, 0
	ds_read_b64 v[94:95], v93 offset:88
	s_waitcnt lgkmcnt(0)
	v_mul_f64 v[78:79], v[78:79], v[94:95]
	buffer_store_dword v79, off, s[0:3], 0 offset:92
	buffer_store_dword v78, off, s[0:3], 0 offset:88
.LBB37_256:
	s_or_b64 exec, exec, s[10:11]
	buffer_load_dword v78, off, s[0:3], 0 offset:80
	buffer_load_dword v79, off, s[0:3], 0 offset:84
	v_cmp_lt_u32_e64 s[4:5], 10, v0
	s_waitcnt vmcnt(0)
	ds_write_b64 v80, v[78:79]
	s_waitcnt lgkmcnt(0)
	; wave barrier
	s_waitcnt lgkmcnt(0)
	s_and_saveexec_b64 s[10:11], s[4:5]
	s_cbranch_execz .LBB37_266
; %bb.257:
	s_andn2_b64 vcc, exec, s[8:9]
	s_cbranch_vccnz .LBB37_259
; %bb.258:
	buffer_load_dword v78, v81, s[0:3], 0 offen
	buffer_load_dword v79, v81, s[0:3], 0 offen offset:4
	ds_read_b64 v[94:95], v80
	s_waitcnt vmcnt(0) lgkmcnt(0)
	v_mul_f64 v[78:79], v[78:79], v[94:95]
	s_cbranch_execz .LBB37_260
	s_branch .LBB37_261
.LBB37_259:
                                        ; implicit-def: $vgpr78_vgpr79
.LBB37_260:
	ds_read_b64 v[78:79], v80
.LBB37_261:
	s_and_saveexec_b64 s[12:13], s[6:7]
	s_cbranch_execz .LBB37_265
; %bb.262:
	v_add_u32_e32 v93, -11, v0
	s_movk_i32 s14, 0x188
	s_mov_b64 s[6:7], 0
.LBB37_263:                             ; =>This Inner Loop Header: Depth=1
	buffer_load_dword v94, v92, s[0:3], 0 offen
	buffer_load_dword v95, v92, s[0:3], 0 offen offset:4
	v_mov_b32_e32 v96, s14
	ds_read_b64 v[96:97], v96
	v_add_u32_e32 v93, -1, v93
	s_add_i32 s14, s14, 8
	v_cmp_eq_u32_e32 vcc, 0, v93
	v_add_u32_e32 v92, 8, v92
	s_or_b64 s[6:7], vcc, s[6:7]
	s_waitcnt vmcnt(0) lgkmcnt(0)
	v_fmac_f64_e32 v[78:79], v[94:95], v[96:97]
	s_andn2_b64 exec, exec, s[6:7]
	s_cbranch_execnz .LBB37_263
; %bb.264:
	s_or_b64 exec, exec, s[6:7]
.LBB37_265:
	s_or_b64 exec, exec, s[12:13]
	v_mov_b32_e32 v92, 0
	ds_read_b64 v[92:93], v92 offset:80
	s_waitcnt lgkmcnt(0)
	v_mul_f64 v[78:79], v[78:79], v[92:93]
	buffer_store_dword v79, off, s[0:3], 0 offset:84
	buffer_store_dword v78, off, s[0:3], 0 offset:80
.LBB37_266:
	s_or_b64 exec, exec, s[10:11]
	buffer_load_dword v78, off, s[0:3], 0 offset:72
	buffer_load_dword v79, off, s[0:3], 0 offset:76
	v_cmp_lt_u32_e64 s[6:7], 9, v0
	s_waitcnt vmcnt(0)
	ds_write_b64 v80, v[78:79]
	s_waitcnt lgkmcnt(0)
	; wave barrier
	s_waitcnt lgkmcnt(0)
	s_and_saveexec_b64 s[10:11], s[6:7]
	s_cbranch_execz .LBB37_276
; %bb.267:
	s_andn2_b64 vcc, exec, s[8:9]
	s_cbranch_vccnz .LBB37_269
; %bb.268:
	buffer_load_dword v78, v81, s[0:3], 0 offen
	buffer_load_dword v79, v81, s[0:3], 0 offen offset:4
	ds_read_b64 v[92:93], v80
	s_waitcnt vmcnt(0) lgkmcnt(0)
	v_mul_f64 v[78:79], v[78:79], v[92:93]
	s_cbranch_execz .LBB37_270
	s_branch .LBB37_271
.LBB37_269:
                                        ; implicit-def: $vgpr78_vgpr79
.LBB37_270:
	ds_read_b64 v[78:79], v80
.LBB37_271:
	s_and_saveexec_b64 s[12:13], s[4:5]
	s_cbranch_execz .LBB37_275
; %bb.272:
	v_add_u32_e32 v92, -10, v0
	s_movk_i32 s14, 0x180
	s_mov_b64 s[4:5], 0
.LBB37_273:                             ; =>This Inner Loop Header: Depth=1
	buffer_load_dword v94, v91, s[0:3], 0 offen
	buffer_load_dword v95, v91, s[0:3], 0 offen offset:4
	v_mov_b32_e32 v93, s14
	ds_read_b64 v[96:97], v93
	v_add_u32_e32 v92, -1, v92
	s_add_i32 s14, s14, 8
	v_cmp_eq_u32_e32 vcc, 0, v92
	v_add_u32_e32 v91, 8, v91
	s_or_b64 s[4:5], vcc, s[4:5]
	s_waitcnt vmcnt(0) lgkmcnt(0)
	v_fmac_f64_e32 v[78:79], v[94:95], v[96:97]
	s_andn2_b64 exec, exec, s[4:5]
	s_cbranch_execnz .LBB37_273
; %bb.274:
	s_or_b64 exec, exec, s[4:5]
.LBB37_275:
	s_or_b64 exec, exec, s[12:13]
	v_mov_b32_e32 v91, 0
	ds_read_b64 v[92:93], v91 offset:72
	s_waitcnt lgkmcnt(0)
	v_mul_f64 v[78:79], v[78:79], v[92:93]
	buffer_store_dword v79, off, s[0:3], 0 offset:76
	buffer_store_dword v78, off, s[0:3], 0 offset:72
.LBB37_276:
	s_or_b64 exec, exec, s[10:11]
	buffer_load_dword v78, off, s[0:3], 0 offset:64
	buffer_load_dword v79, off, s[0:3], 0 offset:68
	v_cmp_lt_u32_e64 s[4:5], 8, v0
	s_waitcnt vmcnt(0)
	ds_write_b64 v80, v[78:79]
	s_waitcnt lgkmcnt(0)
	; wave barrier
	s_waitcnt lgkmcnt(0)
	s_and_saveexec_b64 s[10:11], s[4:5]
	s_cbranch_execz .LBB37_286
; %bb.277:
	s_andn2_b64 vcc, exec, s[8:9]
	s_cbranch_vccnz .LBB37_279
; %bb.278:
	buffer_load_dword v78, v81, s[0:3], 0 offen
	buffer_load_dword v79, v81, s[0:3], 0 offen offset:4
	ds_read_b64 v[92:93], v80
	s_waitcnt vmcnt(0) lgkmcnt(0)
	v_mul_f64 v[78:79], v[78:79], v[92:93]
	s_cbranch_execz .LBB37_280
	s_branch .LBB37_281
.LBB37_279:
                                        ; implicit-def: $vgpr78_vgpr79
.LBB37_280:
	ds_read_b64 v[78:79], v80
.LBB37_281:
	s_and_saveexec_b64 s[12:13], s[6:7]
	s_cbranch_execz .LBB37_285
; %bb.282:
	v_add_u32_e32 v91, -9, v0
	s_movk_i32 s14, 0x178
	s_mov_b64 s[6:7], 0
.LBB37_283:                             ; =>This Inner Loop Header: Depth=1
	buffer_load_dword v92, v90, s[0:3], 0 offen
	buffer_load_dword v93, v90, s[0:3], 0 offen offset:4
	v_mov_b32_e32 v94, s14
	ds_read_b64 v[94:95], v94
	v_add_u32_e32 v91, -1, v91
	s_add_i32 s14, s14, 8
	v_cmp_eq_u32_e32 vcc, 0, v91
	v_add_u32_e32 v90, 8, v90
	s_or_b64 s[6:7], vcc, s[6:7]
	s_waitcnt vmcnt(0) lgkmcnt(0)
	v_fmac_f64_e32 v[78:79], v[92:93], v[94:95]
	s_andn2_b64 exec, exec, s[6:7]
	s_cbranch_execnz .LBB37_283
; %bb.284:
	s_or_b64 exec, exec, s[6:7]
.LBB37_285:
	s_or_b64 exec, exec, s[12:13]
	v_mov_b32_e32 v90, 0
	ds_read_b64 v[90:91], v90 offset:64
	s_waitcnt lgkmcnt(0)
	v_mul_f64 v[78:79], v[78:79], v[90:91]
	buffer_store_dword v79, off, s[0:3], 0 offset:68
	buffer_store_dword v78, off, s[0:3], 0 offset:64
.LBB37_286:
	s_or_b64 exec, exec, s[10:11]
	buffer_load_dword v78, off, s[0:3], 0 offset:56
	buffer_load_dword v79, off, s[0:3], 0 offset:60
	v_cmp_lt_u32_e64 s[6:7], 7, v0
	s_waitcnt vmcnt(0)
	ds_write_b64 v80, v[78:79]
	s_waitcnt lgkmcnt(0)
	; wave barrier
	s_waitcnt lgkmcnt(0)
	s_and_saveexec_b64 s[10:11], s[6:7]
	s_cbranch_execz .LBB37_296
; %bb.287:
	s_andn2_b64 vcc, exec, s[8:9]
	s_cbranch_vccnz .LBB37_289
; %bb.288:
	buffer_load_dword v78, v81, s[0:3], 0 offen
	buffer_load_dword v79, v81, s[0:3], 0 offen offset:4
	ds_read_b64 v[90:91], v80
	s_waitcnt vmcnt(0) lgkmcnt(0)
	v_mul_f64 v[78:79], v[78:79], v[90:91]
	s_cbranch_execz .LBB37_290
	s_branch .LBB37_291
.LBB37_289:
                                        ; implicit-def: $vgpr78_vgpr79
.LBB37_290:
	ds_read_b64 v[78:79], v80
.LBB37_291:
	s_and_saveexec_b64 s[12:13], s[4:5]
	s_cbranch_execz .LBB37_295
; %bb.292:
	v_add_u32_e32 v90, -8, v0
	s_movk_i32 s14, 0x170
	s_mov_b64 s[4:5], 0
.LBB37_293:                             ; =>This Inner Loop Header: Depth=1
	buffer_load_dword v92, v89, s[0:3], 0 offen
	buffer_load_dword v93, v89, s[0:3], 0 offen offset:4
	v_mov_b32_e32 v91, s14
	ds_read_b64 v[94:95], v91
	v_add_u32_e32 v90, -1, v90
	s_add_i32 s14, s14, 8
	v_cmp_eq_u32_e32 vcc, 0, v90
	v_add_u32_e32 v89, 8, v89
	s_or_b64 s[4:5], vcc, s[4:5]
	s_waitcnt vmcnt(0) lgkmcnt(0)
	v_fmac_f64_e32 v[78:79], v[92:93], v[94:95]
	s_andn2_b64 exec, exec, s[4:5]
	s_cbranch_execnz .LBB37_293
; %bb.294:
	s_or_b64 exec, exec, s[4:5]
.LBB37_295:
	s_or_b64 exec, exec, s[12:13]
	v_mov_b32_e32 v89, 0
	ds_read_b64 v[90:91], v89 offset:56
	s_waitcnt lgkmcnt(0)
	v_mul_f64 v[78:79], v[78:79], v[90:91]
	buffer_store_dword v79, off, s[0:3], 0 offset:60
	buffer_store_dword v78, off, s[0:3], 0 offset:56
.LBB37_296:
	s_or_b64 exec, exec, s[10:11]
	buffer_load_dword v78, off, s[0:3], 0 offset:48
	buffer_load_dword v79, off, s[0:3], 0 offset:52
	v_cmp_lt_u32_e64 s[4:5], 6, v0
	s_waitcnt vmcnt(0)
	ds_write_b64 v80, v[78:79]
	s_waitcnt lgkmcnt(0)
	; wave barrier
	s_waitcnt lgkmcnt(0)
	s_and_saveexec_b64 s[10:11], s[4:5]
	s_cbranch_execz .LBB37_306
; %bb.297:
	s_andn2_b64 vcc, exec, s[8:9]
	s_cbranch_vccnz .LBB37_299
; %bb.298:
	buffer_load_dword v78, v81, s[0:3], 0 offen
	buffer_load_dword v79, v81, s[0:3], 0 offen offset:4
	ds_read_b64 v[90:91], v80
	s_waitcnt vmcnt(0) lgkmcnt(0)
	v_mul_f64 v[78:79], v[78:79], v[90:91]
	s_cbranch_execz .LBB37_300
	s_branch .LBB37_301
.LBB37_299:
                                        ; implicit-def: $vgpr78_vgpr79
.LBB37_300:
	ds_read_b64 v[78:79], v80
.LBB37_301:
	s_and_saveexec_b64 s[12:13], s[6:7]
	s_cbranch_execz .LBB37_305
; %bb.302:
	v_add_u32_e32 v89, -7, v0
	s_movk_i32 s14, 0x168
	s_mov_b64 s[6:7], 0
.LBB37_303:                             ; =>This Inner Loop Header: Depth=1
	buffer_load_dword v90, v88, s[0:3], 0 offen
	buffer_load_dword v91, v88, s[0:3], 0 offen offset:4
	v_mov_b32_e32 v92, s14
	ds_read_b64 v[92:93], v92
	v_add_u32_e32 v89, -1, v89
	s_add_i32 s14, s14, 8
	v_cmp_eq_u32_e32 vcc, 0, v89
	v_add_u32_e32 v88, 8, v88
	s_or_b64 s[6:7], vcc, s[6:7]
	s_waitcnt vmcnt(0) lgkmcnt(0)
	v_fmac_f64_e32 v[78:79], v[90:91], v[92:93]
	s_andn2_b64 exec, exec, s[6:7]
	s_cbranch_execnz .LBB37_303
; %bb.304:
	s_or_b64 exec, exec, s[6:7]
.LBB37_305:
	s_or_b64 exec, exec, s[12:13]
	v_mov_b32_e32 v88, 0
	ds_read_b64 v[88:89], v88 offset:48
	s_waitcnt lgkmcnt(0)
	v_mul_f64 v[78:79], v[78:79], v[88:89]
	buffer_store_dword v79, off, s[0:3], 0 offset:52
	buffer_store_dword v78, off, s[0:3], 0 offset:48
.LBB37_306:
	s_or_b64 exec, exec, s[10:11]
	buffer_load_dword v78, off, s[0:3], 0 offset:40
	buffer_load_dword v79, off, s[0:3], 0 offset:44
	v_cmp_lt_u32_e64 s[6:7], 5, v0
	s_waitcnt vmcnt(0)
	ds_write_b64 v80, v[78:79]
	s_waitcnt lgkmcnt(0)
	; wave barrier
	s_waitcnt lgkmcnt(0)
	s_and_saveexec_b64 s[10:11], s[6:7]
	s_cbranch_execz .LBB37_316
; %bb.307:
	s_andn2_b64 vcc, exec, s[8:9]
	s_cbranch_vccnz .LBB37_309
; %bb.308:
	buffer_load_dword v78, v81, s[0:3], 0 offen
	buffer_load_dword v79, v81, s[0:3], 0 offen offset:4
	ds_read_b64 v[88:89], v80
	s_waitcnt vmcnt(0) lgkmcnt(0)
	v_mul_f64 v[78:79], v[78:79], v[88:89]
	s_cbranch_execz .LBB37_310
	s_branch .LBB37_311
.LBB37_309:
                                        ; implicit-def: $vgpr78_vgpr79
.LBB37_310:
	ds_read_b64 v[78:79], v80
.LBB37_311:
	s_and_saveexec_b64 s[12:13], s[4:5]
	s_cbranch_execz .LBB37_315
; %bb.312:
	v_add_u32_e32 v88, -6, v0
	s_movk_i32 s14, 0x160
	s_mov_b64 s[4:5], 0
.LBB37_313:                             ; =>This Inner Loop Header: Depth=1
	buffer_load_dword v90, v87, s[0:3], 0 offen
	buffer_load_dword v91, v87, s[0:3], 0 offen offset:4
	v_mov_b32_e32 v89, s14
	ds_read_b64 v[92:93], v89
	v_add_u32_e32 v88, -1, v88
	s_add_i32 s14, s14, 8
	v_cmp_eq_u32_e32 vcc, 0, v88
	v_add_u32_e32 v87, 8, v87
	s_or_b64 s[4:5], vcc, s[4:5]
	s_waitcnt vmcnt(0) lgkmcnt(0)
	v_fmac_f64_e32 v[78:79], v[90:91], v[92:93]
	s_andn2_b64 exec, exec, s[4:5]
	s_cbranch_execnz .LBB37_313
; %bb.314:
	s_or_b64 exec, exec, s[4:5]
.LBB37_315:
	s_or_b64 exec, exec, s[12:13]
	v_mov_b32_e32 v87, 0
	ds_read_b64 v[88:89], v87 offset:40
	s_waitcnt lgkmcnt(0)
	v_mul_f64 v[78:79], v[78:79], v[88:89]
	buffer_store_dword v79, off, s[0:3], 0 offset:44
	buffer_store_dword v78, off, s[0:3], 0 offset:40
.LBB37_316:
	s_or_b64 exec, exec, s[10:11]
	buffer_load_dword v78, off, s[0:3], 0 offset:32
	buffer_load_dword v79, off, s[0:3], 0 offset:36
	v_cmp_lt_u32_e64 s[4:5], 4, v0
	s_waitcnt vmcnt(0)
	ds_write_b64 v80, v[78:79]
	s_waitcnt lgkmcnt(0)
	; wave barrier
	s_waitcnt lgkmcnt(0)
	s_and_saveexec_b64 s[10:11], s[4:5]
	s_cbranch_execz .LBB37_326
; %bb.317:
	s_andn2_b64 vcc, exec, s[8:9]
	s_cbranch_vccnz .LBB37_319
; %bb.318:
	buffer_load_dword v78, v81, s[0:3], 0 offen
	buffer_load_dword v79, v81, s[0:3], 0 offen offset:4
	ds_read_b64 v[88:89], v80
	s_waitcnt vmcnt(0) lgkmcnt(0)
	v_mul_f64 v[78:79], v[78:79], v[88:89]
	s_cbranch_execz .LBB37_320
	s_branch .LBB37_321
.LBB37_319:
                                        ; implicit-def: $vgpr78_vgpr79
.LBB37_320:
	ds_read_b64 v[78:79], v80
.LBB37_321:
	s_and_saveexec_b64 s[12:13], s[6:7]
	s_cbranch_execz .LBB37_325
; %bb.322:
	v_add_u32_e32 v87, -5, v0
	s_movk_i32 s14, 0x158
	s_mov_b64 s[6:7], 0
.LBB37_323:                             ; =>This Inner Loop Header: Depth=1
	buffer_load_dword v88, v86, s[0:3], 0 offen
	buffer_load_dword v89, v86, s[0:3], 0 offen offset:4
	v_mov_b32_e32 v90, s14
	ds_read_b64 v[90:91], v90
	v_add_u32_e32 v87, -1, v87
	s_add_i32 s14, s14, 8
	v_cmp_eq_u32_e32 vcc, 0, v87
	v_add_u32_e32 v86, 8, v86
	s_or_b64 s[6:7], vcc, s[6:7]
	s_waitcnt vmcnt(0) lgkmcnt(0)
	v_fmac_f64_e32 v[78:79], v[88:89], v[90:91]
	s_andn2_b64 exec, exec, s[6:7]
	s_cbranch_execnz .LBB37_323
; %bb.324:
	s_or_b64 exec, exec, s[6:7]
.LBB37_325:
	s_or_b64 exec, exec, s[12:13]
	v_mov_b32_e32 v86, 0
	ds_read_b64 v[86:87], v86 offset:32
	s_waitcnt lgkmcnt(0)
	v_mul_f64 v[78:79], v[78:79], v[86:87]
	buffer_store_dword v79, off, s[0:3], 0 offset:36
	buffer_store_dword v78, off, s[0:3], 0 offset:32
.LBB37_326:
	s_or_b64 exec, exec, s[10:11]
	buffer_load_dword v78, off, s[0:3], 0 offset:24
	buffer_load_dword v79, off, s[0:3], 0 offset:28
	v_cmp_lt_u32_e64 s[6:7], 3, v0
	s_waitcnt vmcnt(0)
	ds_write_b64 v80, v[78:79]
	s_waitcnt lgkmcnt(0)
	; wave barrier
	s_waitcnt lgkmcnt(0)
	s_and_saveexec_b64 s[10:11], s[6:7]
	s_cbranch_execz .LBB37_336
; %bb.327:
	s_andn2_b64 vcc, exec, s[8:9]
	s_cbranch_vccnz .LBB37_329
; %bb.328:
	buffer_load_dword v78, v81, s[0:3], 0 offen
	buffer_load_dword v79, v81, s[0:3], 0 offen offset:4
	ds_read_b64 v[86:87], v80
	s_waitcnt vmcnt(0) lgkmcnt(0)
	v_mul_f64 v[78:79], v[78:79], v[86:87]
	s_cbranch_execz .LBB37_330
	s_branch .LBB37_331
.LBB37_329:
                                        ; implicit-def: $vgpr78_vgpr79
.LBB37_330:
	ds_read_b64 v[78:79], v80
.LBB37_331:
	s_and_saveexec_b64 s[12:13], s[4:5]
	s_cbranch_execz .LBB37_335
; %bb.332:
	v_add_u32_e32 v86, -4, v0
	s_movk_i32 s14, 0x150
	s_mov_b64 s[4:5], 0
.LBB37_333:                             ; =>This Inner Loop Header: Depth=1
	buffer_load_dword v88, v85, s[0:3], 0 offen
	buffer_load_dword v89, v85, s[0:3], 0 offen offset:4
	v_mov_b32_e32 v87, s14
	ds_read_b64 v[90:91], v87
	v_add_u32_e32 v86, -1, v86
	s_add_i32 s14, s14, 8
	v_cmp_eq_u32_e32 vcc, 0, v86
	v_add_u32_e32 v85, 8, v85
	s_or_b64 s[4:5], vcc, s[4:5]
	s_waitcnt vmcnt(0) lgkmcnt(0)
	v_fmac_f64_e32 v[78:79], v[88:89], v[90:91]
	s_andn2_b64 exec, exec, s[4:5]
	s_cbranch_execnz .LBB37_333
; %bb.334:
	s_or_b64 exec, exec, s[4:5]
.LBB37_335:
	s_or_b64 exec, exec, s[12:13]
	v_mov_b32_e32 v85, 0
	ds_read_b64 v[86:87], v85 offset:24
	s_waitcnt lgkmcnt(0)
	v_mul_f64 v[78:79], v[78:79], v[86:87]
	buffer_store_dword v79, off, s[0:3], 0 offset:28
	buffer_store_dword v78, off, s[0:3], 0 offset:24
.LBB37_336:
	s_or_b64 exec, exec, s[10:11]
	buffer_load_dword v78, off, s[0:3], 0 offset:16
	buffer_load_dword v79, off, s[0:3], 0 offset:20
	v_cmp_lt_u32_e64 s[4:5], 2, v0
	s_waitcnt vmcnt(0)
	ds_write_b64 v80, v[78:79]
	s_waitcnt lgkmcnt(0)
	; wave barrier
	s_waitcnt lgkmcnt(0)
	s_and_saveexec_b64 s[10:11], s[4:5]
	s_cbranch_execz .LBB37_346
; %bb.337:
	s_andn2_b64 vcc, exec, s[8:9]
	s_cbranch_vccnz .LBB37_339
; %bb.338:
	buffer_load_dword v78, v81, s[0:3], 0 offen
	buffer_load_dword v79, v81, s[0:3], 0 offen offset:4
	ds_read_b64 v[86:87], v80
	s_waitcnt vmcnt(0) lgkmcnt(0)
	v_mul_f64 v[78:79], v[78:79], v[86:87]
	s_cbranch_execz .LBB37_340
	s_branch .LBB37_341
.LBB37_339:
                                        ; implicit-def: $vgpr78_vgpr79
.LBB37_340:
	ds_read_b64 v[78:79], v80
.LBB37_341:
	s_and_saveexec_b64 s[12:13], s[6:7]
	s_cbranch_execz .LBB37_345
; %bb.342:
	v_add_u32_e32 v85, -3, v0
	s_movk_i32 s14, 0x148
	s_mov_b64 s[6:7], 0
.LBB37_343:                             ; =>This Inner Loop Header: Depth=1
	buffer_load_dword v86, v84, s[0:3], 0 offen
	buffer_load_dword v87, v84, s[0:3], 0 offen offset:4
	v_mov_b32_e32 v88, s14
	ds_read_b64 v[88:89], v88
	v_add_u32_e32 v85, -1, v85
	s_add_i32 s14, s14, 8
	v_cmp_eq_u32_e32 vcc, 0, v85
	v_add_u32_e32 v84, 8, v84
	s_or_b64 s[6:7], vcc, s[6:7]
	s_waitcnt vmcnt(0) lgkmcnt(0)
	v_fmac_f64_e32 v[78:79], v[86:87], v[88:89]
	s_andn2_b64 exec, exec, s[6:7]
	s_cbranch_execnz .LBB37_343
; %bb.344:
	s_or_b64 exec, exec, s[6:7]
.LBB37_345:
	s_or_b64 exec, exec, s[12:13]
	v_mov_b32_e32 v84, 0
	ds_read_b64 v[84:85], v84 offset:16
	s_waitcnt lgkmcnt(0)
	v_mul_f64 v[78:79], v[78:79], v[84:85]
	buffer_store_dword v79, off, s[0:3], 0 offset:20
	buffer_store_dword v78, off, s[0:3], 0 offset:16
.LBB37_346:
	s_or_b64 exec, exec, s[10:11]
	buffer_load_dword v78, off, s[0:3], 0 offset:8
	buffer_load_dword v79, off, s[0:3], 0 offset:12
	v_cmp_lt_u32_e64 s[6:7], 1, v0
	s_waitcnt vmcnt(0)
	ds_write_b64 v80, v[78:79]
	s_waitcnt lgkmcnt(0)
	; wave barrier
	s_waitcnt lgkmcnt(0)
	s_and_saveexec_b64 s[10:11], s[6:7]
	s_cbranch_execz .LBB37_356
; %bb.347:
	s_andn2_b64 vcc, exec, s[8:9]
	s_cbranch_vccnz .LBB37_349
; %bb.348:
	buffer_load_dword v78, v81, s[0:3], 0 offen
	buffer_load_dword v79, v81, s[0:3], 0 offen offset:4
	ds_read_b64 v[84:85], v80
	s_waitcnt vmcnt(0) lgkmcnt(0)
	v_mul_f64 v[78:79], v[78:79], v[84:85]
	s_cbranch_execz .LBB37_350
	s_branch .LBB37_351
.LBB37_349:
                                        ; implicit-def: $vgpr78_vgpr79
.LBB37_350:
	ds_read_b64 v[78:79], v80
.LBB37_351:
	s_and_saveexec_b64 s[12:13], s[4:5]
	s_cbranch_execz .LBB37_355
; %bb.352:
	v_add_u32_e32 v84, -2, v0
	s_movk_i32 s14, 0x140
	s_mov_b64 s[4:5], 0
.LBB37_353:                             ; =>This Inner Loop Header: Depth=1
	buffer_load_dword v86, v83, s[0:3], 0 offen
	buffer_load_dword v87, v83, s[0:3], 0 offen offset:4
	v_mov_b32_e32 v85, s14
	ds_read_b64 v[88:89], v85
	v_add_u32_e32 v84, -1, v84
	s_add_i32 s14, s14, 8
	v_cmp_eq_u32_e32 vcc, 0, v84
	v_add_u32_e32 v83, 8, v83
	s_or_b64 s[4:5], vcc, s[4:5]
	s_waitcnt vmcnt(0) lgkmcnt(0)
	v_fmac_f64_e32 v[78:79], v[86:87], v[88:89]
	s_andn2_b64 exec, exec, s[4:5]
	s_cbranch_execnz .LBB37_353
; %bb.354:
	s_or_b64 exec, exec, s[4:5]
.LBB37_355:
	s_or_b64 exec, exec, s[12:13]
	v_mov_b32_e32 v83, 0
	ds_read_b64 v[84:85], v83 offset:8
	s_waitcnt lgkmcnt(0)
	v_mul_f64 v[78:79], v[78:79], v[84:85]
	buffer_store_dword v79, off, s[0:3], 0 offset:12
	buffer_store_dword v78, off, s[0:3], 0 offset:8
.LBB37_356:
	s_or_b64 exec, exec, s[10:11]
	buffer_load_dword v78, off, s[0:3], 0
	buffer_load_dword v79, off, s[0:3], 0 offset:4
	v_cmp_ne_u32_e32 vcc, 0, v0
	s_waitcnt vmcnt(0)
	ds_write_b64 v80, v[78:79]
	s_waitcnt lgkmcnt(0)
	; wave barrier
	s_waitcnt lgkmcnt(0)
	s_and_saveexec_b64 s[4:5], vcc
	s_cbranch_execz .LBB37_366
; %bb.357:
	s_andn2_b64 vcc, exec, s[8:9]
	s_cbranch_vccnz .LBB37_359
; %bb.358:
	buffer_load_dword v78, v81, s[0:3], 0 offen
	buffer_load_dword v79, v81, s[0:3], 0 offen offset:4
	ds_read_b64 v[84:85], v80
	s_waitcnt vmcnt(0) lgkmcnt(0)
	v_mul_f64 v[78:79], v[78:79], v[84:85]
	s_cbranch_execz .LBB37_360
	s_branch .LBB37_361
.LBB37_359:
                                        ; implicit-def: $vgpr78_vgpr79
.LBB37_360:
	ds_read_b64 v[78:79], v80
.LBB37_361:
	s_and_saveexec_b64 s[10:11], s[6:7]
	s_cbranch_execz .LBB37_365
; %bb.362:
	v_add_u32_e32 v83, -1, v0
	s_movk_i32 s12, 0x138
	s_mov_b64 s[6:7], 0
.LBB37_363:                             ; =>This Inner Loop Header: Depth=1
	buffer_load_dword v84, v82, s[0:3], 0 offen
	buffer_load_dword v85, v82, s[0:3], 0 offen offset:4
	v_mov_b32_e32 v86, s12
	ds_read_b64 v[86:87], v86
	v_add_u32_e32 v83, -1, v83
	s_add_i32 s12, s12, 8
	v_cmp_eq_u32_e32 vcc, 0, v83
	v_add_u32_e32 v82, 8, v82
	s_or_b64 s[6:7], vcc, s[6:7]
	s_waitcnt vmcnt(0) lgkmcnt(0)
	v_fmac_f64_e32 v[78:79], v[84:85], v[86:87]
	s_andn2_b64 exec, exec, s[6:7]
	s_cbranch_execnz .LBB37_363
; %bb.364:
	s_or_b64 exec, exec, s[6:7]
.LBB37_365:
	s_or_b64 exec, exec, s[10:11]
	v_mov_b32_e32 v82, 0
	ds_read_b64 v[82:83], v82
	s_waitcnt lgkmcnt(0)
	v_mul_f64 v[78:79], v[78:79], v[82:83]
	buffer_store_dword v79, off, s[0:3], 0 offset:4
	buffer_store_dword v78, off, s[0:3], 0
.LBB37_366:
	s_or_b64 exec, exec, s[4:5]
	s_mov_b64 s[4:5], 0
.LBB37_367:
	s_and_b64 vcc, exec, s[4:5]
	s_cbranch_vccz .LBB37_731
; %bb.368:
	buffer_load_dword v78, off, s[0:3], 0 offset:8
	buffer_load_dword v79, off, s[0:3], 0 offset:12
	v_cmp_eq_u32_e64 s[6:7], 0, v0
	s_waitcnt vmcnt(0)
	ds_write_b64 v80, v[78:79]
	s_waitcnt lgkmcnt(0)
	; wave barrier
	s_waitcnt lgkmcnt(0)
	s_and_saveexec_b64 s[4:5], s[6:7]
	s_cbranch_execz .LBB37_374
; %bb.369:
	s_and_b64 vcc, exec, s[8:9]
	s_cbranch_vccz .LBB37_371
; %bb.370:
	buffer_load_dword v78, v81, s[0:3], 0 offen
	buffer_load_dword v79, v81, s[0:3], 0 offen offset:4
	ds_read_b64 v[82:83], v80
	s_waitcnt vmcnt(0) lgkmcnt(0)
	v_mul_f64 v[78:79], v[78:79], v[82:83]
	s_cbranch_execz .LBB37_372
	s_branch .LBB37_373
.LBB37_371:
                                        ; implicit-def: $vgpr78_vgpr79
.LBB37_372:
	ds_read_b64 v[78:79], v80
.LBB37_373:
	v_mov_b32_e32 v82, 0
	ds_read_b64 v[82:83], v82 offset:8
	s_waitcnt lgkmcnt(0)
	v_mul_f64 v[78:79], v[78:79], v[82:83]
	buffer_store_dword v79, off, s[0:3], 0 offset:12
	buffer_store_dword v78, off, s[0:3], 0 offset:8
.LBB37_374:
	s_or_b64 exec, exec, s[4:5]
	buffer_load_dword v78, off, s[0:3], 0 offset:16
	buffer_load_dword v79, off, s[0:3], 0 offset:20
	v_cndmask_b32_e64 v82, 0, 1, s[8:9]
	v_cmp_gt_u32_e32 vcc, 2, v0
	v_cmp_ne_u32_e64 s[4:5], 1, v82
	s_waitcnt vmcnt(0)
	ds_write_b64 v80, v[78:79]
	s_waitcnt lgkmcnt(0)
	; wave barrier
	s_waitcnt lgkmcnt(0)
	s_and_saveexec_b64 s[8:9], vcc
	s_cbranch_execz .LBB37_382
; %bb.375:
	s_and_b64 vcc, exec, s[4:5]
	s_cbranch_vccnz .LBB37_377
; %bb.376:
	buffer_load_dword v78, v81, s[0:3], 0 offen
	buffer_load_dword v79, v81, s[0:3], 0 offen offset:4
	ds_read_b64 v[82:83], v80
	s_waitcnt vmcnt(0) lgkmcnt(0)
	v_mul_f64 v[78:79], v[78:79], v[82:83]
	s_cbranch_execz .LBB37_378
	s_branch .LBB37_379
.LBB37_377:
                                        ; implicit-def: $vgpr78_vgpr79
.LBB37_378:
	ds_read_b64 v[78:79], v80
.LBB37_379:
	s_and_saveexec_b64 s[10:11], s[6:7]
	s_cbranch_execz .LBB37_381
; %bb.380:
	buffer_load_dword v82, v81, s[0:3], 0 offen offset:8
	buffer_load_dword v83, v81, s[0:3], 0 offen offset:12
	ds_read_b64 v[84:85], v80 offset:8
	s_waitcnt vmcnt(0) lgkmcnt(0)
	v_fmac_f64_e32 v[78:79], v[82:83], v[84:85]
.LBB37_381:
	s_or_b64 exec, exec, s[10:11]
	v_mov_b32_e32 v82, 0
	ds_read_b64 v[82:83], v82 offset:16
	s_waitcnt lgkmcnt(0)
	v_mul_f64 v[78:79], v[78:79], v[82:83]
	buffer_store_dword v79, off, s[0:3], 0 offset:20
	buffer_store_dword v78, off, s[0:3], 0 offset:16
.LBB37_382:
	s_or_b64 exec, exec, s[8:9]
	buffer_load_dword v78, off, s[0:3], 0 offset:24
	buffer_load_dword v79, off, s[0:3], 0 offset:28
	v_cmp_gt_u32_e32 vcc, 3, v0
	s_waitcnt vmcnt(0)
	ds_write_b64 v80, v[78:79]
	s_waitcnt lgkmcnt(0)
	; wave barrier
	s_waitcnt lgkmcnt(0)
	s_and_saveexec_b64 s[8:9], vcc
	s_cbranch_execz .LBB37_390
; %bb.383:
	s_and_b64 vcc, exec, s[4:5]
	s_cbranch_vccnz .LBB37_385
; %bb.384:
	buffer_load_dword v78, v81, s[0:3], 0 offen
	buffer_load_dword v79, v81, s[0:3], 0 offen offset:4
	ds_read_b64 v[82:83], v80
	s_waitcnt vmcnt(0) lgkmcnt(0)
	v_mul_f64 v[78:79], v[78:79], v[82:83]
	s_cbranch_execz .LBB37_386
	s_branch .LBB37_387
.LBB37_385:
                                        ; implicit-def: $vgpr78_vgpr79
.LBB37_386:
	ds_read_b64 v[78:79], v80
.LBB37_387:
	v_cmp_ne_u32_e32 vcc, 2, v0
	s_and_saveexec_b64 s[10:11], vcc
	s_cbranch_execz .LBB37_389
; %bb.388:
	buffer_load_dword v83, v81, s[0:3], 0 offen offset:12
	buffer_load_dword v84, off, s[0:3], 0 offset:16
	buffer_load_dword v82, v81, s[0:3], 0 offen offset:8
	buffer_load_dword v85, off, s[0:3], 0 offset:20
	v_mov_b32_e32 v88, 0
	ds_read_b64 v[86:87], v80 offset:8
	ds_read_b64 v[88:89], v88 offset:320
	s_waitcnt vmcnt(1) lgkmcnt(1)
	v_fmac_f64_e32 v[78:79], v[82:83], v[86:87]
	s_waitcnt vmcnt(0) lgkmcnt(0)
	v_fma_f64 v[82:83], v[84:85], v[88:89], v[78:79]
	v_cndmask_b32_e64 v79, v79, v83, s[6:7]
	v_cndmask_b32_e64 v78, v78, v82, s[6:7]
.LBB37_389:
	s_or_b64 exec, exec, s[10:11]
	v_mov_b32_e32 v82, 0
	ds_read_b64 v[82:83], v82 offset:24
	s_waitcnt lgkmcnt(0)
	v_mul_f64 v[78:79], v[78:79], v[82:83]
	buffer_store_dword v79, off, s[0:3], 0 offset:28
	buffer_store_dword v78, off, s[0:3], 0 offset:24
.LBB37_390:
	s_or_b64 exec, exec, s[8:9]
	buffer_load_dword v78, off, s[0:3], 0 offset:32
	buffer_load_dword v79, off, s[0:3], 0 offset:36
	v_cmp_gt_u32_e32 vcc, 4, v0
	s_waitcnt vmcnt(0)
	ds_write_b64 v80, v[78:79]
	s_waitcnt lgkmcnt(0)
	; wave barrier
	s_waitcnt lgkmcnt(0)
	s_and_saveexec_b64 s[6:7], vcc
	s_cbranch_execz .LBB37_400
; %bb.391:
	s_and_b64 vcc, exec, s[4:5]
	s_cbranch_vccnz .LBB37_393
; %bb.392:
	buffer_load_dword v78, v81, s[0:3], 0 offen
	buffer_load_dword v79, v81, s[0:3], 0 offen offset:4
	ds_read_b64 v[82:83], v80
	s_waitcnt vmcnt(0) lgkmcnt(0)
	v_mul_f64 v[78:79], v[78:79], v[82:83]
	s_cbranch_execz .LBB37_394
	s_branch .LBB37_395
.LBB37_393:
                                        ; implicit-def: $vgpr78_vgpr79
.LBB37_394:
	ds_read_b64 v[78:79], v80
.LBB37_395:
	v_cmp_ne_u32_e32 vcc, 3, v0
	s_and_saveexec_b64 s[8:9], vcc
	s_cbranch_execz .LBB37_399
; %bb.396:
	v_mov_b32_e32 v83, 0
	v_add_u32_e32 v82, 0x138, v1
	v_add3_u32 v83, v1, v83, 8
	s_mov_b64 s[10:11], 0
	v_mov_b32_e32 v84, v0
.LBB37_397:                             ; =>This Inner Loop Header: Depth=1
	buffer_load_dword v86, v83, s[0:3], 0 offen
	buffer_load_dword v87, v83, s[0:3], 0 offen offset:4
	ds_read_b64 v[88:89], v82
	v_add_u32_e32 v84, 1, v84
	v_cmp_lt_u32_e32 vcc, 2, v84
	v_add_u32_e32 v82, 8, v82
	v_add_u32_e32 v83, 8, v83
	s_or_b64 s[10:11], vcc, s[10:11]
	s_waitcnt vmcnt(0) lgkmcnt(0)
	v_fmac_f64_e32 v[78:79], v[86:87], v[88:89]
	s_andn2_b64 exec, exec, s[10:11]
	s_cbranch_execnz .LBB37_397
; %bb.398:
	s_or_b64 exec, exec, s[10:11]
.LBB37_399:
	s_or_b64 exec, exec, s[8:9]
	v_mov_b32_e32 v82, 0
	ds_read_b64 v[82:83], v82 offset:32
	s_waitcnt lgkmcnt(0)
	v_mul_f64 v[78:79], v[78:79], v[82:83]
	buffer_store_dword v79, off, s[0:3], 0 offset:36
	buffer_store_dword v78, off, s[0:3], 0 offset:32
.LBB37_400:
	s_or_b64 exec, exec, s[6:7]
	buffer_load_dword v78, off, s[0:3], 0 offset:40
	buffer_load_dword v79, off, s[0:3], 0 offset:44
	v_cmp_gt_u32_e32 vcc, 5, v0
	s_waitcnt vmcnt(0)
	ds_write_b64 v80, v[78:79]
	s_waitcnt lgkmcnt(0)
	; wave barrier
	s_waitcnt lgkmcnt(0)
	s_and_saveexec_b64 s[6:7], vcc
	s_cbranch_execz .LBB37_410
; %bb.401:
	s_and_b64 vcc, exec, s[4:5]
	s_cbranch_vccnz .LBB37_403
; %bb.402:
	buffer_load_dword v78, v81, s[0:3], 0 offen
	buffer_load_dword v79, v81, s[0:3], 0 offen offset:4
	ds_read_b64 v[82:83], v80
	s_waitcnt vmcnt(0) lgkmcnt(0)
	v_mul_f64 v[78:79], v[78:79], v[82:83]
	s_cbranch_execz .LBB37_404
	s_branch .LBB37_405
.LBB37_403:
                                        ; implicit-def: $vgpr78_vgpr79
.LBB37_404:
	ds_read_b64 v[78:79], v80
.LBB37_405:
	v_cmp_ne_u32_e32 vcc, 4, v0
	s_and_saveexec_b64 s[8:9], vcc
	s_cbranch_execz .LBB37_409
; %bb.406:
	v_mov_b32_e32 v83, 0
	v_add_u32_e32 v82, 0x138, v1
	v_add3_u32 v83, v1, v83, 8
	s_mov_b64 s[10:11], 0
	v_mov_b32_e32 v84, v0
.LBB37_407:                             ; =>This Inner Loop Header: Depth=1
	buffer_load_dword v86, v83, s[0:3], 0 offen
	buffer_load_dword v87, v83, s[0:3], 0 offen offset:4
	ds_read_b64 v[88:89], v82
	v_add_u32_e32 v84, 1, v84
	v_cmp_lt_u32_e32 vcc, 3, v84
	v_add_u32_e32 v82, 8, v82
	v_add_u32_e32 v83, 8, v83
	s_or_b64 s[10:11], vcc, s[10:11]
	s_waitcnt vmcnt(0) lgkmcnt(0)
	v_fmac_f64_e32 v[78:79], v[86:87], v[88:89]
	s_andn2_b64 exec, exec, s[10:11]
	s_cbranch_execnz .LBB37_407
; %bb.408:
	s_or_b64 exec, exec, s[10:11]
.LBB37_409:
	s_or_b64 exec, exec, s[8:9]
	v_mov_b32_e32 v82, 0
	ds_read_b64 v[82:83], v82 offset:40
	s_waitcnt lgkmcnt(0)
	v_mul_f64 v[78:79], v[78:79], v[82:83]
	buffer_store_dword v79, off, s[0:3], 0 offset:44
	buffer_store_dword v78, off, s[0:3], 0 offset:40
.LBB37_410:
	;; [unrolled: 60-line block ×32, first 2 shown]
	s_or_b64 exec, exec, s[6:7]
	buffer_load_dword v78, off, s[0:3], 0 offset:288
	buffer_load_dword v79, off, s[0:3], 0 offset:292
	v_cmp_gt_u32_e64 s[6:7], 36, v0
	s_waitcnt vmcnt(0)
	ds_write_b64 v80, v[78:79]
	s_waitcnt lgkmcnt(0)
	; wave barrier
	s_waitcnt lgkmcnt(0)
	s_and_saveexec_b64 s[8:9], s[6:7]
	s_cbranch_execz .LBB37_720
; %bb.711:
	s_and_b64 vcc, exec, s[4:5]
	s_cbranch_vccnz .LBB37_713
; %bb.712:
	buffer_load_dword v78, v81, s[0:3], 0 offen
	buffer_load_dword v79, v81, s[0:3], 0 offen offset:4
	ds_read_b64 v[82:83], v80
	s_waitcnt vmcnt(0) lgkmcnt(0)
	v_mul_f64 v[78:79], v[78:79], v[82:83]
	s_cbranch_execz .LBB37_714
	s_branch .LBB37_715
.LBB37_713:
                                        ; implicit-def: $vgpr78_vgpr79
.LBB37_714:
	ds_read_b64 v[78:79], v80
.LBB37_715:
	v_cmp_ne_u32_e32 vcc, 35, v0
	s_and_saveexec_b64 s[10:11], vcc
	s_cbranch_execz .LBB37_719
; %bb.716:
	v_mov_b32_e32 v83, 0
	v_add_u32_e32 v82, 0x138, v1
	v_add3_u32 v83, v1, v83, 8
	s_mov_b64 s[12:13], 0
	v_mov_b32_e32 v84, v0
.LBB37_717:                             ; =>This Inner Loop Header: Depth=1
	buffer_load_dword v86, v83, s[0:3], 0 offen
	buffer_load_dword v87, v83, s[0:3], 0 offen offset:4
	ds_read_b64 v[88:89], v82
	v_add_u32_e32 v84, 1, v84
	v_cmp_lt_u32_e32 vcc, 34, v84
	v_add_u32_e32 v82, 8, v82
	v_add_u32_e32 v83, 8, v83
	s_or_b64 s[12:13], vcc, s[12:13]
	s_waitcnt vmcnt(0) lgkmcnt(0)
	v_fmac_f64_e32 v[78:79], v[86:87], v[88:89]
	s_andn2_b64 exec, exec, s[12:13]
	s_cbranch_execnz .LBB37_717
; %bb.718:
	s_or_b64 exec, exec, s[12:13]
.LBB37_719:
	s_or_b64 exec, exec, s[10:11]
	v_mov_b32_e32 v82, 0
	ds_read_b64 v[82:83], v82 offset:288
	s_waitcnt lgkmcnt(0)
	v_mul_f64 v[78:79], v[78:79], v[82:83]
	buffer_store_dword v79, off, s[0:3], 0 offset:292
	buffer_store_dword v78, off, s[0:3], 0 offset:288
.LBB37_720:
	s_or_b64 exec, exec, s[8:9]
	buffer_load_dword v78, off, s[0:3], 0 offset:296
	buffer_load_dword v79, off, s[0:3], 0 offset:300
	v_cmp_ne_u32_e32 vcc, 37, v0
	s_waitcnt vmcnt(0)
	ds_write_b64 v80, v[78:79]
	s_waitcnt lgkmcnt(0)
	; wave barrier
	s_waitcnt lgkmcnt(0)
	s_and_saveexec_b64 s[8:9], vcc
	s_cbranch_execz .LBB37_730
; %bb.721:
	s_and_b64 vcc, exec, s[4:5]
	s_cbranch_vccnz .LBB37_723
; %bb.722:
	buffer_load_dword v78, v81, s[0:3], 0 offen
	buffer_load_dword v79, v81, s[0:3], 0 offen offset:4
	ds_read_b64 v[82:83], v80
	s_waitcnt vmcnt(0) lgkmcnt(0)
	v_mul_f64 v[78:79], v[78:79], v[82:83]
	s_cbranch_execz .LBB37_724
	s_branch .LBB37_725
.LBB37_723:
                                        ; implicit-def: $vgpr78_vgpr79
.LBB37_724:
	ds_read_b64 v[78:79], v80
.LBB37_725:
	s_and_saveexec_b64 s[4:5], s[6:7]
	s_cbranch_execz .LBB37_729
; %bb.726:
	v_mov_b32_e32 v81, 0
	v_add_u32_e32 v80, 0x138, v1
	v_add3_u32 v1, v1, v81, 8
	s_mov_b64 s[6:7], 0
.LBB37_727:                             ; =>This Inner Loop Header: Depth=1
	buffer_load_dword v82, v1, s[0:3], 0 offen
	buffer_load_dword v83, v1, s[0:3], 0 offen offset:4
	ds_read_b64 v[84:85], v80
	v_add_u32_e32 v0, 1, v0
	v_cmp_lt_u32_e32 vcc, 35, v0
	v_add_u32_e32 v80, 8, v80
	v_add_u32_e32 v1, 8, v1
	s_or_b64 s[6:7], vcc, s[6:7]
	s_waitcnt vmcnt(0) lgkmcnt(0)
	v_fmac_f64_e32 v[78:79], v[82:83], v[84:85]
	s_andn2_b64 exec, exec, s[6:7]
	s_cbranch_execnz .LBB37_727
; %bb.728:
	s_or_b64 exec, exec, s[6:7]
.LBB37_729:
	s_or_b64 exec, exec, s[4:5]
	v_mov_b32_e32 v0, 0
	ds_read_b64 v[0:1], v0 offset:296
	s_waitcnt lgkmcnt(0)
	v_mul_f64 v[0:1], v[78:79], v[0:1]
	buffer_store_dword v1, off, s[0:3], 0 offset:300
	buffer_store_dword v0, off, s[0:3], 0 offset:296
.LBB37_730:
	s_or_b64 exec, exec, s[8:9]
.LBB37_731:
	buffer_load_dword v0, off, s[0:3], 0
	buffer_load_dword v1, off, s[0:3], 0 offset:4
	buffer_load_dword v78, off, s[0:3], 0 offset:8
	;; [unrolled: 1-line block ×15, first 2 shown]
	s_waitcnt vmcnt(14)
	global_store_dwordx2 v[74:75], v[0:1], off
	s_waitcnt vmcnt(13)
	global_store_dwordx2 v[76:77], v[78:79], off
	;; [unrolled: 2-line block ×8, first 2 shown]
	buffer_load_dword v1, off, s[0:3], 0 offset:68
	buffer_load_dword v0, off, s[0:3], 0 offset:64
	s_waitcnt vmcnt(0)
	global_store_dwordx2 v[20:21], v[0:1], off
	buffer_load_dword v0, off, s[0:3], 0 offset:72
	s_nop 0
	buffer_load_dword v1, off, s[0:3], 0 offset:76
	s_waitcnt vmcnt(0)
	global_store_dwordx2 v[12:13], v[0:1], off
	buffer_load_dword v0, off, s[0:3], 0 offset:80
	s_nop 0
	;; [unrolled: 5-line block ×29, first 2 shown]
	buffer_load_dword v1, off, s[0:3], 0 offset:300
	s_waitcnt vmcnt(0)
	global_store_dwordx2 v[58:59], v[0:1], off
.LBB37_732:
	s_endpgm
	.section	.rodata,"a",@progbits
	.p2align	6, 0x0
	.amdhsa_kernel _ZN9rocsolver6v33100L18trti2_kernel_smallILi38EdPdEEv13rocblas_fill_17rocblas_diagonal_T1_iil
		.amdhsa_group_segment_fixed_size 608
		.amdhsa_private_segment_fixed_size 320
		.amdhsa_kernarg_size 32
		.amdhsa_user_sgpr_count 8
		.amdhsa_user_sgpr_private_segment_buffer 1
		.amdhsa_user_sgpr_dispatch_ptr 0
		.amdhsa_user_sgpr_queue_ptr 0
		.amdhsa_user_sgpr_kernarg_segment_ptr 1
		.amdhsa_user_sgpr_dispatch_id 0
		.amdhsa_user_sgpr_flat_scratch_init 1
		.amdhsa_user_sgpr_kernarg_preload_length 0
		.amdhsa_user_sgpr_kernarg_preload_offset 0
		.amdhsa_user_sgpr_private_segment_size 0
		.amdhsa_uses_dynamic_stack 0
		.amdhsa_system_sgpr_private_segment_wavefront_offset 1
		.amdhsa_system_sgpr_workgroup_id_x 1
		.amdhsa_system_sgpr_workgroup_id_y 0
		.amdhsa_system_sgpr_workgroup_id_z 0
		.amdhsa_system_sgpr_workgroup_info 0
		.amdhsa_system_vgpr_workitem_id 0
		.amdhsa_next_free_vgpr 124
		.amdhsa_next_free_sgpr 20
		.amdhsa_accum_offset 124
		.amdhsa_reserve_vcc 1
		.amdhsa_reserve_flat_scratch 0
		.amdhsa_float_round_mode_32 0
		.amdhsa_float_round_mode_16_64 0
		.amdhsa_float_denorm_mode_32 3
		.amdhsa_float_denorm_mode_16_64 3
		.amdhsa_dx10_clamp 1
		.amdhsa_ieee_mode 1
		.amdhsa_fp16_overflow 0
		.amdhsa_tg_split 0
		.amdhsa_exception_fp_ieee_invalid_op 0
		.amdhsa_exception_fp_denorm_src 0
		.amdhsa_exception_fp_ieee_div_zero 0
		.amdhsa_exception_fp_ieee_overflow 0
		.amdhsa_exception_fp_ieee_underflow 0
		.amdhsa_exception_fp_ieee_inexact 0
		.amdhsa_exception_int_div_zero 0
	.end_amdhsa_kernel
	.section	.text._ZN9rocsolver6v33100L18trti2_kernel_smallILi38EdPdEEv13rocblas_fill_17rocblas_diagonal_T1_iil,"axG",@progbits,_ZN9rocsolver6v33100L18trti2_kernel_smallILi38EdPdEEv13rocblas_fill_17rocblas_diagonal_T1_iil,comdat
.Lfunc_end37:
	.size	_ZN9rocsolver6v33100L18trti2_kernel_smallILi38EdPdEEv13rocblas_fill_17rocblas_diagonal_T1_iil, .Lfunc_end37-_ZN9rocsolver6v33100L18trti2_kernel_smallILi38EdPdEEv13rocblas_fill_17rocblas_diagonal_T1_iil
                                        ; -- End function
	.section	.AMDGPU.csdata,"",@progbits
; Kernel info:
; codeLenInByte = 22180
; NumSgprs: 24
; NumVgprs: 124
; NumAgprs: 0
; TotalNumVgprs: 124
; ScratchSize: 320
; MemoryBound: 0
; FloatMode: 240
; IeeeMode: 1
; LDSByteSize: 608 bytes/workgroup (compile time only)
; SGPRBlocks: 2
; VGPRBlocks: 15
; NumSGPRsForWavesPerEU: 24
; NumVGPRsForWavesPerEU: 124
; AccumOffset: 124
; Occupancy: 4
; WaveLimiterHint : 0
; COMPUTE_PGM_RSRC2:SCRATCH_EN: 1
; COMPUTE_PGM_RSRC2:USER_SGPR: 8
; COMPUTE_PGM_RSRC2:TRAP_HANDLER: 0
; COMPUTE_PGM_RSRC2:TGID_X_EN: 1
; COMPUTE_PGM_RSRC2:TGID_Y_EN: 0
; COMPUTE_PGM_RSRC2:TGID_Z_EN: 0
; COMPUTE_PGM_RSRC2:TIDIG_COMP_CNT: 0
; COMPUTE_PGM_RSRC3_GFX90A:ACCUM_OFFSET: 30
; COMPUTE_PGM_RSRC3_GFX90A:TG_SPLIT: 0
	.section	.text._ZN9rocsolver6v33100L18trti2_kernel_smallILi39EdPdEEv13rocblas_fill_17rocblas_diagonal_T1_iil,"axG",@progbits,_ZN9rocsolver6v33100L18trti2_kernel_smallILi39EdPdEEv13rocblas_fill_17rocblas_diagonal_T1_iil,comdat
	.globl	_ZN9rocsolver6v33100L18trti2_kernel_smallILi39EdPdEEv13rocblas_fill_17rocblas_diagonal_T1_iil ; -- Begin function _ZN9rocsolver6v33100L18trti2_kernel_smallILi39EdPdEEv13rocblas_fill_17rocblas_diagonal_T1_iil
	.p2align	8
	.type	_ZN9rocsolver6v33100L18trti2_kernel_smallILi39EdPdEEv13rocblas_fill_17rocblas_diagonal_T1_iil,@function
_ZN9rocsolver6v33100L18trti2_kernel_smallILi39EdPdEEv13rocblas_fill_17rocblas_diagonal_T1_iil: ; @_ZN9rocsolver6v33100L18trti2_kernel_smallILi39EdPdEEv13rocblas_fill_17rocblas_diagonal_T1_iil
; %bb.0:
	s_add_u32 s0, s0, s9
	s_addc_u32 s1, s1, 0
	v_cmp_gt_u32_e32 vcc, 39, v0
	s_and_saveexec_b64 s[6:7], vcc
	s_cbranch_execz .LBB38_752
; %bb.1:
	s_load_dwordx8 s[12:19], s[4:5], 0x0
	s_ashr_i32 s6, s8, 31
	s_waitcnt lgkmcnt(0)
	s_mul_i32 s7, s8, s19
	s_mul_hi_u32 s9, s8, s18
	s_add_i32 s7, s9, s7
	s_mul_i32 s6, s6, s18
	s_add_i32 s7, s7, s6
	s_mul_i32 s6, s8, s18
	s_ashr_i32 s5, s16, 31
	s_lshl_b64 s[6:7], s[6:7], 3
	s_mov_b32 s4, s16
	s_add_u32 s6, s14, s6
	s_addc_u32 s7, s15, s7
	s_lshl_b64 s[4:5], s[4:5], 3
	s_add_u32 s4, s6, s4
	s_addc_u32 s5, s7, s5
	s_add_i32 s6, s17, s17
	v_add_u32_e32 v4, s6, v0
	v_ashrrev_i32_e32 v5, 31, v4
	v_lshlrev_b64 v[2:3], 3, v[4:5]
	v_add_u32_e32 v6, s17, v4
	v_mov_b32_e32 v1, s5
	v_add_co_u32_e32 v2, vcc, s4, v2
	v_ashrrev_i32_e32 v7, 31, v6
	v_addc_co_u32_e32 v3, vcc, v1, v3, vcc
	v_lshlrev_b64 v[4:5], 3, v[6:7]
	v_add_u32_e32 v8, s17, v6
	v_add_co_u32_e32 v4, vcc, s4, v4
	v_ashrrev_i32_e32 v9, 31, v8
	v_addc_co_u32_e32 v5, vcc, v1, v5, vcc
	v_lshlrev_b64 v[6:7], 3, v[8:9]
	v_add_u32_e32 v10, s17, v8
	;; [unrolled: 5-line block ×5, first 2 shown]
	v_add_co_u32_e32 v14, vcc, s4, v14
	v_ashrrev_i32_e32 v13, 31, v12
	v_addc_co_u32_e32 v15, vcc, v1, v15, vcc
	v_lshlrev_b64 v[16:17], 3, v[12:13]
	v_add_co_u32_e32 v20, vcc, s4, v16
	v_add_u32_e32 v16, s17, v12
	v_addc_co_u32_e32 v21, vcc, v1, v17, vcc
	v_ashrrev_i32_e32 v17, 31, v16
	v_lshlrev_b64 v[12:13], 3, v[16:17]
	v_add_u32_e32 v18, s17, v16
	v_add_co_u32_e32 v12, vcc, s4, v12
	v_ashrrev_i32_e32 v19, 31, v18
	v_addc_co_u32_e32 v13, vcc, v1, v13, vcc
	v_lshlrev_b64 v[16:17], 3, v[18:19]
	v_add_u32_e32 v22, s17, v18
	v_add_co_u32_e32 v16, vcc, s4, v16
	v_ashrrev_i32_e32 v23, 31, v22
	v_addc_co_u32_e32 v17, vcc, v1, v17, vcc
	;; [unrolled: 5-line block ×21, first 2 shown]
	v_lshlrev_b64 v[58:59], 3, v[60:61]
	v_add_co_u32_e32 v58, vcc, s4, v58
	v_addc_co_u32_e32 v59, vcc, v1, v59, vcc
	v_lshlrev_b32_e32 v1, 3, v0
	v_mov_b32_e32 v62, s5
	v_add_co_u32_e32 v76, vcc, s4, v1
	s_ashr_i32 s7, s17, 31
	s_mov_b32 s6, s17
	v_addc_co_u32_e32 v77, vcc, 0, v62, vcc
	s_lshl_b64 s[6:7], s[6:7], 3
	v_mov_b32_e32 v62, s7
	v_add_co_u32_e32 v78, vcc, s6, v76
	v_addc_co_u32_e32 v79, vcc, v77, v62, vcc
	global_load_dwordx2 v[80:81], v1, s[4:5]
	global_load_dwordx2 v[82:83], v[78:79], off
	global_load_dwordx2 v[84:85], v[2:3], off
	;; [unrolled: 1-line block ×16, first 2 shown]
	v_add_u32_e32 v60, s17, v60
	v_ashrrev_i32_e32 v61, 31, v60
	v_lshlrev_b64 v[62:63], 3, v[60:61]
	v_add_u32_e32 v60, s17, v60
	v_mov_b32_e32 v64, s5
	v_add_co_u32_e32 v62, vcc, s4, v62
	v_ashrrev_i32_e32 v61, 31, v60
	v_addc_co_u32_e32 v63, vcc, v64, v63, vcc
	v_lshlrev_b64 v[64:65], 3, v[60:61]
	v_add_u32_e32 v60, s17, v60
	v_mov_b32_e32 v66, s5
	v_add_co_u32_e32 v64, vcc, s4, v64
	v_ashrrev_i32_e32 v61, 31, v60
	v_addc_co_u32_e32 v65, vcc, v66, v65, vcc
	;; [unrolled: 6-line block ×7, first 2 shown]
	v_lshlrev_b64 v[60:61], 3, v[60:61]
	v_add_co_u32_e32 v60, vcc, s4, v60
	v_addc_co_u32_e32 v61, vcc, v114, v61, vcc
	global_load_dwordx2 v[114:115], v[60:61], off
	s_waitcnt vmcnt(17)
	buffer_store_dword v81, off, s[0:3], 0 offset:4
	buffer_store_dword v80, off, s[0:3], 0
	s_waitcnt vmcnt(18)
	buffer_store_dword v83, off, s[0:3], 0 offset:12
	buffer_store_dword v82, off, s[0:3], 0 offset:8
	s_waitcnt vmcnt(19)
	buffer_store_dword v85, off, s[0:3], 0 offset:20
	buffer_store_dword v84, off, s[0:3], 0 offset:16
	;; [unrolled: 3-line block ×6, first 2 shown]
	global_load_dwordx2 v[80:81], v[32:33], off
	global_load_dwordx2 v[82:83], v[34:35], off
	;; [unrolled: 1-line block ×11, first 2 shown]
	s_cmpk_lg_i32 s13, 0x84
	s_waitcnt vmcnt(35)
	buffer_store_dword v95, off, s[0:3], 0 offset:60
	buffer_store_dword v94, off, s[0:3], 0 offset:56
	global_load_dwordx2 v[94:95], v[46:47], off
	s_cselect_b64 s[8:9], -1, 0
	s_waitcnt vmcnt(36)
	buffer_store_dword v97, off, s[0:3], 0 offset:68
	buffer_store_dword v96, off, s[0:3], 0 offset:64
	global_load_dwordx2 v[96:97], v[48:49], off
	s_cmpk_eq_i32 s13, 0x84
	s_waitcnt vmcnt(37)
	buffer_store_dword v98, off, s[0:3], 0 offset:72
	buffer_store_dword v99, off, s[0:3], 0 offset:76
	global_load_dwordx2 v[98:99], v[50:51], off
	s_nop 0
	buffer_store_dword v100, off, s[0:3], 0 offset:80
	buffer_store_dword v101, off, s[0:3], 0 offset:84
	global_load_dwordx2 v[100:101], v[52:53], off
	s_waitcnt vmcnt(42)
	buffer_store_dword v102, off, s[0:3], 0 offset:88
	buffer_store_dword v103, off, s[0:3], 0 offset:92
	global_load_dwordx2 v[102:103], v[54:55], off
	s_nop 0
	buffer_store_dword v104, off, s[0:3], 0 offset:96
	buffer_store_dword v105, off, s[0:3], 0 offset:100
	global_load_dwordx2 v[104:105], v[56:57], off
	s_waitcnt vmcnt(47)
	buffer_store_dword v106, off, s[0:3], 0 offset:104
	buffer_store_dword v107, off, s[0:3], 0 offset:108
	global_load_dwordx2 v[106:107], v[62:63], off
	s_waitcnt vmcnt(49)
	;; [unrolled: 4-line block ×5, first 2 shown]
	buffer_store_dword v80, off, s[0:3], 0 offset:136
	buffer_store_dword v81, off, s[0:3], 0 offset:140
	s_waitcnt vmcnt(41)
	buffer_store_dword v82, off, s[0:3], 0 offset:144
	buffer_store_dword v83, off, s[0:3], 0 offset:148
	s_waitcnt vmcnt(42)
	;; [unrolled: 3-line block ×12, first 2 shown]
	buffer_store_dword v104, off, s[0:3], 0 offset:232
	buffer_store_dword v105, off, s[0:3], 0 offset:236
	buffer_store_dword v116, off, s[0:3], 0 offset:240
	buffer_store_dword v117, off, s[0:3], 0 offset:244
	s_waitcnt vmcnt(37)
	buffer_store_dword v107, off, s[0:3], 0 offset:252
	buffer_store_dword v106, off, s[0:3], 0 offset:248
	buffer_store_dword v119, off, s[0:3], 0 offset:260
	buffer_store_dword v118, off, s[0:3], 0 offset:256
	s_waitcnt vmcnt(38)
	;; [unrolled: 5-line block ×4, first 2 shown]
	buffer_store_dword v113, off, s[0:3], 0 offset:300
	buffer_store_dword v112, off, s[0:3], 0 offset:296
	;; [unrolled: 1-line block ×4, first 2 shown]
	v_mov_b32_e32 v80, 0
	v_mov_b32_e32 v119, 0
	;; [unrolled: 1-line block ×3, first 2 shown]
	s_cbranch_scc1 .LBB38_3
; %bb.2:
	v_lshl_add_u32 v90, v0, 3, v119
	buffer_load_dword v80, v90, s[0:3], 0 offen
	buffer_load_dword v81, v90, s[0:3], 0 offen offset:4
	s_waitcnt vmcnt(0)
	v_div_scale_f64 v[82:83], s[4:5], v[80:81], v[80:81], 1.0
	v_rcp_f64_e32 v[84:85], v[82:83]
	v_div_scale_f64 v[86:87], vcc, 1.0, v[80:81], 1.0
	v_fma_f64 v[88:89], -v[82:83], v[84:85], 1.0
	v_fmac_f64_e32 v[84:85], v[84:85], v[88:89]
	v_fma_f64 v[88:89], -v[82:83], v[84:85], 1.0
	v_fmac_f64_e32 v[84:85], v[84:85], v[88:89]
	v_mul_f64 v[88:89], v[86:87], v[84:85]
	v_fma_f64 v[82:83], -v[82:83], v[88:89], v[86:87]
	v_div_fmas_f64 v[82:83], v[82:83], v[84:85], v[88:89]
	v_div_fixup_f64 v[80:81], v[82:83], v[80:81], 1.0
	buffer_store_dword v80, v90, s[0:3], 0 offen
	buffer_store_dword v81, v90, s[0:3], 0 offen offset:4
	v_xor_b32_e32 v81, 0x80000000, v81
.LBB38_3:
	s_cmpk_eq_i32 s12, 0x79
	v_add_u32_e32 v82, 0x140, v1
	v_add_u32_e32 v83, 0, v1
	s_mov_b64 s[4:5], -1
	ds_write_b64 v1, v[80:81]
	s_cbranch_scc1 .LBB38_377
; %bb.4:
	buffer_load_dword v80, off, s[0:3], 0 offset:296
	buffer_load_dword v81, off, s[0:3], 0 offset:300
	v_cmp_eq_u32_e64 s[4:5], 38, v0
	s_waitcnt vmcnt(0)
	ds_write_b64 v82, v[80:81]
	s_waitcnt lgkmcnt(0)
	; wave barrier
	s_waitcnt lgkmcnt(0)
	s_and_saveexec_b64 s[6:7], s[4:5]
	s_cbranch_execz .LBB38_10
; %bb.5:
	s_and_b64 vcc, exec, s[8:9]
	s_cbranch_vccz .LBB38_7
; %bb.6:
	buffer_load_dword v80, v83, s[0:3], 0 offen
	buffer_load_dword v81, v83, s[0:3], 0 offen offset:4
	ds_read_b64 v[84:85], v82
	s_waitcnt vmcnt(0) lgkmcnt(0)
	v_mul_f64 v[80:81], v[80:81], v[84:85]
	s_cbranch_execz .LBB38_8
	s_branch .LBB38_9
.LBB38_7:
                                        ; implicit-def: $vgpr80_vgpr81
.LBB38_8:
	ds_read_b64 v[80:81], v82
.LBB38_9:
	v_mov_b32_e32 v84, 0
	ds_read_b64 v[84:85], v84 offset:296
	s_waitcnt lgkmcnt(0)
	v_mul_f64 v[80:81], v[80:81], v[84:85]
	buffer_store_dword v81, off, s[0:3], 0 offset:300
	buffer_store_dword v80, off, s[0:3], 0 offset:296
.LBB38_10:
	s_or_b64 exec, exec, s[6:7]
	buffer_load_dword v80, off, s[0:3], 0 offset:288
	buffer_load_dword v81, off, s[0:3], 0 offset:292
	v_or_b32_e32 v84, 8, v119
	v_add_u32_e32 v85, 16, v119
	v_add_u32_e32 v86, 24, v119
	;; [unrolled: 1-line block ×35, first 2 shown]
	v_cmp_lt_u32_e64 s[6:7], 36, v0
	s_waitcnt vmcnt(0)
	ds_write_b64 v82, v[80:81]
	s_waitcnt lgkmcnt(0)
	; wave barrier
	s_waitcnt lgkmcnt(0)
	s_and_saveexec_b64 s[10:11], s[6:7]
	s_cbranch_execz .LBB38_16
; %bb.11:
	s_andn2_b64 vcc, exec, s[8:9]
	s_cbranch_vccnz .LBB38_13
; %bb.12:
	buffer_load_dword v80, v83, s[0:3], 0 offen
	buffer_load_dword v81, v83, s[0:3], 0 offen offset:4
	ds_read_b64 v[120:121], v82
	s_waitcnt vmcnt(0) lgkmcnt(0)
	v_mul_f64 v[80:81], v[80:81], v[120:121]
	s_cbranch_execz .LBB38_14
	s_branch .LBB38_15
.LBB38_13:
                                        ; implicit-def: $vgpr80_vgpr81
.LBB38_14:
	ds_read_b64 v[80:81], v82
.LBB38_15:
	buffer_load_dword v124, off, s[0:3], 0 offset:296
	buffer_load_dword v125, off, s[0:3], 0 offset:300
	v_mov_b32_e32 v120, 0
	ds_read2_b64 v[120:123], v120 offset0:36 offset1:77
	s_waitcnt vmcnt(0) lgkmcnt(0)
	v_fma_f64 v[122:123], v[124:125], v[122:123], v[80:81]
	v_cndmask_b32_e64 v81, v81, v123, s[4:5]
	v_cndmask_b32_e64 v80, v80, v122, s[4:5]
	v_mul_f64 v[80:81], v[80:81], v[120:121]
	buffer_store_dword v81, off, s[0:3], 0 offset:292
	buffer_store_dword v80, off, s[0:3], 0 offset:288
.LBB38_16:
	s_or_b64 exec, exec, s[10:11]
	buffer_load_dword v80, off, s[0:3], 0 offset:280
	buffer_load_dword v81, off, s[0:3], 0 offset:284
	v_cmp_lt_u32_e64 s[4:5], 35, v0
	s_waitcnt vmcnt(0)
	ds_write_b64 v82, v[80:81]
	s_waitcnt lgkmcnt(0)
	; wave barrier
	s_waitcnt lgkmcnt(0)
	s_and_saveexec_b64 s[10:11], s[4:5]
	s_cbranch_execz .LBB38_26
; %bb.17:
	s_andn2_b64 vcc, exec, s[8:9]
	s_cbranch_vccnz .LBB38_19
; %bb.18:
	buffer_load_dword v80, v83, s[0:3], 0 offen
	buffer_load_dword v81, v83, s[0:3], 0 offen offset:4
	ds_read_b64 v[120:121], v82
	s_waitcnt vmcnt(0) lgkmcnt(0)
	v_mul_f64 v[80:81], v[80:81], v[120:121]
	s_cbranch_execz .LBB38_20
	s_branch .LBB38_21
.LBB38_19:
                                        ; implicit-def: $vgpr80_vgpr81
.LBB38_20:
	ds_read_b64 v[80:81], v82
.LBB38_21:
	s_and_saveexec_b64 s[12:13], s[6:7]
	s_cbranch_execz .LBB38_25
; %bb.22:
	v_subrev_u32_e32 v120, 36, v0
	s_movk_i32 s14, 0x260
	s_mov_b64 s[6:7], 0
.LBB38_23:                              ; =>This Inner Loop Header: Depth=1
	buffer_load_dword v122, v119, s[0:3], 0 offen
	buffer_load_dword v123, v119, s[0:3], 0 offen offset:4
	v_mov_b32_e32 v121, s14
	ds_read_b64 v[124:125], v121
	v_add_u32_e32 v120, -1, v120
	s_add_i32 s14, s14, 8
	v_cmp_eq_u32_e32 vcc, 0, v120
	v_add_u32_e32 v119, 8, v119
	s_or_b64 s[6:7], vcc, s[6:7]
	s_waitcnt vmcnt(0) lgkmcnt(0)
	v_fmac_f64_e32 v[80:81], v[122:123], v[124:125]
	s_andn2_b64 exec, exec, s[6:7]
	s_cbranch_execnz .LBB38_23
; %bb.24:
	s_or_b64 exec, exec, s[6:7]
.LBB38_25:
	s_or_b64 exec, exec, s[12:13]
	v_mov_b32_e32 v119, 0
	ds_read_b64 v[120:121], v119 offset:280
	s_waitcnt lgkmcnt(0)
	v_mul_f64 v[80:81], v[80:81], v[120:121]
	buffer_store_dword v81, off, s[0:3], 0 offset:284
	buffer_store_dword v80, off, s[0:3], 0 offset:280
.LBB38_26:
	s_or_b64 exec, exec, s[10:11]
	buffer_load_dword v80, off, s[0:3], 0 offset:272
	buffer_load_dword v81, off, s[0:3], 0 offset:276
	v_cmp_lt_u32_e64 s[6:7], 34, v0
	s_waitcnt vmcnt(0)
	ds_write_b64 v82, v[80:81]
	s_waitcnt lgkmcnt(0)
	; wave barrier
	s_waitcnt lgkmcnt(0)
	s_and_saveexec_b64 s[10:11], s[6:7]
	s_cbranch_execz .LBB38_36
; %bb.27:
	s_andn2_b64 vcc, exec, s[8:9]
	s_cbranch_vccnz .LBB38_29
; %bb.28:
	buffer_load_dword v80, v83, s[0:3], 0 offen
	buffer_load_dword v81, v83, s[0:3], 0 offen offset:4
	ds_read_b64 v[120:121], v82
	s_waitcnt vmcnt(0) lgkmcnt(0)
	v_mul_f64 v[80:81], v[80:81], v[120:121]
	s_cbranch_execz .LBB38_30
	s_branch .LBB38_31
.LBB38_29:
                                        ; implicit-def: $vgpr80_vgpr81
.LBB38_30:
	ds_read_b64 v[80:81], v82
.LBB38_31:
	s_and_saveexec_b64 s[12:13], s[4:5]
	s_cbranch_execz .LBB38_35
; %bb.32:
	v_subrev_u32_e32 v119, 35, v0
	s_movk_i32 s14, 0x258
	s_mov_b64 s[4:5], 0
.LBB38_33:                              ; =>This Inner Loop Header: Depth=1
	buffer_load_dword v120, v118, s[0:3], 0 offen
	buffer_load_dword v121, v118, s[0:3], 0 offen offset:4
	v_mov_b32_e32 v122, s14
	ds_read_b64 v[122:123], v122
	v_add_u32_e32 v119, -1, v119
	s_add_i32 s14, s14, 8
	v_cmp_eq_u32_e32 vcc, 0, v119
	v_add_u32_e32 v118, 8, v118
	s_or_b64 s[4:5], vcc, s[4:5]
	s_waitcnt vmcnt(0) lgkmcnt(0)
	v_fmac_f64_e32 v[80:81], v[120:121], v[122:123]
	s_andn2_b64 exec, exec, s[4:5]
	s_cbranch_execnz .LBB38_33
; %bb.34:
	s_or_b64 exec, exec, s[4:5]
.LBB38_35:
	s_or_b64 exec, exec, s[12:13]
	v_mov_b32_e32 v118, 0
	ds_read_b64 v[118:119], v118 offset:272
	s_waitcnt lgkmcnt(0)
	v_mul_f64 v[80:81], v[80:81], v[118:119]
	buffer_store_dword v81, off, s[0:3], 0 offset:276
	buffer_store_dword v80, off, s[0:3], 0 offset:272
.LBB38_36:
	;; [unrolled: 58-line block ×8, first 2 shown]
	s_or_b64 exec, exec, s[10:11]
	buffer_load_dword v80, off, s[0:3], 0 offset:216
	buffer_load_dword v81, off, s[0:3], 0 offset:220
	v_cmp_lt_u32_e64 s[4:5], 27, v0
	s_waitcnt vmcnt(0)
	ds_write_b64 v82, v[80:81]
	s_waitcnt lgkmcnt(0)
	; wave barrier
	s_waitcnt lgkmcnt(0)
	s_and_saveexec_b64 s[10:11], s[4:5]
	s_cbranch_execz .LBB38_106
; %bb.97:
	s_andn2_b64 vcc, exec, s[8:9]
	s_cbranch_vccnz .LBB38_99
; %bb.98:
	buffer_load_dword v80, v83, s[0:3], 0 offen
	buffer_load_dword v81, v83, s[0:3], 0 offen offset:4
	ds_read_b64 v[112:113], v82
	s_waitcnt vmcnt(0) lgkmcnt(0)
	v_mul_f64 v[80:81], v[80:81], v[112:113]
	s_cbranch_execz .LBB38_100
	s_branch .LBB38_101
.LBB38_99:
                                        ; implicit-def: $vgpr80_vgpr81
.LBB38_100:
	ds_read_b64 v[80:81], v82
.LBB38_101:
	s_and_saveexec_b64 s[12:13], s[6:7]
	s_cbranch_execz .LBB38_105
; %bb.102:
	v_subrev_u32_e32 v112, 28, v0
	s_movk_i32 s14, 0x220
	s_mov_b64 s[6:7], 0
.LBB38_103:                             ; =>This Inner Loop Header: Depth=1
	buffer_load_dword v114, v111, s[0:3], 0 offen
	buffer_load_dword v115, v111, s[0:3], 0 offen offset:4
	v_mov_b32_e32 v113, s14
	ds_read_b64 v[116:117], v113
	v_add_u32_e32 v112, -1, v112
	s_add_i32 s14, s14, 8
	v_cmp_eq_u32_e32 vcc, 0, v112
	v_add_u32_e32 v111, 8, v111
	s_or_b64 s[6:7], vcc, s[6:7]
	s_waitcnt vmcnt(0) lgkmcnt(0)
	v_fmac_f64_e32 v[80:81], v[114:115], v[116:117]
	s_andn2_b64 exec, exec, s[6:7]
	s_cbranch_execnz .LBB38_103
; %bb.104:
	s_or_b64 exec, exec, s[6:7]
.LBB38_105:
	s_or_b64 exec, exec, s[12:13]
	v_mov_b32_e32 v111, 0
	ds_read_b64 v[112:113], v111 offset:216
	s_waitcnt lgkmcnt(0)
	v_mul_f64 v[80:81], v[80:81], v[112:113]
	buffer_store_dword v81, off, s[0:3], 0 offset:220
	buffer_store_dword v80, off, s[0:3], 0 offset:216
.LBB38_106:
	s_or_b64 exec, exec, s[10:11]
	buffer_load_dword v80, off, s[0:3], 0 offset:208
	buffer_load_dword v81, off, s[0:3], 0 offset:212
	v_cmp_lt_u32_e64 s[6:7], 26, v0
	s_waitcnt vmcnt(0)
	ds_write_b64 v82, v[80:81]
	s_waitcnt lgkmcnt(0)
	; wave barrier
	s_waitcnt lgkmcnt(0)
	s_and_saveexec_b64 s[10:11], s[6:7]
	s_cbranch_execz .LBB38_116
; %bb.107:
	s_andn2_b64 vcc, exec, s[8:9]
	s_cbranch_vccnz .LBB38_109
; %bb.108:
	buffer_load_dword v80, v83, s[0:3], 0 offen
	buffer_load_dword v81, v83, s[0:3], 0 offen offset:4
	ds_read_b64 v[112:113], v82
	s_waitcnt vmcnt(0) lgkmcnt(0)
	v_mul_f64 v[80:81], v[80:81], v[112:113]
	s_cbranch_execz .LBB38_110
	s_branch .LBB38_111
.LBB38_109:
                                        ; implicit-def: $vgpr80_vgpr81
.LBB38_110:
	ds_read_b64 v[80:81], v82
.LBB38_111:
	s_and_saveexec_b64 s[12:13], s[4:5]
	s_cbranch_execz .LBB38_115
; %bb.112:
	v_subrev_u32_e32 v111, 27, v0
	s_movk_i32 s14, 0x218
	s_mov_b64 s[4:5], 0
.LBB38_113:                             ; =>This Inner Loop Header: Depth=1
	buffer_load_dword v112, v110, s[0:3], 0 offen
	buffer_load_dword v113, v110, s[0:3], 0 offen offset:4
	v_mov_b32_e32 v114, s14
	ds_read_b64 v[114:115], v114
	v_add_u32_e32 v111, -1, v111
	s_add_i32 s14, s14, 8
	v_cmp_eq_u32_e32 vcc, 0, v111
	v_add_u32_e32 v110, 8, v110
	s_or_b64 s[4:5], vcc, s[4:5]
	s_waitcnt vmcnt(0) lgkmcnt(0)
	v_fmac_f64_e32 v[80:81], v[112:113], v[114:115]
	s_andn2_b64 exec, exec, s[4:5]
	s_cbranch_execnz .LBB38_113
; %bb.114:
	s_or_b64 exec, exec, s[4:5]
.LBB38_115:
	s_or_b64 exec, exec, s[12:13]
	v_mov_b32_e32 v110, 0
	ds_read_b64 v[110:111], v110 offset:208
	s_waitcnt lgkmcnt(0)
	v_mul_f64 v[80:81], v[80:81], v[110:111]
	buffer_store_dword v81, off, s[0:3], 0 offset:212
	buffer_store_dword v80, off, s[0:3], 0 offset:208
.LBB38_116:
	;; [unrolled: 58-line block ×12, first 2 shown]
	s_or_b64 exec, exec, s[10:11]
	buffer_load_dword v80, off, s[0:3], 0 offset:120
	buffer_load_dword v81, off, s[0:3], 0 offset:124
	v_cmp_lt_u32_e64 s[4:5], 15, v0
	s_waitcnt vmcnt(0)
	ds_write_b64 v82, v[80:81]
	s_waitcnt lgkmcnt(0)
	; wave barrier
	s_waitcnt lgkmcnt(0)
	s_and_saveexec_b64 s[10:11], s[4:5]
	s_cbranch_execz .LBB38_226
; %bb.217:
	s_andn2_b64 vcc, exec, s[8:9]
	s_cbranch_vccnz .LBB38_219
; %bb.218:
	buffer_load_dword v80, v83, s[0:3], 0 offen
	buffer_load_dword v81, v83, s[0:3], 0 offen offset:4
	ds_read_b64 v[100:101], v82
	s_waitcnt vmcnt(0) lgkmcnt(0)
	v_mul_f64 v[80:81], v[80:81], v[100:101]
	s_cbranch_execz .LBB38_220
	s_branch .LBB38_221
.LBB38_219:
                                        ; implicit-def: $vgpr80_vgpr81
.LBB38_220:
	ds_read_b64 v[80:81], v82
.LBB38_221:
	s_and_saveexec_b64 s[12:13], s[6:7]
	s_cbranch_execz .LBB38_225
; %bb.222:
	v_add_u32_e32 v100, -16, v0
	s_movk_i32 s14, 0x1c0
	s_mov_b64 s[6:7], 0
.LBB38_223:                             ; =>This Inner Loop Header: Depth=1
	buffer_load_dword v102, v99, s[0:3], 0 offen
	buffer_load_dword v103, v99, s[0:3], 0 offen offset:4
	v_mov_b32_e32 v101, s14
	ds_read_b64 v[104:105], v101
	v_add_u32_e32 v100, -1, v100
	s_add_i32 s14, s14, 8
	v_cmp_eq_u32_e32 vcc, 0, v100
	v_add_u32_e32 v99, 8, v99
	s_or_b64 s[6:7], vcc, s[6:7]
	s_waitcnt vmcnt(0) lgkmcnt(0)
	v_fmac_f64_e32 v[80:81], v[102:103], v[104:105]
	s_andn2_b64 exec, exec, s[6:7]
	s_cbranch_execnz .LBB38_223
; %bb.224:
	s_or_b64 exec, exec, s[6:7]
.LBB38_225:
	s_or_b64 exec, exec, s[12:13]
	v_mov_b32_e32 v99, 0
	ds_read_b64 v[100:101], v99 offset:120
	s_waitcnt lgkmcnt(0)
	v_mul_f64 v[80:81], v[80:81], v[100:101]
	buffer_store_dword v81, off, s[0:3], 0 offset:124
	buffer_store_dword v80, off, s[0:3], 0 offset:120
.LBB38_226:
	s_or_b64 exec, exec, s[10:11]
	buffer_load_dword v80, off, s[0:3], 0 offset:112
	buffer_load_dword v81, off, s[0:3], 0 offset:116
	v_cmp_lt_u32_e64 s[6:7], 14, v0
	s_waitcnt vmcnt(0)
	ds_write_b64 v82, v[80:81]
	s_waitcnt lgkmcnt(0)
	; wave barrier
	s_waitcnt lgkmcnt(0)
	s_and_saveexec_b64 s[10:11], s[6:7]
	s_cbranch_execz .LBB38_236
; %bb.227:
	s_andn2_b64 vcc, exec, s[8:9]
	s_cbranch_vccnz .LBB38_229
; %bb.228:
	buffer_load_dword v80, v83, s[0:3], 0 offen
	buffer_load_dword v81, v83, s[0:3], 0 offen offset:4
	ds_read_b64 v[100:101], v82
	s_waitcnt vmcnt(0) lgkmcnt(0)
	v_mul_f64 v[80:81], v[80:81], v[100:101]
	s_cbranch_execz .LBB38_230
	s_branch .LBB38_231
.LBB38_229:
                                        ; implicit-def: $vgpr80_vgpr81
.LBB38_230:
	ds_read_b64 v[80:81], v82
.LBB38_231:
	s_and_saveexec_b64 s[12:13], s[4:5]
	s_cbranch_execz .LBB38_235
; %bb.232:
	v_add_u32_e32 v99, -15, v0
	s_movk_i32 s14, 0x1b8
	s_mov_b64 s[4:5], 0
.LBB38_233:                             ; =>This Inner Loop Header: Depth=1
	buffer_load_dword v100, v98, s[0:3], 0 offen
	buffer_load_dword v101, v98, s[0:3], 0 offen offset:4
	v_mov_b32_e32 v102, s14
	ds_read_b64 v[102:103], v102
	v_add_u32_e32 v99, -1, v99
	s_add_i32 s14, s14, 8
	v_cmp_eq_u32_e32 vcc, 0, v99
	v_add_u32_e32 v98, 8, v98
	s_or_b64 s[4:5], vcc, s[4:5]
	s_waitcnt vmcnt(0) lgkmcnt(0)
	v_fmac_f64_e32 v[80:81], v[100:101], v[102:103]
	s_andn2_b64 exec, exec, s[4:5]
	s_cbranch_execnz .LBB38_233
; %bb.234:
	s_or_b64 exec, exec, s[4:5]
.LBB38_235:
	s_or_b64 exec, exec, s[12:13]
	v_mov_b32_e32 v98, 0
	ds_read_b64 v[98:99], v98 offset:112
	s_waitcnt lgkmcnt(0)
	v_mul_f64 v[80:81], v[80:81], v[98:99]
	buffer_store_dword v81, off, s[0:3], 0 offset:116
	buffer_store_dword v80, off, s[0:3], 0 offset:112
.LBB38_236:
	;; [unrolled: 58-line block ×15, first 2 shown]
	s_or_b64 exec, exec, s[10:11]
	buffer_load_dword v80, off, s[0:3], 0
	buffer_load_dword v81, off, s[0:3], 0 offset:4
	v_cmp_ne_u32_e32 vcc, 0, v0
	s_waitcnt vmcnt(0)
	ds_write_b64 v82, v[80:81]
	s_waitcnt lgkmcnt(0)
	; wave barrier
	s_waitcnt lgkmcnt(0)
	s_and_saveexec_b64 s[6:7], vcc
	s_cbranch_execz .LBB38_376
; %bb.367:
	s_andn2_b64 vcc, exec, s[8:9]
	s_cbranch_vccnz .LBB38_369
; %bb.368:
	buffer_load_dword v80, v83, s[0:3], 0 offen
	buffer_load_dword v81, v83, s[0:3], 0 offen offset:4
	ds_read_b64 v[86:87], v82
	s_waitcnt vmcnt(0) lgkmcnt(0)
	v_mul_f64 v[80:81], v[80:81], v[86:87]
	s_cbranch_execz .LBB38_370
	s_branch .LBB38_371
.LBB38_369:
                                        ; implicit-def: $vgpr80_vgpr81
.LBB38_370:
	ds_read_b64 v[80:81], v82
.LBB38_371:
	s_and_saveexec_b64 s[10:11], s[4:5]
	s_cbranch_execz .LBB38_375
; %bb.372:
	v_add_u32_e32 v85, -1, v0
	s_movk_i32 s12, 0x148
	s_mov_b64 s[4:5], 0
.LBB38_373:                             ; =>This Inner Loop Header: Depth=1
	buffer_load_dword v86, v84, s[0:3], 0 offen
	buffer_load_dword v87, v84, s[0:3], 0 offen offset:4
	v_mov_b32_e32 v88, s12
	ds_read_b64 v[88:89], v88
	v_add_u32_e32 v85, -1, v85
	s_add_i32 s12, s12, 8
	v_cmp_eq_u32_e32 vcc, 0, v85
	v_add_u32_e32 v84, 8, v84
	s_or_b64 s[4:5], vcc, s[4:5]
	s_waitcnt vmcnt(0) lgkmcnt(0)
	v_fmac_f64_e32 v[80:81], v[86:87], v[88:89]
	s_andn2_b64 exec, exec, s[4:5]
	s_cbranch_execnz .LBB38_373
; %bb.374:
	s_or_b64 exec, exec, s[4:5]
.LBB38_375:
	s_or_b64 exec, exec, s[10:11]
	v_mov_b32_e32 v84, 0
	ds_read_b64 v[84:85], v84
	s_waitcnt lgkmcnt(0)
	v_mul_f64 v[80:81], v[80:81], v[84:85]
	buffer_store_dword v81, off, s[0:3], 0 offset:4
	buffer_store_dword v80, off, s[0:3], 0
.LBB38_376:
	s_or_b64 exec, exec, s[6:7]
	s_mov_b64 s[4:5], 0
.LBB38_377:
	s_and_b64 vcc, exec, s[4:5]
	s_cbranch_vccz .LBB38_751
; %bb.378:
	buffer_load_dword v80, off, s[0:3], 0 offset:8
	buffer_load_dword v81, off, s[0:3], 0 offset:12
	v_cmp_eq_u32_e64 s[6:7], 0, v0
	s_waitcnt vmcnt(0)
	ds_write_b64 v82, v[80:81]
	s_waitcnt lgkmcnt(0)
	; wave barrier
	s_waitcnt lgkmcnt(0)
	s_and_saveexec_b64 s[4:5], s[6:7]
	s_cbranch_execz .LBB38_384
; %bb.379:
	s_and_b64 vcc, exec, s[8:9]
	s_cbranch_vccz .LBB38_381
; %bb.380:
	buffer_load_dword v80, v83, s[0:3], 0 offen
	buffer_load_dword v81, v83, s[0:3], 0 offen offset:4
	ds_read_b64 v[84:85], v82
	s_waitcnt vmcnt(0) lgkmcnt(0)
	v_mul_f64 v[80:81], v[80:81], v[84:85]
	s_cbranch_execz .LBB38_382
	s_branch .LBB38_383
.LBB38_381:
                                        ; implicit-def: $vgpr80_vgpr81
.LBB38_382:
	ds_read_b64 v[80:81], v82
.LBB38_383:
	v_mov_b32_e32 v84, 0
	ds_read_b64 v[84:85], v84 offset:8
	s_waitcnt lgkmcnt(0)
	v_mul_f64 v[80:81], v[80:81], v[84:85]
	buffer_store_dword v81, off, s[0:3], 0 offset:12
	buffer_store_dword v80, off, s[0:3], 0 offset:8
.LBB38_384:
	s_or_b64 exec, exec, s[4:5]
	buffer_load_dword v80, off, s[0:3], 0 offset:16
	buffer_load_dword v81, off, s[0:3], 0 offset:20
	v_cndmask_b32_e64 v84, 0, 1, s[8:9]
	v_cmp_gt_u32_e32 vcc, 2, v0
	v_cmp_ne_u32_e64 s[4:5], 1, v84
	s_waitcnt vmcnt(0)
	ds_write_b64 v82, v[80:81]
	s_waitcnt lgkmcnt(0)
	; wave barrier
	s_waitcnt lgkmcnt(0)
	s_and_saveexec_b64 s[8:9], vcc
	s_cbranch_execz .LBB38_392
; %bb.385:
	s_and_b64 vcc, exec, s[4:5]
	s_cbranch_vccnz .LBB38_387
; %bb.386:
	buffer_load_dword v80, v83, s[0:3], 0 offen
	buffer_load_dword v81, v83, s[0:3], 0 offen offset:4
	ds_read_b64 v[84:85], v82
	s_waitcnt vmcnt(0) lgkmcnt(0)
	v_mul_f64 v[80:81], v[80:81], v[84:85]
	s_cbranch_execz .LBB38_388
	s_branch .LBB38_389
.LBB38_387:
                                        ; implicit-def: $vgpr80_vgpr81
.LBB38_388:
	ds_read_b64 v[80:81], v82
.LBB38_389:
	s_and_saveexec_b64 s[10:11], s[6:7]
	s_cbranch_execz .LBB38_391
; %bb.390:
	buffer_load_dword v84, v83, s[0:3], 0 offen offset:8
	buffer_load_dword v85, v83, s[0:3], 0 offen offset:12
	ds_read_b64 v[86:87], v82 offset:8
	s_waitcnt vmcnt(0) lgkmcnt(0)
	v_fmac_f64_e32 v[80:81], v[84:85], v[86:87]
.LBB38_391:
	s_or_b64 exec, exec, s[10:11]
	v_mov_b32_e32 v84, 0
	ds_read_b64 v[84:85], v84 offset:16
	s_waitcnt lgkmcnt(0)
	v_mul_f64 v[80:81], v[80:81], v[84:85]
	buffer_store_dword v81, off, s[0:3], 0 offset:20
	buffer_store_dword v80, off, s[0:3], 0 offset:16
.LBB38_392:
	s_or_b64 exec, exec, s[8:9]
	buffer_load_dword v80, off, s[0:3], 0 offset:24
	buffer_load_dword v81, off, s[0:3], 0 offset:28
	v_cmp_gt_u32_e32 vcc, 3, v0
	s_waitcnt vmcnt(0)
	ds_write_b64 v82, v[80:81]
	s_waitcnt lgkmcnt(0)
	; wave barrier
	s_waitcnt lgkmcnt(0)
	s_and_saveexec_b64 s[8:9], vcc
	s_cbranch_execz .LBB38_400
; %bb.393:
	s_and_b64 vcc, exec, s[4:5]
	s_cbranch_vccnz .LBB38_395
; %bb.394:
	buffer_load_dword v80, v83, s[0:3], 0 offen
	buffer_load_dword v81, v83, s[0:3], 0 offen offset:4
	ds_read_b64 v[84:85], v82
	s_waitcnt vmcnt(0) lgkmcnt(0)
	v_mul_f64 v[80:81], v[80:81], v[84:85]
	s_cbranch_execz .LBB38_396
	s_branch .LBB38_397
.LBB38_395:
                                        ; implicit-def: $vgpr80_vgpr81
.LBB38_396:
	ds_read_b64 v[80:81], v82
.LBB38_397:
	v_cmp_ne_u32_e32 vcc, 2, v0
	s_and_saveexec_b64 s[10:11], vcc
	s_cbranch_execz .LBB38_399
; %bb.398:
	buffer_load_dword v85, v83, s[0:3], 0 offen offset:12
	buffer_load_dword v86, off, s[0:3], 0 offset:16
	buffer_load_dword v84, v83, s[0:3], 0 offen offset:8
	buffer_load_dword v87, off, s[0:3], 0 offset:20
	v_mov_b32_e32 v90, 0
	ds_read_b64 v[88:89], v82 offset:8
	ds_read_b64 v[90:91], v90 offset:336
	s_waitcnt vmcnt(1) lgkmcnt(1)
	v_fmac_f64_e32 v[80:81], v[84:85], v[88:89]
	s_waitcnt vmcnt(0) lgkmcnt(0)
	v_fma_f64 v[84:85], v[86:87], v[90:91], v[80:81]
	v_cndmask_b32_e64 v81, v81, v85, s[6:7]
	v_cndmask_b32_e64 v80, v80, v84, s[6:7]
.LBB38_399:
	s_or_b64 exec, exec, s[10:11]
	v_mov_b32_e32 v84, 0
	ds_read_b64 v[84:85], v84 offset:24
	s_waitcnt lgkmcnt(0)
	v_mul_f64 v[80:81], v[80:81], v[84:85]
	buffer_store_dword v81, off, s[0:3], 0 offset:28
	buffer_store_dword v80, off, s[0:3], 0 offset:24
.LBB38_400:
	s_or_b64 exec, exec, s[8:9]
	buffer_load_dword v80, off, s[0:3], 0 offset:32
	buffer_load_dword v81, off, s[0:3], 0 offset:36
	v_cmp_gt_u32_e32 vcc, 4, v0
	s_waitcnt vmcnt(0)
	ds_write_b64 v82, v[80:81]
	s_waitcnt lgkmcnt(0)
	; wave barrier
	s_waitcnt lgkmcnt(0)
	s_and_saveexec_b64 s[6:7], vcc
	s_cbranch_execz .LBB38_410
; %bb.401:
	s_and_b64 vcc, exec, s[4:5]
	s_cbranch_vccnz .LBB38_403
; %bb.402:
	buffer_load_dword v80, v83, s[0:3], 0 offen
	buffer_load_dword v81, v83, s[0:3], 0 offen offset:4
	ds_read_b64 v[84:85], v82
	s_waitcnt vmcnt(0) lgkmcnt(0)
	v_mul_f64 v[80:81], v[80:81], v[84:85]
	s_cbranch_execz .LBB38_404
	s_branch .LBB38_405
.LBB38_403:
                                        ; implicit-def: $vgpr80_vgpr81
.LBB38_404:
	ds_read_b64 v[80:81], v82
.LBB38_405:
	v_cmp_ne_u32_e32 vcc, 3, v0
	s_and_saveexec_b64 s[8:9], vcc
	s_cbranch_execz .LBB38_409
; %bb.406:
	v_mov_b32_e32 v85, 0
	v_add_u32_e32 v84, 0x148, v1
	v_add3_u32 v85, v1, v85, 8
	s_mov_b64 s[10:11], 0
	v_mov_b32_e32 v86, v0
.LBB38_407:                             ; =>This Inner Loop Header: Depth=1
	buffer_load_dword v88, v85, s[0:3], 0 offen
	buffer_load_dword v89, v85, s[0:3], 0 offen offset:4
	ds_read_b64 v[90:91], v84
	v_add_u32_e32 v86, 1, v86
	v_cmp_lt_u32_e32 vcc, 2, v86
	v_add_u32_e32 v84, 8, v84
	v_add_u32_e32 v85, 8, v85
	s_or_b64 s[10:11], vcc, s[10:11]
	s_waitcnt vmcnt(0) lgkmcnt(0)
	v_fmac_f64_e32 v[80:81], v[88:89], v[90:91]
	s_andn2_b64 exec, exec, s[10:11]
	s_cbranch_execnz .LBB38_407
; %bb.408:
	s_or_b64 exec, exec, s[10:11]
.LBB38_409:
	s_or_b64 exec, exec, s[8:9]
	v_mov_b32_e32 v84, 0
	ds_read_b64 v[84:85], v84 offset:32
	s_waitcnt lgkmcnt(0)
	v_mul_f64 v[80:81], v[80:81], v[84:85]
	buffer_store_dword v81, off, s[0:3], 0 offset:36
	buffer_store_dword v80, off, s[0:3], 0 offset:32
.LBB38_410:
	s_or_b64 exec, exec, s[6:7]
	buffer_load_dword v80, off, s[0:3], 0 offset:40
	buffer_load_dword v81, off, s[0:3], 0 offset:44
	v_cmp_gt_u32_e32 vcc, 5, v0
	s_waitcnt vmcnt(0)
	ds_write_b64 v82, v[80:81]
	s_waitcnt lgkmcnt(0)
	; wave barrier
	s_waitcnt lgkmcnt(0)
	s_and_saveexec_b64 s[6:7], vcc
	s_cbranch_execz .LBB38_420
; %bb.411:
	s_and_b64 vcc, exec, s[4:5]
	s_cbranch_vccnz .LBB38_413
; %bb.412:
	buffer_load_dword v80, v83, s[0:3], 0 offen
	buffer_load_dword v81, v83, s[0:3], 0 offen offset:4
	ds_read_b64 v[84:85], v82
	s_waitcnt vmcnt(0) lgkmcnt(0)
	v_mul_f64 v[80:81], v[80:81], v[84:85]
	s_cbranch_execz .LBB38_414
	s_branch .LBB38_415
.LBB38_413:
                                        ; implicit-def: $vgpr80_vgpr81
.LBB38_414:
	ds_read_b64 v[80:81], v82
.LBB38_415:
	v_cmp_ne_u32_e32 vcc, 4, v0
	s_and_saveexec_b64 s[8:9], vcc
	s_cbranch_execz .LBB38_419
; %bb.416:
	v_mov_b32_e32 v85, 0
	v_add_u32_e32 v84, 0x148, v1
	v_add3_u32 v85, v1, v85, 8
	s_mov_b64 s[10:11], 0
	v_mov_b32_e32 v86, v0
.LBB38_417:                             ; =>This Inner Loop Header: Depth=1
	buffer_load_dword v88, v85, s[0:3], 0 offen
	buffer_load_dword v89, v85, s[0:3], 0 offen offset:4
	ds_read_b64 v[90:91], v84
	v_add_u32_e32 v86, 1, v86
	v_cmp_lt_u32_e32 vcc, 3, v86
	v_add_u32_e32 v84, 8, v84
	v_add_u32_e32 v85, 8, v85
	s_or_b64 s[10:11], vcc, s[10:11]
	s_waitcnt vmcnt(0) lgkmcnt(0)
	v_fmac_f64_e32 v[80:81], v[88:89], v[90:91]
	s_andn2_b64 exec, exec, s[10:11]
	s_cbranch_execnz .LBB38_417
; %bb.418:
	s_or_b64 exec, exec, s[10:11]
.LBB38_419:
	s_or_b64 exec, exec, s[8:9]
	v_mov_b32_e32 v84, 0
	ds_read_b64 v[84:85], v84 offset:40
	s_waitcnt lgkmcnt(0)
	v_mul_f64 v[80:81], v[80:81], v[84:85]
	buffer_store_dword v81, off, s[0:3], 0 offset:44
	buffer_store_dword v80, off, s[0:3], 0 offset:40
.LBB38_420:
	s_or_b64 exec, exec, s[6:7]
	buffer_load_dword v80, off, s[0:3], 0 offset:48
	buffer_load_dword v81, off, s[0:3], 0 offset:52
	v_cmp_gt_u32_e32 vcc, 6, v0
	s_waitcnt vmcnt(0)
	ds_write_b64 v82, v[80:81]
	s_waitcnt lgkmcnt(0)
	; wave barrier
	s_waitcnt lgkmcnt(0)
	s_and_saveexec_b64 s[6:7], vcc
	s_cbranch_execz .LBB38_430
; %bb.421:
	s_and_b64 vcc, exec, s[4:5]
	s_cbranch_vccnz .LBB38_423
; %bb.422:
	buffer_load_dword v80, v83, s[0:3], 0 offen
	buffer_load_dword v81, v83, s[0:3], 0 offen offset:4
	ds_read_b64 v[84:85], v82
	s_waitcnt vmcnt(0) lgkmcnt(0)
	v_mul_f64 v[80:81], v[80:81], v[84:85]
	s_cbranch_execz .LBB38_424
	s_branch .LBB38_425
.LBB38_423:
                                        ; implicit-def: $vgpr80_vgpr81
.LBB38_424:
	ds_read_b64 v[80:81], v82
.LBB38_425:
	v_cmp_ne_u32_e32 vcc, 5, v0
	s_and_saveexec_b64 s[8:9], vcc
	s_cbranch_execz .LBB38_429
; %bb.426:
	v_mov_b32_e32 v85, 0
	v_add_u32_e32 v84, 0x148, v1
	v_add3_u32 v85, v1, v85, 8
	s_mov_b64 s[10:11], 0
	v_mov_b32_e32 v86, v0
.LBB38_427:                             ; =>This Inner Loop Header: Depth=1
	buffer_load_dword v88, v85, s[0:3], 0 offen
	buffer_load_dword v89, v85, s[0:3], 0 offen offset:4
	ds_read_b64 v[90:91], v84
	v_add_u32_e32 v86, 1, v86
	v_cmp_lt_u32_e32 vcc, 4, v86
	v_add_u32_e32 v84, 8, v84
	v_add_u32_e32 v85, 8, v85
	s_or_b64 s[10:11], vcc, s[10:11]
	s_waitcnt vmcnt(0) lgkmcnt(0)
	v_fmac_f64_e32 v[80:81], v[88:89], v[90:91]
	s_andn2_b64 exec, exec, s[10:11]
	s_cbranch_execnz .LBB38_427
; %bb.428:
	s_or_b64 exec, exec, s[10:11]
.LBB38_429:
	s_or_b64 exec, exec, s[8:9]
	v_mov_b32_e32 v84, 0
	ds_read_b64 v[84:85], v84 offset:48
	s_waitcnt lgkmcnt(0)
	v_mul_f64 v[80:81], v[80:81], v[84:85]
	buffer_store_dword v81, off, s[0:3], 0 offset:52
	buffer_store_dword v80, off, s[0:3], 0 offset:48
.LBB38_430:
	s_or_b64 exec, exec, s[6:7]
	buffer_load_dword v80, off, s[0:3], 0 offset:56
	buffer_load_dword v81, off, s[0:3], 0 offset:60
	v_cmp_gt_u32_e32 vcc, 7, v0
	s_waitcnt vmcnt(0)
	ds_write_b64 v82, v[80:81]
	s_waitcnt lgkmcnt(0)
	; wave barrier
	s_waitcnt lgkmcnt(0)
	s_and_saveexec_b64 s[6:7], vcc
	s_cbranch_execz .LBB38_440
; %bb.431:
	s_and_b64 vcc, exec, s[4:5]
	s_cbranch_vccnz .LBB38_433
; %bb.432:
	buffer_load_dword v80, v83, s[0:3], 0 offen
	buffer_load_dword v81, v83, s[0:3], 0 offen offset:4
	ds_read_b64 v[84:85], v82
	s_waitcnt vmcnt(0) lgkmcnt(0)
	v_mul_f64 v[80:81], v[80:81], v[84:85]
	s_cbranch_execz .LBB38_434
	s_branch .LBB38_435
.LBB38_433:
                                        ; implicit-def: $vgpr80_vgpr81
.LBB38_434:
	ds_read_b64 v[80:81], v82
.LBB38_435:
	v_cmp_ne_u32_e32 vcc, 6, v0
	s_and_saveexec_b64 s[8:9], vcc
	s_cbranch_execz .LBB38_439
; %bb.436:
	v_mov_b32_e32 v85, 0
	v_add_u32_e32 v84, 0x148, v1
	v_add3_u32 v85, v1, v85, 8
	s_mov_b64 s[10:11], 0
	v_mov_b32_e32 v86, v0
.LBB38_437:                             ; =>This Inner Loop Header: Depth=1
	buffer_load_dword v88, v85, s[0:3], 0 offen
	buffer_load_dword v89, v85, s[0:3], 0 offen offset:4
	ds_read_b64 v[90:91], v84
	v_add_u32_e32 v86, 1, v86
	v_cmp_lt_u32_e32 vcc, 5, v86
	v_add_u32_e32 v84, 8, v84
	v_add_u32_e32 v85, 8, v85
	s_or_b64 s[10:11], vcc, s[10:11]
	s_waitcnt vmcnt(0) lgkmcnt(0)
	v_fmac_f64_e32 v[80:81], v[88:89], v[90:91]
	s_andn2_b64 exec, exec, s[10:11]
	s_cbranch_execnz .LBB38_437
; %bb.438:
	s_or_b64 exec, exec, s[10:11]
.LBB38_439:
	s_or_b64 exec, exec, s[8:9]
	v_mov_b32_e32 v84, 0
	ds_read_b64 v[84:85], v84 offset:56
	s_waitcnt lgkmcnt(0)
	v_mul_f64 v[80:81], v[80:81], v[84:85]
	buffer_store_dword v81, off, s[0:3], 0 offset:60
	buffer_store_dword v80, off, s[0:3], 0 offset:56
.LBB38_440:
	s_or_b64 exec, exec, s[6:7]
	buffer_load_dword v80, off, s[0:3], 0 offset:64
	buffer_load_dword v81, off, s[0:3], 0 offset:68
	v_cmp_gt_u32_e32 vcc, 8, v0
	s_waitcnt vmcnt(0)
	ds_write_b64 v82, v[80:81]
	s_waitcnt lgkmcnt(0)
	; wave barrier
	s_waitcnt lgkmcnt(0)
	s_and_saveexec_b64 s[6:7], vcc
	s_cbranch_execz .LBB38_450
; %bb.441:
	s_and_b64 vcc, exec, s[4:5]
	s_cbranch_vccnz .LBB38_443
; %bb.442:
	buffer_load_dword v80, v83, s[0:3], 0 offen
	buffer_load_dword v81, v83, s[0:3], 0 offen offset:4
	ds_read_b64 v[84:85], v82
	s_waitcnt vmcnt(0) lgkmcnt(0)
	v_mul_f64 v[80:81], v[80:81], v[84:85]
	s_cbranch_execz .LBB38_444
	s_branch .LBB38_445
.LBB38_443:
                                        ; implicit-def: $vgpr80_vgpr81
.LBB38_444:
	ds_read_b64 v[80:81], v82
.LBB38_445:
	v_cmp_ne_u32_e32 vcc, 7, v0
	s_and_saveexec_b64 s[8:9], vcc
	s_cbranch_execz .LBB38_449
; %bb.446:
	v_mov_b32_e32 v85, 0
	v_add_u32_e32 v84, 0x148, v1
	v_add3_u32 v85, v1, v85, 8
	s_mov_b64 s[10:11], 0
	v_mov_b32_e32 v86, v0
.LBB38_447:                             ; =>This Inner Loop Header: Depth=1
	buffer_load_dword v88, v85, s[0:3], 0 offen
	buffer_load_dword v89, v85, s[0:3], 0 offen offset:4
	ds_read_b64 v[90:91], v84
	v_add_u32_e32 v86, 1, v86
	v_cmp_lt_u32_e32 vcc, 6, v86
	v_add_u32_e32 v84, 8, v84
	v_add_u32_e32 v85, 8, v85
	s_or_b64 s[10:11], vcc, s[10:11]
	s_waitcnt vmcnt(0) lgkmcnt(0)
	v_fmac_f64_e32 v[80:81], v[88:89], v[90:91]
	s_andn2_b64 exec, exec, s[10:11]
	s_cbranch_execnz .LBB38_447
; %bb.448:
	s_or_b64 exec, exec, s[10:11]
.LBB38_449:
	s_or_b64 exec, exec, s[8:9]
	v_mov_b32_e32 v84, 0
	ds_read_b64 v[84:85], v84 offset:64
	s_waitcnt lgkmcnt(0)
	v_mul_f64 v[80:81], v[80:81], v[84:85]
	buffer_store_dword v81, off, s[0:3], 0 offset:68
	buffer_store_dword v80, off, s[0:3], 0 offset:64
.LBB38_450:
	s_or_b64 exec, exec, s[6:7]
	buffer_load_dword v80, off, s[0:3], 0 offset:72
	buffer_load_dword v81, off, s[0:3], 0 offset:76
	v_cmp_gt_u32_e32 vcc, 9, v0
	s_waitcnt vmcnt(0)
	ds_write_b64 v82, v[80:81]
	s_waitcnt lgkmcnt(0)
	; wave barrier
	s_waitcnt lgkmcnt(0)
	s_and_saveexec_b64 s[6:7], vcc
	s_cbranch_execz .LBB38_460
; %bb.451:
	s_and_b64 vcc, exec, s[4:5]
	s_cbranch_vccnz .LBB38_453
; %bb.452:
	buffer_load_dword v80, v83, s[0:3], 0 offen
	buffer_load_dword v81, v83, s[0:3], 0 offen offset:4
	ds_read_b64 v[84:85], v82
	s_waitcnt vmcnt(0) lgkmcnt(0)
	v_mul_f64 v[80:81], v[80:81], v[84:85]
	s_cbranch_execz .LBB38_454
	s_branch .LBB38_455
.LBB38_453:
                                        ; implicit-def: $vgpr80_vgpr81
.LBB38_454:
	ds_read_b64 v[80:81], v82
.LBB38_455:
	v_cmp_ne_u32_e32 vcc, 8, v0
	s_and_saveexec_b64 s[8:9], vcc
	s_cbranch_execz .LBB38_459
; %bb.456:
	v_mov_b32_e32 v85, 0
	v_add_u32_e32 v84, 0x148, v1
	v_add3_u32 v85, v1, v85, 8
	s_mov_b64 s[10:11], 0
	v_mov_b32_e32 v86, v0
.LBB38_457:                             ; =>This Inner Loop Header: Depth=1
	buffer_load_dword v88, v85, s[0:3], 0 offen
	buffer_load_dword v89, v85, s[0:3], 0 offen offset:4
	ds_read_b64 v[90:91], v84
	v_add_u32_e32 v86, 1, v86
	v_cmp_lt_u32_e32 vcc, 7, v86
	v_add_u32_e32 v84, 8, v84
	v_add_u32_e32 v85, 8, v85
	s_or_b64 s[10:11], vcc, s[10:11]
	s_waitcnt vmcnt(0) lgkmcnt(0)
	v_fmac_f64_e32 v[80:81], v[88:89], v[90:91]
	s_andn2_b64 exec, exec, s[10:11]
	s_cbranch_execnz .LBB38_457
; %bb.458:
	s_or_b64 exec, exec, s[10:11]
.LBB38_459:
	s_or_b64 exec, exec, s[8:9]
	v_mov_b32_e32 v84, 0
	ds_read_b64 v[84:85], v84 offset:72
	s_waitcnt lgkmcnt(0)
	v_mul_f64 v[80:81], v[80:81], v[84:85]
	buffer_store_dword v81, off, s[0:3], 0 offset:76
	buffer_store_dword v80, off, s[0:3], 0 offset:72
.LBB38_460:
	s_or_b64 exec, exec, s[6:7]
	buffer_load_dword v80, off, s[0:3], 0 offset:80
	buffer_load_dword v81, off, s[0:3], 0 offset:84
	v_cmp_gt_u32_e32 vcc, 10, v0
	s_waitcnt vmcnt(0)
	ds_write_b64 v82, v[80:81]
	s_waitcnt lgkmcnt(0)
	; wave barrier
	s_waitcnt lgkmcnt(0)
	s_and_saveexec_b64 s[6:7], vcc
	s_cbranch_execz .LBB38_470
; %bb.461:
	s_and_b64 vcc, exec, s[4:5]
	s_cbranch_vccnz .LBB38_463
; %bb.462:
	buffer_load_dword v80, v83, s[0:3], 0 offen
	buffer_load_dword v81, v83, s[0:3], 0 offen offset:4
	ds_read_b64 v[84:85], v82
	s_waitcnt vmcnt(0) lgkmcnt(0)
	v_mul_f64 v[80:81], v[80:81], v[84:85]
	s_cbranch_execz .LBB38_464
	s_branch .LBB38_465
.LBB38_463:
                                        ; implicit-def: $vgpr80_vgpr81
.LBB38_464:
	ds_read_b64 v[80:81], v82
.LBB38_465:
	v_cmp_ne_u32_e32 vcc, 9, v0
	s_and_saveexec_b64 s[8:9], vcc
	s_cbranch_execz .LBB38_469
; %bb.466:
	v_mov_b32_e32 v85, 0
	v_add_u32_e32 v84, 0x148, v1
	v_add3_u32 v85, v1, v85, 8
	s_mov_b64 s[10:11], 0
	v_mov_b32_e32 v86, v0
.LBB38_467:                             ; =>This Inner Loop Header: Depth=1
	buffer_load_dword v88, v85, s[0:3], 0 offen
	buffer_load_dword v89, v85, s[0:3], 0 offen offset:4
	ds_read_b64 v[90:91], v84
	v_add_u32_e32 v86, 1, v86
	v_cmp_lt_u32_e32 vcc, 8, v86
	v_add_u32_e32 v84, 8, v84
	v_add_u32_e32 v85, 8, v85
	s_or_b64 s[10:11], vcc, s[10:11]
	s_waitcnt vmcnt(0) lgkmcnt(0)
	v_fmac_f64_e32 v[80:81], v[88:89], v[90:91]
	s_andn2_b64 exec, exec, s[10:11]
	s_cbranch_execnz .LBB38_467
; %bb.468:
	s_or_b64 exec, exec, s[10:11]
.LBB38_469:
	s_or_b64 exec, exec, s[8:9]
	v_mov_b32_e32 v84, 0
	ds_read_b64 v[84:85], v84 offset:80
	s_waitcnt lgkmcnt(0)
	v_mul_f64 v[80:81], v[80:81], v[84:85]
	buffer_store_dword v81, off, s[0:3], 0 offset:84
	buffer_store_dword v80, off, s[0:3], 0 offset:80
.LBB38_470:
	s_or_b64 exec, exec, s[6:7]
	buffer_load_dword v80, off, s[0:3], 0 offset:88
	buffer_load_dword v81, off, s[0:3], 0 offset:92
	v_cmp_gt_u32_e32 vcc, 11, v0
	s_waitcnt vmcnt(0)
	ds_write_b64 v82, v[80:81]
	s_waitcnt lgkmcnt(0)
	; wave barrier
	s_waitcnt lgkmcnt(0)
	s_and_saveexec_b64 s[6:7], vcc
	s_cbranch_execz .LBB38_480
; %bb.471:
	s_and_b64 vcc, exec, s[4:5]
	s_cbranch_vccnz .LBB38_473
; %bb.472:
	buffer_load_dword v80, v83, s[0:3], 0 offen
	buffer_load_dword v81, v83, s[0:3], 0 offen offset:4
	ds_read_b64 v[84:85], v82
	s_waitcnt vmcnt(0) lgkmcnt(0)
	v_mul_f64 v[80:81], v[80:81], v[84:85]
	s_cbranch_execz .LBB38_474
	s_branch .LBB38_475
.LBB38_473:
                                        ; implicit-def: $vgpr80_vgpr81
.LBB38_474:
	ds_read_b64 v[80:81], v82
.LBB38_475:
	v_cmp_ne_u32_e32 vcc, 10, v0
	s_and_saveexec_b64 s[8:9], vcc
	s_cbranch_execz .LBB38_479
; %bb.476:
	v_mov_b32_e32 v85, 0
	v_add_u32_e32 v84, 0x148, v1
	v_add3_u32 v85, v1, v85, 8
	s_mov_b64 s[10:11], 0
	v_mov_b32_e32 v86, v0
.LBB38_477:                             ; =>This Inner Loop Header: Depth=1
	buffer_load_dword v88, v85, s[0:3], 0 offen
	buffer_load_dword v89, v85, s[0:3], 0 offen offset:4
	ds_read_b64 v[90:91], v84
	v_add_u32_e32 v86, 1, v86
	v_cmp_lt_u32_e32 vcc, 9, v86
	v_add_u32_e32 v84, 8, v84
	v_add_u32_e32 v85, 8, v85
	s_or_b64 s[10:11], vcc, s[10:11]
	s_waitcnt vmcnt(0) lgkmcnt(0)
	v_fmac_f64_e32 v[80:81], v[88:89], v[90:91]
	s_andn2_b64 exec, exec, s[10:11]
	s_cbranch_execnz .LBB38_477
; %bb.478:
	s_or_b64 exec, exec, s[10:11]
.LBB38_479:
	s_or_b64 exec, exec, s[8:9]
	v_mov_b32_e32 v84, 0
	ds_read_b64 v[84:85], v84 offset:88
	s_waitcnt lgkmcnt(0)
	v_mul_f64 v[80:81], v[80:81], v[84:85]
	buffer_store_dword v81, off, s[0:3], 0 offset:92
	buffer_store_dword v80, off, s[0:3], 0 offset:88
.LBB38_480:
	s_or_b64 exec, exec, s[6:7]
	buffer_load_dword v80, off, s[0:3], 0 offset:96
	buffer_load_dword v81, off, s[0:3], 0 offset:100
	v_cmp_gt_u32_e32 vcc, 12, v0
	s_waitcnt vmcnt(0)
	ds_write_b64 v82, v[80:81]
	s_waitcnt lgkmcnt(0)
	; wave barrier
	s_waitcnt lgkmcnt(0)
	s_and_saveexec_b64 s[6:7], vcc
	s_cbranch_execz .LBB38_490
; %bb.481:
	s_and_b64 vcc, exec, s[4:5]
	s_cbranch_vccnz .LBB38_483
; %bb.482:
	buffer_load_dword v80, v83, s[0:3], 0 offen
	buffer_load_dword v81, v83, s[0:3], 0 offen offset:4
	ds_read_b64 v[84:85], v82
	s_waitcnt vmcnt(0) lgkmcnt(0)
	v_mul_f64 v[80:81], v[80:81], v[84:85]
	s_cbranch_execz .LBB38_484
	s_branch .LBB38_485
.LBB38_483:
                                        ; implicit-def: $vgpr80_vgpr81
.LBB38_484:
	ds_read_b64 v[80:81], v82
.LBB38_485:
	v_cmp_ne_u32_e32 vcc, 11, v0
	s_and_saveexec_b64 s[8:9], vcc
	s_cbranch_execz .LBB38_489
; %bb.486:
	v_mov_b32_e32 v85, 0
	v_add_u32_e32 v84, 0x148, v1
	v_add3_u32 v85, v1, v85, 8
	s_mov_b64 s[10:11], 0
	v_mov_b32_e32 v86, v0
.LBB38_487:                             ; =>This Inner Loop Header: Depth=1
	buffer_load_dword v88, v85, s[0:3], 0 offen
	buffer_load_dword v89, v85, s[0:3], 0 offen offset:4
	ds_read_b64 v[90:91], v84
	v_add_u32_e32 v86, 1, v86
	v_cmp_lt_u32_e32 vcc, 10, v86
	v_add_u32_e32 v84, 8, v84
	v_add_u32_e32 v85, 8, v85
	s_or_b64 s[10:11], vcc, s[10:11]
	s_waitcnt vmcnt(0) lgkmcnt(0)
	v_fmac_f64_e32 v[80:81], v[88:89], v[90:91]
	s_andn2_b64 exec, exec, s[10:11]
	s_cbranch_execnz .LBB38_487
; %bb.488:
	s_or_b64 exec, exec, s[10:11]
.LBB38_489:
	s_or_b64 exec, exec, s[8:9]
	v_mov_b32_e32 v84, 0
	ds_read_b64 v[84:85], v84 offset:96
	s_waitcnt lgkmcnt(0)
	v_mul_f64 v[80:81], v[80:81], v[84:85]
	buffer_store_dword v81, off, s[0:3], 0 offset:100
	buffer_store_dword v80, off, s[0:3], 0 offset:96
.LBB38_490:
	s_or_b64 exec, exec, s[6:7]
	buffer_load_dword v80, off, s[0:3], 0 offset:104
	buffer_load_dword v81, off, s[0:3], 0 offset:108
	v_cmp_gt_u32_e32 vcc, 13, v0
	s_waitcnt vmcnt(0)
	ds_write_b64 v82, v[80:81]
	s_waitcnt lgkmcnt(0)
	; wave barrier
	s_waitcnt lgkmcnt(0)
	s_and_saveexec_b64 s[6:7], vcc
	s_cbranch_execz .LBB38_500
; %bb.491:
	s_and_b64 vcc, exec, s[4:5]
	s_cbranch_vccnz .LBB38_493
; %bb.492:
	buffer_load_dword v80, v83, s[0:3], 0 offen
	buffer_load_dword v81, v83, s[0:3], 0 offen offset:4
	ds_read_b64 v[84:85], v82
	s_waitcnt vmcnt(0) lgkmcnt(0)
	v_mul_f64 v[80:81], v[80:81], v[84:85]
	s_cbranch_execz .LBB38_494
	s_branch .LBB38_495
.LBB38_493:
                                        ; implicit-def: $vgpr80_vgpr81
.LBB38_494:
	ds_read_b64 v[80:81], v82
.LBB38_495:
	v_cmp_ne_u32_e32 vcc, 12, v0
	s_and_saveexec_b64 s[8:9], vcc
	s_cbranch_execz .LBB38_499
; %bb.496:
	v_mov_b32_e32 v85, 0
	v_add_u32_e32 v84, 0x148, v1
	v_add3_u32 v85, v1, v85, 8
	s_mov_b64 s[10:11], 0
	v_mov_b32_e32 v86, v0
.LBB38_497:                             ; =>This Inner Loop Header: Depth=1
	buffer_load_dword v88, v85, s[0:3], 0 offen
	buffer_load_dword v89, v85, s[0:3], 0 offen offset:4
	ds_read_b64 v[90:91], v84
	v_add_u32_e32 v86, 1, v86
	v_cmp_lt_u32_e32 vcc, 11, v86
	v_add_u32_e32 v84, 8, v84
	v_add_u32_e32 v85, 8, v85
	s_or_b64 s[10:11], vcc, s[10:11]
	s_waitcnt vmcnt(0) lgkmcnt(0)
	v_fmac_f64_e32 v[80:81], v[88:89], v[90:91]
	s_andn2_b64 exec, exec, s[10:11]
	s_cbranch_execnz .LBB38_497
; %bb.498:
	s_or_b64 exec, exec, s[10:11]
.LBB38_499:
	s_or_b64 exec, exec, s[8:9]
	v_mov_b32_e32 v84, 0
	ds_read_b64 v[84:85], v84 offset:104
	s_waitcnt lgkmcnt(0)
	v_mul_f64 v[80:81], v[80:81], v[84:85]
	buffer_store_dword v81, off, s[0:3], 0 offset:108
	buffer_store_dword v80, off, s[0:3], 0 offset:104
.LBB38_500:
	s_or_b64 exec, exec, s[6:7]
	buffer_load_dword v80, off, s[0:3], 0 offset:112
	buffer_load_dword v81, off, s[0:3], 0 offset:116
	v_cmp_gt_u32_e32 vcc, 14, v0
	s_waitcnt vmcnt(0)
	ds_write_b64 v82, v[80:81]
	s_waitcnt lgkmcnt(0)
	; wave barrier
	s_waitcnt lgkmcnt(0)
	s_and_saveexec_b64 s[6:7], vcc
	s_cbranch_execz .LBB38_510
; %bb.501:
	s_and_b64 vcc, exec, s[4:5]
	s_cbranch_vccnz .LBB38_503
; %bb.502:
	buffer_load_dword v80, v83, s[0:3], 0 offen
	buffer_load_dword v81, v83, s[0:3], 0 offen offset:4
	ds_read_b64 v[84:85], v82
	s_waitcnt vmcnt(0) lgkmcnt(0)
	v_mul_f64 v[80:81], v[80:81], v[84:85]
	s_cbranch_execz .LBB38_504
	s_branch .LBB38_505
.LBB38_503:
                                        ; implicit-def: $vgpr80_vgpr81
.LBB38_504:
	ds_read_b64 v[80:81], v82
.LBB38_505:
	v_cmp_ne_u32_e32 vcc, 13, v0
	s_and_saveexec_b64 s[8:9], vcc
	s_cbranch_execz .LBB38_509
; %bb.506:
	v_mov_b32_e32 v85, 0
	v_add_u32_e32 v84, 0x148, v1
	v_add3_u32 v85, v1, v85, 8
	s_mov_b64 s[10:11], 0
	v_mov_b32_e32 v86, v0
.LBB38_507:                             ; =>This Inner Loop Header: Depth=1
	buffer_load_dword v88, v85, s[0:3], 0 offen
	buffer_load_dword v89, v85, s[0:3], 0 offen offset:4
	ds_read_b64 v[90:91], v84
	v_add_u32_e32 v86, 1, v86
	v_cmp_lt_u32_e32 vcc, 12, v86
	v_add_u32_e32 v84, 8, v84
	v_add_u32_e32 v85, 8, v85
	s_or_b64 s[10:11], vcc, s[10:11]
	s_waitcnt vmcnt(0) lgkmcnt(0)
	v_fmac_f64_e32 v[80:81], v[88:89], v[90:91]
	s_andn2_b64 exec, exec, s[10:11]
	s_cbranch_execnz .LBB38_507
; %bb.508:
	s_or_b64 exec, exec, s[10:11]
.LBB38_509:
	s_or_b64 exec, exec, s[8:9]
	v_mov_b32_e32 v84, 0
	ds_read_b64 v[84:85], v84 offset:112
	s_waitcnt lgkmcnt(0)
	v_mul_f64 v[80:81], v[80:81], v[84:85]
	buffer_store_dword v81, off, s[0:3], 0 offset:116
	buffer_store_dword v80, off, s[0:3], 0 offset:112
.LBB38_510:
	s_or_b64 exec, exec, s[6:7]
	buffer_load_dword v80, off, s[0:3], 0 offset:120
	buffer_load_dword v81, off, s[0:3], 0 offset:124
	v_cmp_gt_u32_e32 vcc, 15, v0
	s_waitcnt vmcnt(0)
	ds_write_b64 v82, v[80:81]
	s_waitcnt lgkmcnt(0)
	; wave barrier
	s_waitcnt lgkmcnt(0)
	s_and_saveexec_b64 s[6:7], vcc
	s_cbranch_execz .LBB38_520
; %bb.511:
	s_and_b64 vcc, exec, s[4:5]
	s_cbranch_vccnz .LBB38_513
; %bb.512:
	buffer_load_dword v80, v83, s[0:3], 0 offen
	buffer_load_dword v81, v83, s[0:3], 0 offen offset:4
	ds_read_b64 v[84:85], v82
	s_waitcnt vmcnt(0) lgkmcnt(0)
	v_mul_f64 v[80:81], v[80:81], v[84:85]
	s_cbranch_execz .LBB38_514
	s_branch .LBB38_515
.LBB38_513:
                                        ; implicit-def: $vgpr80_vgpr81
.LBB38_514:
	ds_read_b64 v[80:81], v82
.LBB38_515:
	v_cmp_ne_u32_e32 vcc, 14, v0
	s_and_saveexec_b64 s[8:9], vcc
	s_cbranch_execz .LBB38_519
; %bb.516:
	v_mov_b32_e32 v85, 0
	v_add_u32_e32 v84, 0x148, v1
	v_add3_u32 v85, v1, v85, 8
	s_mov_b64 s[10:11], 0
	v_mov_b32_e32 v86, v0
.LBB38_517:                             ; =>This Inner Loop Header: Depth=1
	buffer_load_dword v88, v85, s[0:3], 0 offen
	buffer_load_dword v89, v85, s[0:3], 0 offen offset:4
	ds_read_b64 v[90:91], v84
	v_add_u32_e32 v86, 1, v86
	v_cmp_lt_u32_e32 vcc, 13, v86
	v_add_u32_e32 v84, 8, v84
	v_add_u32_e32 v85, 8, v85
	s_or_b64 s[10:11], vcc, s[10:11]
	s_waitcnt vmcnt(0) lgkmcnt(0)
	v_fmac_f64_e32 v[80:81], v[88:89], v[90:91]
	s_andn2_b64 exec, exec, s[10:11]
	s_cbranch_execnz .LBB38_517
; %bb.518:
	s_or_b64 exec, exec, s[10:11]
.LBB38_519:
	s_or_b64 exec, exec, s[8:9]
	v_mov_b32_e32 v84, 0
	ds_read_b64 v[84:85], v84 offset:120
	s_waitcnt lgkmcnt(0)
	v_mul_f64 v[80:81], v[80:81], v[84:85]
	buffer_store_dword v81, off, s[0:3], 0 offset:124
	buffer_store_dword v80, off, s[0:3], 0 offset:120
.LBB38_520:
	s_or_b64 exec, exec, s[6:7]
	buffer_load_dword v80, off, s[0:3], 0 offset:128
	buffer_load_dword v81, off, s[0:3], 0 offset:132
	v_cmp_gt_u32_e32 vcc, 16, v0
	s_waitcnt vmcnt(0)
	ds_write_b64 v82, v[80:81]
	s_waitcnt lgkmcnt(0)
	; wave barrier
	s_waitcnt lgkmcnt(0)
	s_and_saveexec_b64 s[6:7], vcc
	s_cbranch_execz .LBB38_530
; %bb.521:
	s_and_b64 vcc, exec, s[4:5]
	s_cbranch_vccnz .LBB38_523
; %bb.522:
	buffer_load_dword v80, v83, s[0:3], 0 offen
	buffer_load_dword v81, v83, s[0:3], 0 offen offset:4
	ds_read_b64 v[84:85], v82
	s_waitcnt vmcnt(0) lgkmcnt(0)
	v_mul_f64 v[80:81], v[80:81], v[84:85]
	s_cbranch_execz .LBB38_524
	s_branch .LBB38_525
.LBB38_523:
                                        ; implicit-def: $vgpr80_vgpr81
.LBB38_524:
	ds_read_b64 v[80:81], v82
.LBB38_525:
	v_cmp_ne_u32_e32 vcc, 15, v0
	s_and_saveexec_b64 s[8:9], vcc
	s_cbranch_execz .LBB38_529
; %bb.526:
	v_mov_b32_e32 v85, 0
	v_add_u32_e32 v84, 0x148, v1
	v_add3_u32 v85, v1, v85, 8
	s_mov_b64 s[10:11], 0
	v_mov_b32_e32 v86, v0
.LBB38_527:                             ; =>This Inner Loop Header: Depth=1
	buffer_load_dword v88, v85, s[0:3], 0 offen
	buffer_load_dword v89, v85, s[0:3], 0 offen offset:4
	ds_read_b64 v[90:91], v84
	v_add_u32_e32 v86, 1, v86
	v_cmp_lt_u32_e32 vcc, 14, v86
	v_add_u32_e32 v84, 8, v84
	v_add_u32_e32 v85, 8, v85
	s_or_b64 s[10:11], vcc, s[10:11]
	s_waitcnt vmcnt(0) lgkmcnt(0)
	v_fmac_f64_e32 v[80:81], v[88:89], v[90:91]
	s_andn2_b64 exec, exec, s[10:11]
	s_cbranch_execnz .LBB38_527
; %bb.528:
	s_or_b64 exec, exec, s[10:11]
.LBB38_529:
	s_or_b64 exec, exec, s[8:9]
	v_mov_b32_e32 v84, 0
	ds_read_b64 v[84:85], v84 offset:128
	s_waitcnt lgkmcnt(0)
	v_mul_f64 v[80:81], v[80:81], v[84:85]
	buffer_store_dword v81, off, s[0:3], 0 offset:132
	buffer_store_dword v80, off, s[0:3], 0 offset:128
.LBB38_530:
	s_or_b64 exec, exec, s[6:7]
	buffer_load_dword v80, off, s[0:3], 0 offset:136
	buffer_load_dword v81, off, s[0:3], 0 offset:140
	v_cmp_gt_u32_e32 vcc, 17, v0
	s_waitcnt vmcnt(0)
	ds_write_b64 v82, v[80:81]
	s_waitcnt lgkmcnt(0)
	; wave barrier
	s_waitcnt lgkmcnt(0)
	s_and_saveexec_b64 s[6:7], vcc
	s_cbranch_execz .LBB38_540
; %bb.531:
	s_and_b64 vcc, exec, s[4:5]
	s_cbranch_vccnz .LBB38_533
; %bb.532:
	buffer_load_dword v80, v83, s[0:3], 0 offen
	buffer_load_dword v81, v83, s[0:3], 0 offen offset:4
	ds_read_b64 v[84:85], v82
	s_waitcnt vmcnt(0) lgkmcnt(0)
	v_mul_f64 v[80:81], v[80:81], v[84:85]
	s_cbranch_execz .LBB38_534
	s_branch .LBB38_535
.LBB38_533:
                                        ; implicit-def: $vgpr80_vgpr81
.LBB38_534:
	ds_read_b64 v[80:81], v82
.LBB38_535:
	v_cmp_ne_u32_e32 vcc, 16, v0
	s_and_saveexec_b64 s[8:9], vcc
	s_cbranch_execz .LBB38_539
; %bb.536:
	v_mov_b32_e32 v85, 0
	v_add_u32_e32 v84, 0x148, v1
	v_add3_u32 v85, v1, v85, 8
	s_mov_b64 s[10:11], 0
	v_mov_b32_e32 v86, v0
.LBB38_537:                             ; =>This Inner Loop Header: Depth=1
	buffer_load_dword v88, v85, s[0:3], 0 offen
	buffer_load_dword v89, v85, s[0:3], 0 offen offset:4
	ds_read_b64 v[90:91], v84
	v_add_u32_e32 v86, 1, v86
	v_cmp_lt_u32_e32 vcc, 15, v86
	v_add_u32_e32 v84, 8, v84
	v_add_u32_e32 v85, 8, v85
	s_or_b64 s[10:11], vcc, s[10:11]
	s_waitcnt vmcnt(0) lgkmcnt(0)
	v_fmac_f64_e32 v[80:81], v[88:89], v[90:91]
	s_andn2_b64 exec, exec, s[10:11]
	s_cbranch_execnz .LBB38_537
; %bb.538:
	s_or_b64 exec, exec, s[10:11]
.LBB38_539:
	s_or_b64 exec, exec, s[8:9]
	v_mov_b32_e32 v84, 0
	ds_read_b64 v[84:85], v84 offset:136
	s_waitcnt lgkmcnt(0)
	v_mul_f64 v[80:81], v[80:81], v[84:85]
	buffer_store_dword v81, off, s[0:3], 0 offset:140
	buffer_store_dword v80, off, s[0:3], 0 offset:136
.LBB38_540:
	s_or_b64 exec, exec, s[6:7]
	buffer_load_dword v80, off, s[0:3], 0 offset:144
	buffer_load_dword v81, off, s[0:3], 0 offset:148
	v_cmp_gt_u32_e32 vcc, 18, v0
	s_waitcnt vmcnt(0)
	ds_write_b64 v82, v[80:81]
	s_waitcnt lgkmcnt(0)
	; wave barrier
	s_waitcnt lgkmcnt(0)
	s_and_saveexec_b64 s[6:7], vcc
	s_cbranch_execz .LBB38_550
; %bb.541:
	s_and_b64 vcc, exec, s[4:5]
	s_cbranch_vccnz .LBB38_543
; %bb.542:
	buffer_load_dword v80, v83, s[0:3], 0 offen
	buffer_load_dword v81, v83, s[0:3], 0 offen offset:4
	ds_read_b64 v[84:85], v82
	s_waitcnt vmcnt(0) lgkmcnt(0)
	v_mul_f64 v[80:81], v[80:81], v[84:85]
	s_cbranch_execz .LBB38_544
	s_branch .LBB38_545
.LBB38_543:
                                        ; implicit-def: $vgpr80_vgpr81
.LBB38_544:
	ds_read_b64 v[80:81], v82
.LBB38_545:
	v_cmp_ne_u32_e32 vcc, 17, v0
	s_and_saveexec_b64 s[8:9], vcc
	s_cbranch_execz .LBB38_549
; %bb.546:
	v_mov_b32_e32 v85, 0
	v_add_u32_e32 v84, 0x148, v1
	v_add3_u32 v85, v1, v85, 8
	s_mov_b64 s[10:11], 0
	v_mov_b32_e32 v86, v0
.LBB38_547:                             ; =>This Inner Loop Header: Depth=1
	buffer_load_dword v88, v85, s[0:3], 0 offen
	buffer_load_dword v89, v85, s[0:3], 0 offen offset:4
	ds_read_b64 v[90:91], v84
	v_add_u32_e32 v86, 1, v86
	v_cmp_lt_u32_e32 vcc, 16, v86
	v_add_u32_e32 v84, 8, v84
	v_add_u32_e32 v85, 8, v85
	s_or_b64 s[10:11], vcc, s[10:11]
	s_waitcnt vmcnt(0) lgkmcnt(0)
	v_fmac_f64_e32 v[80:81], v[88:89], v[90:91]
	s_andn2_b64 exec, exec, s[10:11]
	s_cbranch_execnz .LBB38_547
; %bb.548:
	s_or_b64 exec, exec, s[10:11]
.LBB38_549:
	s_or_b64 exec, exec, s[8:9]
	v_mov_b32_e32 v84, 0
	ds_read_b64 v[84:85], v84 offset:144
	s_waitcnt lgkmcnt(0)
	v_mul_f64 v[80:81], v[80:81], v[84:85]
	buffer_store_dword v81, off, s[0:3], 0 offset:148
	buffer_store_dword v80, off, s[0:3], 0 offset:144
.LBB38_550:
	s_or_b64 exec, exec, s[6:7]
	buffer_load_dword v80, off, s[0:3], 0 offset:152
	buffer_load_dword v81, off, s[0:3], 0 offset:156
	v_cmp_gt_u32_e32 vcc, 19, v0
	s_waitcnt vmcnt(0)
	ds_write_b64 v82, v[80:81]
	s_waitcnt lgkmcnt(0)
	; wave barrier
	s_waitcnt lgkmcnt(0)
	s_and_saveexec_b64 s[6:7], vcc
	s_cbranch_execz .LBB38_560
; %bb.551:
	s_and_b64 vcc, exec, s[4:5]
	s_cbranch_vccnz .LBB38_553
; %bb.552:
	buffer_load_dword v80, v83, s[0:3], 0 offen
	buffer_load_dword v81, v83, s[0:3], 0 offen offset:4
	ds_read_b64 v[84:85], v82
	s_waitcnt vmcnt(0) lgkmcnt(0)
	v_mul_f64 v[80:81], v[80:81], v[84:85]
	s_cbranch_execz .LBB38_554
	s_branch .LBB38_555
.LBB38_553:
                                        ; implicit-def: $vgpr80_vgpr81
.LBB38_554:
	ds_read_b64 v[80:81], v82
.LBB38_555:
	v_cmp_ne_u32_e32 vcc, 18, v0
	s_and_saveexec_b64 s[8:9], vcc
	s_cbranch_execz .LBB38_559
; %bb.556:
	v_mov_b32_e32 v85, 0
	v_add_u32_e32 v84, 0x148, v1
	v_add3_u32 v85, v1, v85, 8
	s_mov_b64 s[10:11], 0
	v_mov_b32_e32 v86, v0
.LBB38_557:                             ; =>This Inner Loop Header: Depth=1
	buffer_load_dword v88, v85, s[0:3], 0 offen
	buffer_load_dword v89, v85, s[0:3], 0 offen offset:4
	ds_read_b64 v[90:91], v84
	v_add_u32_e32 v86, 1, v86
	v_cmp_lt_u32_e32 vcc, 17, v86
	v_add_u32_e32 v84, 8, v84
	v_add_u32_e32 v85, 8, v85
	s_or_b64 s[10:11], vcc, s[10:11]
	s_waitcnt vmcnt(0) lgkmcnt(0)
	v_fmac_f64_e32 v[80:81], v[88:89], v[90:91]
	s_andn2_b64 exec, exec, s[10:11]
	s_cbranch_execnz .LBB38_557
; %bb.558:
	s_or_b64 exec, exec, s[10:11]
.LBB38_559:
	s_or_b64 exec, exec, s[8:9]
	v_mov_b32_e32 v84, 0
	ds_read_b64 v[84:85], v84 offset:152
	s_waitcnt lgkmcnt(0)
	v_mul_f64 v[80:81], v[80:81], v[84:85]
	buffer_store_dword v81, off, s[0:3], 0 offset:156
	buffer_store_dword v80, off, s[0:3], 0 offset:152
.LBB38_560:
	s_or_b64 exec, exec, s[6:7]
	buffer_load_dword v80, off, s[0:3], 0 offset:160
	buffer_load_dword v81, off, s[0:3], 0 offset:164
	v_cmp_gt_u32_e32 vcc, 20, v0
	s_waitcnt vmcnt(0)
	ds_write_b64 v82, v[80:81]
	s_waitcnt lgkmcnt(0)
	; wave barrier
	s_waitcnt lgkmcnt(0)
	s_and_saveexec_b64 s[6:7], vcc
	s_cbranch_execz .LBB38_570
; %bb.561:
	s_and_b64 vcc, exec, s[4:5]
	s_cbranch_vccnz .LBB38_563
; %bb.562:
	buffer_load_dword v80, v83, s[0:3], 0 offen
	buffer_load_dword v81, v83, s[0:3], 0 offen offset:4
	ds_read_b64 v[84:85], v82
	s_waitcnt vmcnt(0) lgkmcnt(0)
	v_mul_f64 v[80:81], v[80:81], v[84:85]
	s_cbranch_execz .LBB38_564
	s_branch .LBB38_565
.LBB38_563:
                                        ; implicit-def: $vgpr80_vgpr81
.LBB38_564:
	ds_read_b64 v[80:81], v82
.LBB38_565:
	v_cmp_ne_u32_e32 vcc, 19, v0
	s_and_saveexec_b64 s[8:9], vcc
	s_cbranch_execz .LBB38_569
; %bb.566:
	v_mov_b32_e32 v85, 0
	v_add_u32_e32 v84, 0x148, v1
	v_add3_u32 v85, v1, v85, 8
	s_mov_b64 s[10:11], 0
	v_mov_b32_e32 v86, v0
.LBB38_567:                             ; =>This Inner Loop Header: Depth=1
	buffer_load_dword v88, v85, s[0:3], 0 offen
	buffer_load_dword v89, v85, s[0:3], 0 offen offset:4
	ds_read_b64 v[90:91], v84
	v_add_u32_e32 v86, 1, v86
	v_cmp_lt_u32_e32 vcc, 18, v86
	v_add_u32_e32 v84, 8, v84
	v_add_u32_e32 v85, 8, v85
	s_or_b64 s[10:11], vcc, s[10:11]
	s_waitcnt vmcnt(0) lgkmcnt(0)
	v_fmac_f64_e32 v[80:81], v[88:89], v[90:91]
	s_andn2_b64 exec, exec, s[10:11]
	s_cbranch_execnz .LBB38_567
; %bb.568:
	s_or_b64 exec, exec, s[10:11]
.LBB38_569:
	s_or_b64 exec, exec, s[8:9]
	v_mov_b32_e32 v84, 0
	ds_read_b64 v[84:85], v84 offset:160
	s_waitcnt lgkmcnt(0)
	v_mul_f64 v[80:81], v[80:81], v[84:85]
	buffer_store_dword v81, off, s[0:3], 0 offset:164
	buffer_store_dword v80, off, s[0:3], 0 offset:160
.LBB38_570:
	s_or_b64 exec, exec, s[6:7]
	buffer_load_dword v80, off, s[0:3], 0 offset:168
	buffer_load_dword v81, off, s[0:3], 0 offset:172
	v_cmp_gt_u32_e32 vcc, 21, v0
	s_waitcnt vmcnt(0)
	ds_write_b64 v82, v[80:81]
	s_waitcnt lgkmcnt(0)
	; wave barrier
	s_waitcnt lgkmcnt(0)
	s_and_saveexec_b64 s[6:7], vcc
	s_cbranch_execz .LBB38_580
; %bb.571:
	s_and_b64 vcc, exec, s[4:5]
	s_cbranch_vccnz .LBB38_573
; %bb.572:
	buffer_load_dword v80, v83, s[0:3], 0 offen
	buffer_load_dword v81, v83, s[0:3], 0 offen offset:4
	ds_read_b64 v[84:85], v82
	s_waitcnt vmcnt(0) lgkmcnt(0)
	v_mul_f64 v[80:81], v[80:81], v[84:85]
	s_cbranch_execz .LBB38_574
	s_branch .LBB38_575
.LBB38_573:
                                        ; implicit-def: $vgpr80_vgpr81
.LBB38_574:
	ds_read_b64 v[80:81], v82
.LBB38_575:
	v_cmp_ne_u32_e32 vcc, 20, v0
	s_and_saveexec_b64 s[8:9], vcc
	s_cbranch_execz .LBB38_579
; %bb.576:
	v_mov_b32_e32 v85, 0
	v_add_u32_e32 v84, 0x148, v1
	v_add3_u32 v85, v1, v85, 8
	s_mov_b64 s[10:11], 0
	v_mov_b32_e32 v86, v0
.LBB38_577:                             ; =>This Inner Loop Header: Depth=1
	buffer_load_dword v88, v85, s[0:3], 0 offen
	buffer_load_dword v89, v85, s[0:3], 0 offen offset:4
	ds_read_b64 v[90:91], v84
	v_add_u32_e32 v86, 1, v86
	v_cmp_lt_u32_e32 vcc, 19, v86
	v_add_u32_e32 v84, 8, v84
	v_add_u32_e32 v85, 8, v85
	s_or_b64 s[10:11], vcc, s[10:11]
	s_waitcnt vmcnt(0) lgkmcnt(0)
	v_fmac_f64_e32 v[80:81], v[88:89], v[90:91]
	s_andn2_b64 exec, exec, s[10:11]
	s_cbranch_execnz .LBB38_577
; %bb.578:
	s_or_b64 exec, exec, s[10:11]
.LBB38_579:
	s_or_b64 exec, exec, s[8:9]
	v_mov_b32_e32 v84, 0
	ds_read_b64 v[84:85], v84 offset:168
	s_waitcnt lgkmcnt(0)
	v_mul_f64 v[80:81], v[80:81], v[84:85]
	buffer_store_dword v81, off, s[0:3], 0 offset:172
	buffer_store_dword v80, off, s[0:3], 0 offset:168
.LBB38_580:
	s_or_b64 exec, exec, s[6:7]
	buffer_load_dword v80, off, s[0:3], 0 offset:176
	buffer_load_dword v81, off, s[0:3], 0 offset:180
	v_cmp_gt_u32_e32 vcc, 22, v0
	s_waitcnt vmcnt(0)
	ds_write_b64 v82, v[80:81]
	s_waitcnt lgkmcnt(0)
	; wave barrier
	s_waitcnt lgkmcnt(0)
	s_and_saveexec_b64 s[6:7], vcc
	s_cbranch_execz .LBB38_590
; %bb.581:
	s_and_b64 vcc, exec, s[4:5]
	s_cbranch_vccnz .LBB38_583
; %bb.582:
	buffer_load_dword v80, v83, s[0:3], 0 offen
	buffer_load_dword v81, v83, s[0:3], 0 offen offset:4
	ds_read_b64 v[84:85], v82
	s_waitcnt vmcnt(0) lgkmcnt(0)
	v_mul_f64 v[80:81], v[80:81], v[84:85]
	s_cbranch_execz .LBB38_584
	s_branch .LBB38_585
.LBB38_583:
                                        ; implicit-def: $vgpr80_vgpr81
.LBB38_584:
	ds_read_b64 v[80:81], v82
.LBB38_585:
	v_cmp_ne_u32_e32 vcc, 21, v0
	s_and_saveexec_b64 s[8:9], vcc
	s_cbranch_execz .LBB38_589
; %bb.586:
	v_mov_b32_e32 v85, 0
	v_add_u32_e32 v84, 0x148, v1
	v_add3_u32 v85, v1, v85, 8
	s_mov_b64 s[10:11], 0
	v_mov_b32_e32 v86, v0
.LBB38_587:                             ; =>This Inner Loop Header: Depth=1
	buffer_load_dword v88, v85, s[0:3], 0 offen
	buffer_load_dword v89, v85, s[0:3], 0 offen offset:4
	ds_read_b64 v[90:91], v84
	v_add_u32_e32 v86, 1, v86
	v_cmp_lt_u32_e32 vcc, 20, v86
	v_add_u32_e32 v84, 8, v84
	v_add_u32_e32 v85, 8, v85
	s_or_b64 s[10:11], vcc, s[10:11]
	s_waitcnt vmcnt(0) lgkmcnt(0)
	v_fmac_f64_e32 v[80:81], v[88:89], v[90:91]
	s_andn2_b64 exec, exec, s[10:11]
	s_cbranch_execnz .LBB38_587
; %bb.588:
	s_or_b64 exec, exec, s[10:11]
.LBB38_589:
	s_or_b64 exec, exec, s[8:9]
	v_mov_b32_e32 v84, 0
	ds_read_b64 v[84:85], v84 offset:176
	s_waitcnt lgkmcnt(0)
	v_mul_f64 v[80:81], v[80:81], v[84:85]
	buffer_store_dword v81, off, s[0:3], 0 offset:180
	buffer_store_dword v80, off, s[0:3], 0 offset:176
.LBB38_590:
	s_or_b64 exec, exec, s[6:7]
	buffer_load_dword v80, off, s[0:3], 0 offset:184
	buffer_load_dword v81, off, s[0:3], 0 offset:188
	v_cmp_gt_u32_e32 vcc, 23, v0
	s_waitcnt vmcnt(0)
	ds_write_b64 v82, v[80:81]
	s_waitcnt lgkmcnt(0)
	; wave barrier
	s_waitcnt lgkmcnt(0)
	s_and_saveexec_b64 s[6:7], vcc
	s_cbranch_execz .LBB38_600
; %bb.591:
	s_and_b64 vcc, exec, s[4:5]
	s_cbranch_vccnz .LBB38_593
; %bb.592:
	buffer_load_dword v80, v83, s[0:3], 0 offen
	buffer_load_dword v81, v83, s[0:3], 0 offen offset:4
	ds_read_b64 v[84:85], v82
	s_waitcnt vmcnt(0) lgkmcnt(0)
	v_mul_f64 v[80:81], v[80:81], v[84:85]
	s_cbranch_execz .LBB38_594
	s_branch .LBB38_595
.LBB38_593:
                                        ; implicit-def: $vgpr80_vgpr81
.LBB38_594:
	ds_read_b64 v[80:81], v82
.LBB38_595:
	v_cmp_ne_u32_e32 vcc, 22, v0
	s_and_saveexec_b64 s[8:9], vcc
	s_cbranch_execz .LBB38_599
; %bb.596:
	v_mov_b32_e32 v85, 0
	v_add_u32_e32 v84, 0x148, v1
	v_add3_u32 v85, v1, v85, 8
	s_mov_b64 s[10:11], 0
	v_mov_b32_e32 v86, v0
.LBB38_597:                             ; =>This Inner Loop Header: Depth=1
	buffer_load_dword v88, v85, s[0:3], 0 offen
	buffer_load_dword v89, v85, s[0:3], 0 offen offset:4
	ds_read_b64 v[90:91], v84
	v_add_u32_e32 v86, 1, v86
	v_cmp_lt_u32_e32 vcc, 21, v86
	v_add_u32_e32 v84, 8, v84
	v_add_u32_e32 v85, 8, v85
	s_or_b64 s[10:11], vcc, s[10:11]
	s_waitcnt vmcnt(0) lgkmcnt(0)
	v_fmac_f64_e32 v[80:81], v[88:89], v[90:91]
	s_andn2_b64 exec, exec, s[10:11]
	s_cbranch_execnz .LBB38_597
; %bb.598:
	s_or_b64 exec, exec, s[10:11]
.LBB38_599:
	s_or_b64 exec, exec, s[8:9]
	v_mov_b32_e32 v84, 0
	ds_read_b64 v[84:85], v84 offset:184
	s_waitcnt lgkmcnt(0)
	v_mul_f64 v[80:81], v[80:81], v[84:85]
	buffer_store_dword v81, off, s[0:3], 0 offset:188
	buffer_store_dword v80, off, s[0:3], 0 offset:184
.LBB38_600:
	s_or_b64 exec, exec, s[6:7]
	buffer_load_dword v80, off, s[0:3], 0 offset:192
	buffer_load_dword v81, off, s[0:3], 0 offset:196
	v_cmp_gt_u32_e32 vcc, 24, v0
	s_waitcnt vmcnt(0)
	ds_write_b64 v82, v[80:81]
	s_waitcnt lgkmcnt(0)
	; wave barrier
	s_waitcnt lgkmcnt(0)
	s_and_saveexec_b64 s[6:7], vcc
	s_cbranch_execz .LBB38_610
; %bb.601:
	s_and_b64 vcc, exec, s[4:5]
	s_cbranch_vccnz .LBB38_603
; %bb.602:
	buffer_load_dword v80, v83, s[0:3], 0 offen
	buffer_load_dword v81, v83, s[0:3], 0 offen offset:4
	ds_read_b64 v[84:85], v82
	s_waitcnt vmcnt(0) lgkmcnt(0)
	v_mul_f64 v[80:81], v[80:81], v[84:85]
	s_cbranch_execz .LBB38_604
	s_branch .LBB38_605
.LBB38_603:
                                        ; implicit-def: $vgpr80_vgpr81
.LBB38_604:
	ds_read_b64 v[80:81], v82
.LBB38_605:
	v_cmp_ne_u32_e32 vcc, 23, v0
	s_and_saveexec_b64 s[8:9], vcc
	s_cbranch_execz .LBB38_609
; %bb.606:
	v_mov_b32_e32 v85, 0
	v_add_u32_e32 v84, 0x148, v1
	v_add3_u32 v85, v1, v85, 8
	s_mov_b64 s[10:11], 0
	v_mov_b32_e32 v86, v0
.LBB38_607:                             ; =>This Inner Loop Header: Depth=1
	buffer_load_dword v88, v85, s[0:3], 0 offen
	buffer_load_dword v89, v85, s[0:3], 0 offen offset:4
	ds_read_b64 v[90:91], v84
	v_add_u32_e32 v86, 1, v86
	v_cmp_lt_u32_e32 vcc, 22, v86
	v_add_u32_e32 v84, 8, v84
	v_add_u32_e32 v85, 8, v85
	s_or_b64 s[10:11], vcc, s[10:11]
	s_waitcnt vmcnt(0) lgkmcnt(0)
	v_fmac_f64_e32 v[80:81], v[88:89], v[90:91]
	s_andn2_b64 exec, exec, s[10:11]
	s_cbranch_execnz .LBB38_607
; %bb.608:
	s_or_b64 exec, exec, s[10:11]
.LBB38_609:
	s_or_b64 exec, exec, s[8:9]
	v_mov_b32_e32 v84, 0
	ds_read_b64 v[84:85], v84 offset:192
	s_waitcnt lgkmcnt(0)
	v_mul_f64 v[80:81], v[80:81], v[84:85]
	buffer_store_dword v81, off, s[0:3], 0 offset:196
	buffer_store_dword v80, off, s[0:3], 0 offset:192
.LBB38_610:
	s_or_b64 exec, exec, s[6:7]
	buffer_load_dword v80, off, s[0:3], 0 offset:200
	buffer_load_dword v81, off, s[0:3], 0 offset:204
	v_cmp_gt_u32_e32 vcc, 25, v0
	s_waitcnt vmcnt(0)
	ds_write_b64 v82, v[80:81]
	s_waitcnt lgkmcnt(0)
	; wave barrier
	s_waitcnt lgkmcnt(0)
	s_and_saveexec_b64 s[6:7], vcc
	s_cbranch_execz .LBB38_620
; %bb.611:
	s_and_b64 vcc, exec, s[4:5]
	s_cbranch_vccnz .LBB38_613
; %bb.612:
	buffer_load_dword v80, v83, s[0:3], 0 offen
	buffer_load_dword v81, v83, s[0:3], 0 offen offset:4
	ds_read_b64 v[84:85], v82
	s_waitcnt vmcnt(0) lgkmcnt(0)
	v_mul_f64 v[80:81], v[80:81], v[84:85]
	s_cbranch_execz .LBB38_614
	s_branch .LBB38_615
.LBB38_613:
                                        ; implicit-def: $vgpr80_vgpr81
.LBB38_614:
	ds_read_b64 v[80:81], v82
.LBB38_615:
	v_cmp_ne_u32_e32 vcc, 24, v0
	s_and_saveexec_b64 s[8:9], vcc
	s_cbranch_execz .LBB38_619
; %bb.616:
	v_mov_b32_e32 v85, 0
	v_add_u32_e32 v84, 0x148, v1
	v_add3_u32 v85, v1, v85, 8
	s_mov_b64 s[10:11], 0
	v_mov_b32_e32 v86, v0
.LBB38_617:                             ; =>This Inner Loop Header: Depth=1
	buffer_load_dword v88, v85, s[0:3], 0 offen
	buffer_load_dword v89, v85, s[0:3], 0 offen offset:4
	ds_read_b64 v[90:91], v84
	v_add_u32_e32 v86, 1, v86
	v_cmp_lt_u32_e32 vcc, 23, v86
	v_add_u32_e32 v84, 8, v84
	v_add_u32_e32 v85, 8, v85
	s_or_b64 s[10:11], vcc, s[10:11]
	s_waitcnt vmcnt(0) lgkmcnt(0)
	v_fmac_f64_e32 v[80:81], v[88:89], v[90:91]
	s_andn2_b64 exec, exec, s[10:11]
	s_cbranch_execnz .LBB38_617
; %bb.618:
	s_or_b64 exec, exec, s[10:11]
.LBB38_619:
	s_or_b64 exec, exec, s[8:9]
	v_mov_b32_e32 v84, 0
	ds_read_b64 v[84:85], v84 offset:200
	s_waitcnt lgkmcnt(0)
	v_mul_f64 v[80:81], v[80:81], v[84:85]
	buffer_store_dword v81, off, s[0:3], 0 offset:204
	buffer_store_dword v80, off, s[0:3], 0 offset:200
.LBB38_620:
	s_or_b64 exec, exec, s[6:7]
	buffer_load_dword v80, off, s[0:3], 0 offset:208
	buffer_load_dword v81, off, s[0:3], 0 offset:212
	v_cmp_gt_u32_e32 vcc, 26, v0
	s_waitcnt vmcnt(0)
	ds_write_b64 v82, v[80:81]
	s_waitcnt lgkmcnt(0)
	; wave barrier
	s_waitcnt lgkmcnt(0)
	s_and_saveexec_b64 s[6:7], vcc
	s_cbranch_execz .LBB38_630
; %bb.621:
	s_and_b64 vcc, exec, s[4:5]
	s_cbranch_vccnz .LBB38_623
; %bb.622:
	buffer_load_dword v80, v83, s[0:3], 0 offen
	buffer_load_dword v81, v83, s[0:3], 0 offen offset:4
	ds_read_b64 v[84:85], v82
	s_waitcnt vmcnt(0) lgkmcnt(0)
	v_mul_f64 v[80:81], v[80:81], v[84:85]
	s_cbranch_execz .LBB38_624
	s_branch .LBB38_625
.LBB38_623:
                                        ; implicit-def: $vgpr80_vgpr81
.LBB38_624:
	ds_read_b64 v[80:81], v82
.LBB38_625:
	v_cmp_ne_u32_e32 vcc, 25, v0
	s_and_saveexec_b64 s[8:9], vcc
	s_cbranch_execz .LBB38_629
; %bb.626:
	v_mov_b32_e32 v85, 0
	v_add_u32_e32 v84, 0x148, v1
	v_add3_u32 v85, v1, v85, 8
	s_mov_b64 s[10:11], 0
	v_mov_b32_e32 v86, v0
.LBB38_627:                             ; =>This Inner Loop Header: Depth=1
	buffer_load_dword v88, v85, s[0:3], 0 offen
	buffer_load_dword v89, v85, s[0:3], 0 offen offset:4
	ds_read_b64 v[90:91], v84
	v_add_u32_e32 v86, 1, v86
	v_cmp_lt_u32_e32 vcc, 24, v86
	v_add_u32_e32 v84, 8, v84
	v_add_u32_e32 v85, 8, v85
	s_or_b64 s[10:11], vcc, s[10:11]
	s_waitcnt vmcnt(0) lgkmcnt(0)
	v_fmac_f64_e32 v[80:81], v[88:89], v[90:91]
	s_andn2_b64 exec, exec, s[10:11]
	s_cbranch_execnz .LBB38_627
; %bb.628:
	s_or_b64 exec, exec, s[10:11]
.LBB38_629:
	s_or_b64 exec, exec, s[8:9]
	v_mov_b32_e32 v84, 0
	ds_read_b64 v[84:85], v84 offset:208
	s_waitcnt lgkmcnt(0)
	v_mul_f64 v[80:81], v[80:81], v[84:85]
	buffer_store_dword v81, off, s[0:3], 0 offset:212
	buffer_store_dword v80, off, s[0:3], 0 offset:208
.LBB38_630:
	s_or_b64 exec, exec, s[6:7]
	buffer_load_dword v80, off, s[0:3], 0 offset:216
	buffer_load_dword v81, off, s[0:3], 0 offset:220
	v_cmp_gt_u32_e32 vcc, 27, v0
	s_waitcnt vmcnt(0)
	ds_write_b64 v82, v[80:81]
	s_waitcnt lgkmcnt(0)
	; wave barrier
	s_waitcnt lgkmcnt(0)
	s_and_saveexec_b64 s[6:7], vcc
	s_cbranch_execz .LBB38_640
; %bb.631:
	s_and_b64 vcc, exec, s[4:5]
	s_cbranch_vccnz .LBB38_633
; %bb.632:
	buffer_load_dword v80, v83, s[0:3], 0 offen
	buffer_load_dword v81, v83, s[0:3], 0 offen offset:4
	ds_read_b64 v[84:85], v82
	s_waitcnt vmcnt(0) lgkmcnt(0)
	v_mul_f64 v[80:81], v[80:81], v[84:85]
	s_cbranch_execz .LBB38_634
	s_branch .LBB38_635
.LBB38_633:
                                        ; implicit-def: $vgpr80_vgpr81
.LBB38_634:
	ds_read_b64 v[80:81], v82
.LBB38_635:
	v_cmp_ne_u32_e32 vcc, 26, v0
	s_and_saveexec_b64 s[8:9], vcc
	s_cbranch_execz .LBB38_639
; %bb.636:
	v_mov_b32_e32 v85, 0
	v_add_u32_e32 v84, 0x148, v1
	v_add3_u32 v85, v1, v85, 8
	s_mov_b64 s[10:11], 0
	v_mov_b32_e32 v86, v0
.LBB38_637:                             ; =>This Inner Loop Header: Depth=1
	buffer_load_dword v88, v85, s[0:3], 0 offen
	buffer_load_dword v89, v85, s[0:3], 0 offen offset:4
	ds_read_b64 v[90:91], v84
	v_add_u32_e32 v86, 1, v86
	v_cmp_lt_u32_e32 vcc, 25, v86
	v_add_u32_e32 v84, 8, v84
	v_add_u32_e32 v85, 8, v85
	s_or_b64 s[10:11], vcc, s[10:11]
	s_waitcnt vmcnt(0) lgkmcnt(0)
	v_fmac_f64_e32 v[80:81], v[88:89], v[90:91]
	s_andn2_b64 exec, exec, s[10:11]
	s_cbranch_execnz .LBB38_637
; %bb.638:
	s_or_b64 exec, exec, s[10:11]
.LBB38_639:
	s_or_b64 exec, exec, s[8:9]
	v_mov_b32_e32 v84, 0
	ds_read_b64 v[84:85], v84 offset:216
	s_waitcnt lgkmcnt(0)
	v_mul_f64 v[80:81], v[80:81], v[84:85]
	buffer_store_dword v81, off, s[0:3], 0 offset:220
	buffer_store_dword v80, off, s[0:3], 0 offset:216
.LBB38_640:
	s_or_b64 exec, exec, s[6:7]
	buffer_load_dword v80, off, s[0:3], 0 offset:224
	buffer_load_dword v81, off, s[0:3], 0 offset:228
	v_cmp_gt_u32_e32 vcc, 28, v0
	s_waitcnt vmcnt(0)
	ds_write_b64 v82, v[80:81]
	s_waitcnt lgkmcnt(0)
	; wave barrier
	s_waitcnt lgkmcnt(0)
	s_and_saveexec_b64 s[6:7], vcc
	s_cbranch_execz .LBB38_650
; %bb.641:
	s_and_b64 vcc, exec, s[4:5]
	s_cbranch_vccnz .LBB38_643
; %bb.642:
	buffer_load_dword v80, v83, s[0:3], 0 offen
	buffer_load_dword v81, v83, s[0:3], 0 offen offset:4
	ds_read_b64 v[84:85], v82
	s_waitcnt vmcnt(0) lgkmcnt(0)
	v_mul_f64 v[80:81], v[80:81], v[84:85]
	s_cbranch_execz .LBB38_644
	s_branch .LBB38_645
.LBB38_643:
                                        ; implicit-def: $vgpr80_vgpr81
.LBB38_644:
	ds_read_b64 v[80:81], v82
.LBB38_645:
	v_cmp_ne_u32_e32 vcc, 27, v0
	s_and_saveexec_b64 s[8:9], vcc
	s_cbranch_execz .LBB38_649
; %bb.646:
	v_mov_b32_e32 v85, 0
	v_add_u32_e32 v84, 0x148, v1
	v_add3_u32 v85, v1, v85, 8
	s_mov_b64 s[10:11], 0
	v_mov_b32_e32 v86, v0
.LBB38_647:                             ; =>This Inner Loop Header: Depth=1
	buffer_load_dword v88, v85, s[0:3], 0 offen
	buffer_load_dword v89, v85, s[0:3], 0 offen offset:4
	ds_read_b64 v[90:91], v84
	v_add_u32_e32 v86, 1, v86
	v_cmp_lt_u32_e32 vcc, 26, v86
	v_add_u32_e32 v84, 8, v84
	v_add_u32_e32 v85, 8, v85
	s_or_b64 s[10:11], vcc, s[10:11]
	s_waitcnt vmcnt(0) lgkmcnt(0)
	v_fmac_f64_e32 v[80:81], v[88:89], v[90:91]
	s_andn2_b64 exec, exec, s[10:11]
	s_cbranch_execnz .LBB38_647
; %bb.648:
	s_or_b64 exec, exec, s[10:11]
.LBB38_649:
	s_or_b64 exec, exec, s[8:9]
	v_mov_b32_e32 v84, 0
	ds_read_b64 v[84:85], v84 offset:224
	s_waitcnt lgkmcnt(0)
	v_mul_f64 v[80:81], v[80:81], v[84:85]
	buffer_store_dword v81, off, s[0:3], 0 offset:228
	buffer_store_dword v80, off, s[0:3], 0 offset:224
.LBB38_650:
	s_or_b64 exec, exec, s[6:7]
	buffer_load_dword v80, off, s[0:3], 0 offset:232
	buffer_load_dword v81, off, s[0:3], 0 offset:236
	v_cmp_gt_u32_e32 vcc, 29, v0
	s_waitcnt vmcnt(0)
	ds_write_b64 v82, v[80:81]
	s_waitcnt lgkmcnt(0)
	; wave barrier
	s_waitcnt lgkmcnt(0)
	s_and_saveexec_b64 s[6:7], vcc
	s_cbranch_execz .LBB38_660
; %bb.651:
	s_and_b64 vcc, exec, s[4:5]
	s_cbranch_vccnz .LBB38_653
; %bb.652:
	buffer_load_dword v80, v83, s[0:3], 0 offen
	buffer_load_dword v81, v83, s[0:3], 0 offen offset:4
	ds_read_b64 v[84:85], v82
	s_waitcnt vmcnt(0) lgkmcnt(0)
	v_mul_f64 v[80:81], v[80:81], v[84:85]
	s_cbranch_execz .LBB38_654
	s_branch .LBB38_655
.LBB38_653:
                                        ; implicit-def: $vgpr80_vgpr81
.LBB38_654:
	ds_read_b64 v[80:81], v82
.LBB38_655:
	v_cmp_ne_u32_e32 vcc, 28, v0
	s_and_saveexec_b64 s[8:9], vcc
	s_cbranch_execz .LBB38_659
; %bb.656:
	v_mov_b32_e32 v85, 0
	v_add_u32_e32 v84, 0x148, v1
	v_add3_u32 v85, v1, v85, 8
	s_mov_b64 s[10:11], 0
	v_mov_b32_e32 v86, v0
.LBB38_657:                             ; =>This Inner Loop Header: Depth=1
	buffer_load_dword v88, v85, s[0:3], 0 offen
	buffer_load_dword v89, v85, s[0:3], 0 offen offset:4
	ds_read_b64 v[90:91], v84
	v_add_u32_e32 v86, 1, v86
	v_cmp_lt_u32_e32 vcc, 27, v86
	v_add_u32_e32 v84, 8, v84
	v_add_u32_e32 v85, 8, v85
	s_or_b64 s[10:11], vcc, s[10:11]
	s_waitcnt vmcnt(0) lgkmcnt(0)
	v_fmac_f64_e32 v[80:81], v[88:89], v[90:91]
	s_andn2_b64 exec, exec, s[10:11]
	s_cbranch_execnz .LBB38_657
; %bb.658:
	s_or_b64 exec, exec, s[10:11]
.LBB38_659:
	s_or_b64 exec, exec, s[8:9]
	v_mov_b32_e32 v84, 0
	ds_read_b64 v[84:85], v84 offset:232
	s_waitcnt lgkmcnt(0)
	v_mul_f64 v[80:81], v[80:81], v[84:85]
	buffer_store_dword v81, off, s[0:3], 0 offset:236
	buffer_store_dword v80, off, s[0:3], 0 offset:232
.LBB38_660:
	s_or_b64 exec, exec, s[6:7]
	buffer_load_dword v80, off, s[0:3], 0 offset:240
	buffer_load_dword v81, off, s[0:3], 0 offset:244
	v_cmp_gt_u32_e32 vcc, 30, v0
	s_waitcnt vmcnt(0)
	ds_write_b64 v82, v[80:81]
	s_waitcnt lgkmcnt(0)
	; wave barrier
	s_waitcnt lgkmcnt(0)
	s_and_saveexec_b64 s[6:7], vcc
	s_cbranch_execz .LBB38_670
; %bb.661:
	s_and_b64 vcc, exec, s[4:5]
	s_cbranch_vccnz .LBB38_663
; %bb.662:
	buffer_load_dword v80, v83, s[0:3], 0 offen
	buffer_load_dword v81, v83, s[0:3], 0 offen offset:4
	ds_read_b64 v[84:85], v82
	s_waitcnt vmcnt(0) lgkmcnt(0)
	v_mul_f64 v[80:81], v[80:81], v[84:85]
	s_cbranch_execz .LBB38_664
	s_branch .LBB38_665
.LBB38_663:
                                        ; implicit-def: $vgpr80_vgpr81
.LBB38_664:
	ds_read_b64 v[80:81], v82
.LBB38_665:
	v_cmp_ne_u32_e32 vcc, 29, v0
	s_and_saveexec_b64 s[8:9], vcc
	s_cbranch_execz .LBB38_669
; %bb.666:
	v_mov_b32_e32 v85, 0
	v_add_u32_e32 v84, 0x148, v1
	v_add3_u32 v85, v1, v85, 8
	s_mov_b64 s[10:11], 0
	v_mov_b32_e32 v86, v0
.LBB38_667:                             ; =>This Inner Loop Header: Depth=1
	buffer_load_dword v88, v85, s[0:3], 0 offen
	buffer_load_dword v89, v85, s[0:3], 0 offen offset:4
	ds_read_b64 v[90:91], v84
	v_add_u32_e32 v86, 1, v86
	v_cmp_lt_u32_e32 vcc, 28, v86
	v_add_u32_e32 v84, 8, v84
	v_add_u32_e32 v85, 8, v85
	s_or_b64 s[10:11], vcc, s[10:11]
	s_waitcnt vmcnt(0) lgkmcnt(0)
	v_fmac_f64_e32 v[80:81], v[88:89], v[90:91]
	s_andn2_b64 exec, exec, s[10:11]
	s_cbranch_execnz .LBB38_667
; %bb.668:
	s_or_b64 exec, exec, s[10:11]
.LBB38_669:
	s_or_b64 exec, exec, s[8:9]
	v_mov_b32_e32 v84, 0
	ds_read_b64 v[84:85], v84 offset:240
	s_waitcnt lgkmcnt(0)
	v_mul_f64 v[80:81], v[80:81], v[84:85]
	buffer_store_dword v81, off, s[0:3], 0 offset:244
	buffer_store_dword v80, off, s[0:3], 0 offset:240
.LBB38_670:
	s_or_b64 exec, exec, s[6:7]
	buffer_load_dword v80, off, s[0:3], 0 offset:248
	buffer_load_dword v81, off, s[0:3], 0 offset:252
	v_cmp_gt_u32_e32 vcc, 31, v0
	s_waitcnt vmcnt(0)
	ds_write_b64 v82, v[80:81]
	s_waitcnt lgkmcnt(0)
	; wave barrier
	s_waitcnt lgkmcnt(0)
	s_and_saveexec_b64 s[6:7], vcc
	s_cbranch_execz .LBB38_680
; %bb.671:
	s_and_b64 vcc, exec, s[4:5]
	s_cbranch_vccnz .LBB38_673
; %bb.672:
	buffer_load_dword v80, v83, s[0:3], 0 offen
	buffer_load_dword v81, v83, s[0:3], 0 offen offset:4
	ds_read_b64 v[84:85], v82
	s_waitcnt vmcnt(0) lgkmcnt(0)
	v_mul_f64 v[80:81], v[80:81], v[84:85]
	s_cbranch_execz .LBB38_674
	s_branch .LBB38_675
.LBB38_673:
                                        ; implicit-def: $vgpr80_vgpr81
.LBB38_674:
	ds_read_b64 v[80:81], v82
.LBB38_675:
	v_cmp_ne_u32_e32 vcc, 30, v0
	s_and_saveexec_b64 s[8:9], vcc
	s_cbranch_execz .LBB38_679
; %bb.676:
	v_mov_b32_e32 v85, 0
	v_add_u32_e32 v84, 0x148, v1
	v_add3_u32 v85, v1, v85, 8
	s_mov_b64 s[10:11], 0
	v_mov_b32_e32 v86, v0
.LBB38_677:                             ; =>This Inner Loop Header: Depth=1
	buffer_load_dword v88, v85, s[0:3], 0 offen
	buffer_load_dword v89, v85, s[0:3], 0 offen offset:4
	ds_read_b64 v[90:91], v84
	v_add_u32_e32 v86, 1, v86
	v_cmp_lt_u32_e32 vcc, 29, v86
	v_add_u32_e32 v84, 8, v84
	v_add_u32_e32 v85, 8, v85
	s_or_b64 s[10:11], vcc, s[10:11]
	s_waitcnt vmcnt(0) lgkmcnt(0)
	v_fmac_f64_e32 v[80:81], v[88:89], v[90:91]
	s_andn2_b64 exec, exec, s[10:11]
	s_cbranch_execnz .LBB38_677
; %bb.678:
	s_or_b64 exec, exec, s[10:11]
.LBB38_679:
	s_or_b64 exec, exec, s[8:9]
	v_mov_b32_e32 v84, 0
	ds_read_b64 v[84:85], v84 offset:248
	s_waitcnt lgkmcnt(0)
	v_mul_f64 v[80:81], v[80:81], v[84:85]
	buffer_store_dword v81, off, s[0:3], 0 offset:252
	buffer_store_dword v80, off, s[0:3], 0 offset:248
.LBB38_680:
	s_or_b64 exec, exec, s[6:7]
	buffer_load_dword v80, off, s[0:3], 0 offset:256
	buffer_load_dword v81, off, s[0:3], 0 offset:260
	v_cmp_gt_u32_e32 vcc, 32, v0
	s_waitcnt vmcnt(0)
	ds_write_b64 v82, v[80:81]
	s_waitcnt lgkmcnt(0)
	; wave barrier
	s_waitcnt lgkmcnt(0)
	s_and_saveexec_b64 s[6:7], vcc
	s_cbranch_execz .LBB38_690
; %bb.681:
	s_and_b64 vcc, exec, s[4:5]
	s_cbranch_vccnz .LBB38_683
; %bb.682:
	buffer_load_dword v80, v83, s[0:3], 0 offen
	buffer_load_dword v81, v83, s[0:3], 0 offen offset:4
	ds_read_b64 v[84:85], v82
	s_waitcnt vmcnt(0) lgkmcnt(0)
	v_mul_f64 v[80:81], v[80:81], v[84:85]
	s_cbranch_execz .LBB38_684
	s_branch .LBB38_685
.LBB38_683:
                                        ; implicit-def: $vgpr80_vgpr81
.LBB38_684:
	ds_read_b64 v[80:81], v82
.LBB38_685:
	v_cmp_ne_u32_e32 vcc, 31, v0
	s_and_saveexec_b64 s[8:9], vcc
	s_cbranch_execz .LBB38_689
; %bb.686:
	v_mov_b32_e32 v85, 0
	v_add_u32_e32 v84, 0x148, v1
	v_add3_u32 v85, v1, v85, 8
	s_mov_b64 s[10:11], 0
	v_mov_b32_e32 v86, v0
.LBB38_687:                             ; =>This Inner Loop Header: Depth=1
	buffer_load_dword v88, v85, s[0:3], 0 offen
	buffer_load_dword v89, v85, s[0:3], 0 offen offset:4
	ds_read_b64 v[90:91], v84
	v_add_u32_e32 v86, 1, v86
	v_cmp_lt_u32_e32 vcc, 30, v86
	v_add_u32_e32 v84, 8, v84
	v_add_u32_e32 v85, 8, v85
	s_or_b64 s[10:11], vcc, s[10:11]
	s_waitcnt vmcnt(0) lgkmcnt(0)
	v_fmac_f64_e32 v[80:81], v[88:89], v[90:91]
	s_andn2_b64 exec, exec, s[10:11]
	s_cbranch_execnz .LBB38_687
; %bb.688:
	s_or_b64 exec, exec, s[10:11]
.LBB38_689:
	s_or_b64 exec, exec, s[8:9]
	v_mov_b32_e32 v84, 0
	ds_read_b64 v[84:85], v84 offset:256
	s_waitcnt lgkmcnt(0)
	v_mul_f64 v[80:81], v[80:81], v[84:85]
	buffer_store_dword v81, off, s[0:3], 0 offset:260
	buffer_store_dword v80, off, s[0:3], 0 offset:256
.LBB38_690:
	s_or_b64 exec, exec, s[6:7]
	buffer_load_dword v80, off, s[0:3], 0 offset:264
	buffer_load_dword v81, off, s[0:3], 0 offset:268
	v_cmp_gt_u32_e32 vcc, 33, v0
	s_waitcnt vmcnt(0)
	ds_write_b64 v82, v[80:81]
	s_waitcnt lgkmcnt(0)
	; wave barrier
	s_waitcnt lgkmcnt(0)
	s_and_saveexec_b64 s[6:7], vcc
	s_cbranch_execz .LBB38_700
; %bb.691:
	s_and_b64 vcc, exec, s[4:5]
	s_cbranch_vccnz .LBB38_693
; %bb.692:
	buffer_load_dword v80, v83, s[0:3], 0 offen
	buffer_load_dword v81, v83, s[0:3], 0 offen offset:4
	ds_read_b64 v[84:85], v82
	s_waitcnt vmcnt(0) lgkmcnt(0)
	v_mul_f64 v[80:81], v[80:81], v[84:85]
	s_cbranch_execz .LBB38_694
	s_branch .LBB38_695
.LBB38_693:
                                        ; implicit-def: $vgpr80_vgpr81
.LBB38_694:
	ds_read_b64 v[80:81], v82
.LBB38_695:
	v_cmp_ne_u32_e32 vcc, 32, v0
	s_and_saveexec_b64 s[8:9], vcc
	s_cbranch_execz .LBB38_699
; %bb.696:
	v_mov_b32_e32 v85, 0
	v_add_u32_e32 v84, 0x148, v1
	v_add3_u32 v85, v1, v85, 8
	s_mov_b64 s[10:11], 0
	v_mov_b32_e32 v86, v0
.LBB38_697:                             ; =>This Inner Loop Header: Depth=1
	buffer_load_dword v88, v85, s[0:3], 0 offen
	buffer_load_dword v89, v85, s[0:3], 0 offen offset:4
	ds_read_b64 v[90:91], v84
	v_add_u32_e32 v86, 1, v86
	v_cmp_lt_u32_e32 vcc, 31, v86
	v_add_u32_e32 v84, 8, v84
	v_add_u32_e32 v85, 8, v85
	s_or_b64 s[10:11], vcc, s[10:11]
	s_waitcnt vmcnt(0) lgkmcnt(0)
	v_fmac_f64_e32 v[80:81], v[88:89], v[90:91]
	s_andn2_b64 exec, exec, s[10:11]
	s_cbranch_execnz .LBB38_697
; %bb.698:
	s_or_b64 exec, exec, s[10:11]
.LBB38_699:
	s_or_b64 exec, exec, s[8:9]
	v_mov_b32_e32 v84, 0
	ds_read_b64 v[84:85], v84 offset:264
	s_waitcnt lgkmcnt(0)
	v_mul_f64 v[80:81], v[80:81], v[84:85]
	buffer_store_dword v81, off, s[0:3], 0 offset:268
	buffer_store_dword v80, off, s[0:3], 0 offset:264
.LBB38_700:
	s_or_b64 exec, exec, s[6:7]
	buffer_load_dword v80, off, s[0:3], 0 offset:272
	buffer_load_dword v81, off, s[0:3], 0 offset:276
	v_cmp_gt_u32_e32 vcc, 34, v0
	s_waitcnt vmcnt(0)
	ds_write_b64 v82, v[80:81]
	s_waitcnt lgkmcnt(0)
	; wave barrier
	s_waitcnt lgkmcnt(0)
	s_and_saveexec_b64 s[6:7], vcc
	s_cbranch_execz .LBB38_710
; %bb.701:
	s_and_b64 vcc, exec, s[4:5]
	s_cbranch_vccnz .LBB38_703
; %bb.702:
	buffer_load_dword v80, v83, s[0:3], 0 offen
	buffer_load_dword v81, v83, s[0:3], 0 offen offset:4
	ds_read_b64 v[84:85], v82
	s_waitcnt vmcnt(0) lgkmcnt(0)
	v_mul_f64 v[80:81], v[80:81], v[84:85]
	s_cbranch_execz .LBB38_704
	s_branch .LBB38_705
.LBB38_703:
                                        ; implicit-def: $vgpr80_vgpr81
.LBB38_704:
	ds_read_b64 v[80:81], v82
.LBB38_705:
	v_cmp_ne_u32_e32 vcc, 33, v0
	s_and_saveexec_b64 s[8:9], vcc
	s_cbranch_execz .LBB38_709
; %bb.706:
	v_mov_b32_e32 v85, 0
	v_add_u32_e32 v84, 0x148, v1
	v_add3_u32 v85, v1, v85, 8
	s_mov_b64 s[10:11], 0
	v_mov_b32_e32 v86, v0
.LBB38_707:                             ; =>This Inner Loop Header: Depth=1
	buffer_load_dword v88, v85, s[0:3], 0 offen
	buffer_load_dword v89, v85, s[0:3], 0 offen offset:4
	ds_read_b64 v[90:91], v84
	v_add_u32_e32 v86, 1, v86
	v_cmp_lt_u32_e32 vcc, 32, v86
	v_add_u32_e32 v84, 8, v84
	v_add_u32_e32 v85, 8, v85
	s_or_b64 s[10:11], vcc, s[10:11]
	s_waitcnt vmcnt(0) lgkmcnt(0)
	v_fmac_f64_e32 v[80:81], v[88:89], v[90:91]
	s_andn2_b64 exec, exec, s[10:11]
	s_cbranch_execnz .LBB38_707
; %bb.708:
	s_or_b64 exec, exec, s[10:11]
.LBB38_709:
	s_or_b64 exec, exec, s[8:9]
	v_mov_b32_e32 v84, 0
	ds_read_b64 v[84:85], v84 offset:272
	s_waitcnt lgkmcnt(0)
	v_mul_f64 v[80:81], v[80:81], v[84:85]
	buffer_store_dword v81, off, s[0:3], 0 offset:276
	buffer_store_dword v80, off, s[0:3], 0 offset:272
.LBB38_710:
	s_or_b64 exec, exec, s[6:7]
	buffer_load_dword v80, off, s[0:3], 0 offset:280
	buffer_load_dword v81, off, s[0:3], 0 offset:284
	v_cmp_gt_u32_e32 vcc, 35, v0
	s_waitcnt vmcnt(0)
	ds_write_b64 v82, v[80:81]
	s_waitcnt lgkmcnt(0)
	; wave barrier
	s_waitcnt lgkmcnt(0)
	s_and_saveexec_b64 s[6:7], vcc
	s_cbranch_execz .LBB38_720
; %bb.711:
	s_and_b64 vcc, exec, s[4:5]
	s_cbranch_vccnz .LBB38_713
; %bb.712:
	buffer_load_dword v80, v83, s[0:3], 0 offen
	buffer_load_dword v81, v83, s[0:3], 0 offen offset:4
	ds_read_b64 v[84:85], v82
	s_waitcnt vmcnt(0) lgkmcnt(0)
	v_mul_f64 v[80:81], v[80:81], v[84:85]
	s_cbranch_execz .LBB38_714
	s_branch .LBB38_715
.LBB38_713:
                                        ; implicit-def: $vgpr80_vgpr81
.LBB38_714:
	ds_read_b64 v[80:81], v82
.LBB38_715:
	v_cmp_ne_u32_e32 vcc, 34, v0
	s_and_saveexec_b64 s[8:9], vcc
	s_cbranch_execz .LBB38_719
; %bb.716:
	v_mov_b32_e32 v85, 0
	v_add_u32_e32 v84, 0x148, v1
	v_add3_u32 v85, v1, v85, 8
	s_mov_b64 s[10:11], 0
	v_mov_b32_e32 v86, v0
.LBB38_717:                             ; =>This Inner Loop Header: Depth=1
	buffer_load_dword v88, v85, s[0:3], 0 offen
	buffer_load_dword v89, v85, s[0:3], 0 offen offset:4
	ds_read_b64 v[90:91], v84
	v_add_u32_e32 v86, 1, v86
	v_cmp_lt_u32_e32 vcc, 33, v86
	v_add_u32_e32 v84, 8, v84
	v_add_u32_e32 v85, 8, v85
	s_or_b64 s[10:11], vcc, s[10:11]
	s_waitcnt vmcnt(0) lgkmcnt(0)
	v_fmac_f64_e32 v[80:81], v[88:89], v[90:91]
	s_andn2_b64 exec, exec, s[10:11]
	s_cbranch_execnz .LBB38_717
; %bb.718:
	s_or_b64 exec, exec, s[10:11]
.LBB38_719:
	s_or_b64 exec, exec, s[8:9]
	v_mov_b32_e32 v84, 0
	ds_read_b64 v[84:85], v84 offset:280
	s_waitcnt lgkmcnt(0)
	v_mul_f64 v[80:81], v[80:81], v[84:85]
	buffer_store_dword v81, off, s[0:3], 0 offset:284
	buffer_store_dword v80, off, s[0:3], 0 offset:280
.LBB38_720:
	s_or_b64 exec, exec, s[6:7]
	buffer_load_dword v80, off, s[0:3], 0 offset:288
	buffer_load_dword v81, off, s[0:3], 0 offset:292
	v_cmp_gt_u32_e32 vcc, 36, v0
	s_waitcnt vmcnt(0)
	ds_write_b64 v82, v[80:81]
	s_waitcnt lgkmcnt(0)
	; wave barrier
	s_waitcnt lgkmcnt(0)
	s_and_saveexec_b64 s[6:7], vcc
	s_cbranch_execz .LBB38_730
; %bb.721:
	s_and_b64 vcc, exec, s[4:5]
	s_cbranch_vccnz .LBB38_723
; %bb.722:
	buffer_load_dword v80, v83, s[0:3], 0 offen
	buffer_load_dword v81, v83, s[0:3], 0 offen offset:4
	ds_read_b64 v[84:85], v82
	s_waitcnt vmcnt(0) lgkmcnt(0)
	v_mul_f64 v[80:81], v[80:81], v[84:85]
	s_cbranch_execz .LBB38_724
	s_branch .LBB38_725
.LBB38_723:
                                        ; implicit-def: $vgpr80_vgpr81
.LBB38_724:
	ds_read_b64 v[80:81], v82
.LBB38_725:
	v_cmp_ne_u32_e32 vcc, 35, v0
	s_and_saveexec_b64 s[8:9], vcc
	s_cbranch_execz .LBB38_729
; %bb.726:
	v_mov_b32_e32 v85, 0
	v_add_u32_e32 v84, 0x148, v1
	v_add3_u32 v85, v1, v85, 8
	s_mov_b64 s[10:11], 0
	v_mov_b32_e32 v86, v0
.LBB38_727:                             ; =>This Inner Loop Header: Depth=1
	buffer_load_dword v88, v85, s[0:3], 0 offen
	buffer_load_dword v89, v85, s[0:3], 0 offen offset:4
	ds_read_b64 v[90:91], v84
	v_add_u32_e32 v86, 1, v86
	v_cmp_lt_u32_e32 vcc, 34, v86
	v_add_u32_e32 v84, 8, v84
	v_add_u32_e32 v85, 8, v85
	s_or_b64 s[10:11], vcc, s[10:11]
	s_waitcnt vmcnt(0) lgkmcnt(0)
	v_fmac_f64_e32 v[80:81], v[88:89], v[90:91]
	s_andn2_b64 exec, exec, s[10:11]
	s_cbranch_execnz .LBB38_727
; %bb.728:
	s_or_b64 exec, exec, s[10:11]
.LBB38_729:
	s_or_b64 exec, exec, s[8:9]
	v_mov_b32_e32 v84, 0
	ds_read_b64 v[84:85], v84 offset:288
	s_waitcnt lgkmcnt(0)
	v_mul_f64 v[80:81], v[80:81], v[84:85]
	buffer_store_dword v81, off, s[0:3], 0 offset:292
	buffer_store_dword v80, off, s[0:3], 0 offset:288
.LBB38_730:
	s_or_b64 exec, exec, s[6:7]
	buffer_load_dword v80, off, s[0:3], 0 offset:296
	buffer_load_dword v81, off, s[0:3], 0 offset:300
	v_cmp_gt_u32_e64 s[6:7], 37, v0
	s_waitcnt vmcnt(0)
	ds_write_b64 v82, v[80:81]
	s_waitcnt lgkmcnt(0)
	; wave barrier
	s_waitcnt lgkmcnt(0)
	s_and_saveexec_b64 s[8:9], s[6:7]
	s_cbranch_execz .LBB38_740
; %bb.731:
	s_and_b64 vcc, exec, s[4:5]
	s_cbranch_vccnz .LBB38_733
; %bb.732:
	buffer_load_dword v80, v83, s[0:3], 0 offen
	buffer_load_dword v81, v83, s[0:3], 0 offen offset:4
	ds_read_b64 v[84:85], v82
	s_waitcnt vmcnt(0) lgkmcnt(0)
	v_mul_f64 v[80:81], v[80:81], v[84:85]
	s_cbranch_execz .LBB38_734
	s_branch .LBB38_735
.LBB38_733:
                                        ; implicit-def: $vgpr80_vgpr81
.LBB38_734:
	ds_read_b64 v[80:81], v82
.LBB38_735:
	v_cmp_ne_u32_e32 vcc, 36, v0
	s_and_saveexec_b64 s[10:11], vcc
	s_cbranch_execz .LBB38_739
; %bb.736:
	v_mov_b32_e32 v85, 0
	v_add_u32_e32 v84, 0x148, v1
	v_add3_u32 v85, v1, v85, 8
	s_mov_b64 s[12:13], 0
	v_mov_b32_e32 v86, v0
.LBB38_737:                             ; =>This Inner Loop Header: Depth=1
	buffer_load_dword v88, v85, s[0:3], 0 offen
	buffer_load_dword v89, v85, s[0:3], 0 offen offset:4
	ds_read_b64 v[90:91], v84
	v_add_u32_e32 v86, 1, v86
	v_cmp_lt_u32_e32 vcc, 35, v86
	v_add_u32_e32 v84, 8, v84
	v_add_u32_e32 v85, 8, v85
	s_or_b64 s[12:13], vcc, s[12:13]
	s_waitcnt vmcnt(0) lgkmcnt(0)
	v_fmac_f64_e32 v[80:81], v[88:89], v[90:91]
	s_andn2_b64 exec, exec, s[12:13]
	s_cbranch_execnz .LBB38_737
; %bb.738:
	s_or_b64 exec, exec, s[12:13]
.LBB38_739:
	s_or_b64 exec, exec, s[10:11]
	v_mov_b32_e32 v84, 0
	ds_read_b64 v[84:85], v84 offset:296
	s_waitcnt lgkmcnt(0)
	v_mul_f64 v[80:81], v[80:81], v[84:85]
	buffer_store_dword v81, off, s[0:3], 0 offset:300
	buffer_store_dword v80, off, s[0:3], 0 offset:296
.LBB38_740:
	s_or_b64 exec, exec, s[8:9]
	buffer_load_dword v80, off, s[0:3], 0 offset:304
	buffer_load_dword v81, off, s[0:3], 0 offset:308
	v_cmp_ne_u32_e32 vcc, 38, v0
	s_waitcnt vmcnt(0)
	ds_write_b64 v82, v[80:81]
	s_waitcnt lgkmcnt(0)
	; wave barrier
	s_waitcnt lgkmcnt(0)
	s_and_saveexec_b64 s[8:9], vcc
	s_cbranch_execz .LBB38_750
; %bb.741:
	s_and_b64 vcc, exec, s[4:5]
	s_cbranch_vccnz .LBB38_743
; %bb.742:
	buffer_load_dword v80, v83, s[0:3], 0 offen
	buffer_load_dword v81, v83, s[0:3], 0 offen offset:4
	ds_read_b64 v[84:85], v82
	s_waitcnt vmcnt(0) lgkmcnt(0)
	v_mul_f64 v[80:81], v[80:81], v[84:85]
	s_cbranch_execz .LBB38_744
	s_branch .LBB38_745
.LBB38_743:
                                        ; implicit-def: $vgpr80_vgpr81
.LBB38_744:
	ds_read_b64 v[80:81], v82
.LBB38_745:
	s_and_saveexec_b64 s[4:5], s[6:7]
	s_cbranch_execz .LBB38_749
; %bb.746:
	v_mov_b32_e32 v83, 0
	v_add_u32_e32 v82, 0x148, v1
	v_add3_u32 v1, v1, v83, 8
	s_mov_b64 s[6:7], 0
.LBB38_747:                             ; =>This Inner Loop Header: Depth=1
	buffer_load_dword v84, v1, s[0:3], 0 offen
	buffer_load_dword v85, v1, s[0:3], 0 offen offset:4
	ds_read_b64 v[86:87], v82
	v_add_u32_e32 v0, 1, v0
	v_cmp_lt_u32_e32 vcc, 36, v0
	v_add_u32_e32 v82, 8, v82
	v_add_u32_e32 v1, 8, v1
	s_or_b64 s[6:7], vcc, s[6:7]
	s_waitcnt vmcnt(0) lgkmcnt(0)
	v_fmac_f64_e32 v[80:81], v[84:85], v[86:87]
	s_andn2_b64 exec, exec, s[6:7]
	s_cbranch_execnz .LBB38_747
; %bb.748:
	s_or_b64 exec, exec, s[6:7]
.LBB38_749:
	s_or_b64 exec, exec, s[4:5]
	v_mov_b32_e32 v0, 0
	ds_read_b64 v[0:1], v0 offset:304
	s_waitcnt lgkmcnt(0)
	v_mul_f64 v[0:1], v[80:81], v[0:1]
	buffer_store_dword v1, off, s[0:3], 0 offset:308
	buffer_store_dword v0, off, s[0:3], 0 offset:304
.LBB38_750:
	s_or_b64 exec, exec, s[8:9]
.LBB38_751:
	buffer_load_dword v0, off, s[0:3], 0
	buffer_load_dword v1, off, s[0:3], 0 offset:4
	buffer_load_dword v80, off, s[0:3], 0 offset:8
	;; [unrolled: 1-line block ×15, first 2 shown]
	s_waitcnt vmcnt(14)
	global_store_dwordx2 v[76:77], v[0:1], off
	s_waitcnt vmcnt(13)
	global_store_dwordx2 v[78:79], v[80:81], off
	;; [unrolled: 2-line block ×8, first 2 shown]
	buffer_load_dword v1, off, s[0:3], 0 offset:68
	buffer_load_dword v0, off, s[0:3], 0 offset:64
	s_waitcnt vmcnt(0)
	global_store_dwordx2 v[20:21], v[0:1], off
	buffer_load_dword v0, off, s[0:3], 0 offset:72
	s_nop 0
	buffer_load_dword v1, off, s[0:3], 0 offset:76
	s_waitcnt vmcnt(0)
	global_store_dwordx2 v[12:13], v[0:1], off
	buffer_load_dword v0, off, s[0:3], 0 offset:80
	s_nop 0
	;; [unrolled: 5-line block ×30, first 2 shown]
	buffer_load_dword v1, off, s[0:3], 0 offset:308
	s_waitcnt vmcnt(0)
	global_store_dwordx2 v[60:61], v[0:1], off
.LBB38_752:
	s_endpgm
	.section	.rodata,"a",@progbits
	.p2align	6, 0x0
	.amdhsa_kernel _ZN9rocsolver6v33100L18trti2_kernel_smallILi39EdPdEEv13rocblas_fill_17rocblas_diagonal_T1_iil
		.amdhsa_group_segment_fixed_size 632
		.amdhsa_private_segment_fixed_size 320
		.amdhsa_kernarg_size 32
		.amdhsa_user_sgpr_count 8
		.amdhsa_user_sgpr_private_segment_buffer 1
		.amdhsa_user_sgpr_dispatch_ptr 0
		.amdhsa_user_sgpr_queue_ptr 0
		.amdhsa_user_sgpr_kernarg_segment_ptr 1
		.amdhsa_user_sgpr_dispatch_id 0
		.amdhsa_user_sgpr_flat_scratch_init 1
		.amdhsa_user_sgpr_kernarg_preload_length 0
		.amdhsa_user_sgpr_kernarg_preload_offset 0
		.amdhsa_user_sgpr_private_segment_size 0
		.amdhsa_uses_dynamic_stack 0
		.amdhsa_system_sgpr_private_segment_wavefront_offset 1
		.amdhsa_system_sgpr_workgroup_id_x 1
		.amdhsa_system_sgpr_workgroup_id_y 0
		.amdhsa_system_sgpr_workgroup_id_z 0
		.amdhsa_system_sgpr_workgroup_info 0
		.amdhsa_system_vgpr_workitem_id 0
		.amdhsa_next_free_vgpr 126
		.amdhsa_next_free_sgpr 20
		.amdhsa_accum_offset 128
		.amdhsa_reserve_vcc 1
		.amdhsa_reserve_flat_scratch 0
		.amdhsa_float_round_mode_32 0
		.amdhsa_float_round_mode_16_64 0
		.amdhsa_float_denorm_mode_32 3
		.amdhsa_float_denorm_mode_16_64 3
		.amdhsa_dx10_clamp 1
		.amdhsa_ieee_mode 1
		.amdhsa_fp16_overflow 0
		.amdhsa_tg_split 0
		.amdhsa_exception_fp_ieee_invalid_op 0
		.amdhsa_exception_fp_denorm_src 0
		.amdhsa_exception_fp_ieee_div_zero 0
		.amdhsa_exception_fp_ieee_overflow 0
		.amdhsa_exception_fp_ieee_underflow 0
		.amdhsa_exception_fp_ieee_inexact 0
		.amdhsa_exception_int_div_zero 0
	.end_amdhsa_kernel
	.section	.text._ZN9rocsolver6v33100L18trti2_kernel_smallILi39EdPdEEv13rocblas_fill_17rocblas_diagonal_T1_iil,"axG",@progbits,_ZN9rocsolver6v33100L18trti2_kernel_smallILi39EdPdEEv13rocblas_fill_17rocblas_diagonal_T1_iil,comdat
.Lfunc_end38:
	.size	_ZN9rocsolver6v33100L18trti2_kernel_smallILi39EdPdEEv13rocblas_fill_17rocblas_diagonal_T1_iil, .Lfunc_end38-_ZN9rocsolver6v33100L18trti2_kernel_smallILi39EdPdEEv13rocblas_fill_17rocblas_diagonal_T1_iil
                                        ; -- End function
	.section	.AMDGPU.csdata,"",@progbits
; Kernel info:
; codeLenInByte = 22800
; NumSgprs: 24
; NumVgprs: 126
; NumAgprs: 0
; TotalNumVgprs: 126
; ScratchSize: 320
; MemoryBound: 0
; FloatMode: 240
; IeeeMode: 1
; LDSByteSize: 632 bytes/workgroup (compile time only)
; SGPRBlocks: 2
; VGPRBlocks: 15
; NumSGPRsForWavesPerEU: 24
; NumVGPRsForWavesPerEU: 126
; AccumOffset: 128
; Occupancy: 4
; WaveLimiterHint : 0
; COMPUTE_PGM_RSRC2:SCRATCH_EN: 1
; COMPUTE_PGM_RSRC2:USER_SGPR: 8
; COMPUTE_PGM_RSRC2:TRAP_HANDLER: 0
; COMPUTE_PGM_RSRC2:TGID_X_EN: 1
; COMPUTE_PGM_RSRC2:TGID_Y_EN: 0
; COMPUTE_PGM_RSRC2:TGID_Z_EN: 0
; COMPUTE_PGM_RSRC2:TIDIG_COMP_CNT: 0
; COMPUTE_PGM_RSRC3_GFX90A:ACCUM_OFFSET: 31
; COMPUTE_PGM_RSRC3_GFX90A:TG_SPLIT: 0
	.section	.text._ZN9rocsolver6v33100L18trti2_kernel_smallILi40EdPdEEv13rocblas_fill_17rocblas_diagonal_T1_iil,"axG",@progbits,_ZN9rocsolver6v33100L18trti2_kernel_smallILi40EdPdEEv13rocblas_fill_17rocblas_diagonal_T1_iil,comdat
	.globl	_ZN9rocsolver6v33100L18trti2_kernel_smallILi40EdPdEEv13rocblas_fill_17rocblas_diagonal_T1_iil ; -- Begin function _ZN9rocsolver6v33100L18trti2_kernel_smallILi40EdPdEEv13rocblas_fill_17rocblas_diagonal_T1_iil
	.p2align	8
	.type	_ZN9rocsolver6v33100L18trti2_kernel_smallILi40EdPdEEv13rocblas_fill_17rocblas_diagonal_T1_iil,@function
_ZN9rocsolver6v33100L18trti2_kernel_smallILi40EdPdEEv13rocblas_fill_17rocblas_diagonal_T1_iil: ; @_ZN9rocsolver6v33100L18trti2_kernel_smallILi40EdPdEEv13rocblas_fill_17rocblas_diagonal_T1_iil
; %bb.0:
	s_add_u32 s0, s0, s9
	s_addc_u32 s1, s1, 0
	v_cmp_gt_u32_e32 vcc, 40, v0
	s_and_saveexec_b64 s[6:7], vcc
	s_cbranch_execz .LBB39_772
; %bb.1:
	s_load_dwordx8 s[12:19], s[4:5], 0x0
	s_ashr_i32 s6, s8, 31
	s_waitcnt lgkmcnt(0)
	s_mul_i32 s7, s8, s19
	s_mul_hi_u32 s9, s8, s18
	s_add_i32 s7, s9, s7
	s_mul_i32 s6, s6, s18
	s_add_i32 s7, s7, s6
	s_mul_i32 s6, s8, s18
	s_ashr_i32 s5, s16, 31
	s_lshl_b64 s[6:7], s[6:7], 3
	s_mov_b32 s4, s16
	s_add_u32 s6, s14, s6
	s_addc_u32 s7, s15, s7
	s_lshl_b64 s[4:5], s[4:5], 3
	s_add_u32 s4, s6, s4
	s_addc_u32 s5, s7, s5
	s_add_i32 s6, s17, s17
	v_add_u32_e32 v4, s6, v0
	v_ashrrev_i32_e32 v5, 31, v4
	v_lshlrev_b64 v[2:3], 3, v[4:5]
	v_add_u32_e32 v6, s17, v4
	v_mov_b32_e32 v1, s5
	v_add_co_u32_e32 v2, vcc, s4, v2
	v_ashrrev_i32_e32 v7, 31, v6
	v_addc_co_u32_e32 v3, vcc, v1, v3, vcc
	v_lshlrev_b64 v[4:5], 3, v[6:7]
	v_add_u32_e32 v8, s17, v6
	v_add_co_u32_e32 v4, vcc, s4, v4
	v_ashrrev_i32_e32 v9, 31, v8
	v_addc_co_u32_e32 v5, vcc, v1, v5, vcc
	v_lshlrev_b64 v[6:7], 3, v[8:9]
	v_add_u32_e32 v10, s17, v8
	;; [unrolled: 5-line block ×31, first 2 shown]
	v_add_co_u32_e32 v64, vcc, s4, v64
	v_ashrrev_i32_e32 v69, 31, v68
	v_addc_co_u32_e32 v65, vcc, v1, v65, vcc
	v_lshlrev_b64 v[66:67], 3, v[68:69]
	v_add_co_u32_e32 v66, vcc, s4, v66
	v_addc_co_u32_e32 v67, vcc, v1, v67, vcc
	v_lshlrev_b32_e32 v1, 3, v0
	v_add_u32_e32 v74, s17, v68
	v_mov_b32_e32 v68, s5
	v_add_co_u32_e32 v70, vcc, s4, v1
	s_ashr_i32 s7, s17, 31
	s_mov_b32 s6, s17
	v_addc_co_u32_e32 v71, vcc, 0, v68, vcc
	s_lshl_b64 s[6:7], s[6:7], 3
	v_ashrrev_i32_e32 v75, 31, v74
	v_mov_b32_e32 v68, s7
	v_add_co_u32_e32 v72, vcc, s6, v70
	v_addc_co_u32_e32 v73, vcc, v71, v68, vcc
	v_lshlrev_b64 v[68:69], 3, v[74:75]
	v_mov_b32_e32 v76, s5
	v_add_co_u32_e32 v68, vcc, s4, v68
	v_addc_co_u32_e32 v69, vcc, v76, v69, vcc
	v_add_u32_e32 v76, s17, v74
	v_ashrrev_i32_e32 v77, 31, v76
	v_lshlrev_b64 v[74:75], 3, v[76:77]
	v_mov_b32_e32 v78, s5
	v_add_co_u32_e32 v74, vcc, s4, v74
	v_addc_co_u32_e32 v75, vcc, v78, v75, vcc
	v_add_u32_e32 v78, s17, v76
	v_ashrrev_i32_e32 v79, 31, v78
	v_lshlrev_b64 v[76:77], 3, v[78:79]
	v_mov_b32_e32 v80, s5
	v_add_co_u32_e32 v76, vcc, s4, v76
	v_addc_co_u32_e32 v77, vcc, v80, v77, vcc
	v_add_u32_e32 v80, s17, v78
	v_ashrrev_i32_e32 v81, 31, v80
	v_lshlrev_b64 v[78:79], 3, v[80:81]
	v_mov_b32_e32 v144, s5
	v_add_co_u32_e32 v78, vcc, s4, v78
	global_load_dwordx2 v[82:83], v1, s[4:5]
	global_load_dwordx2 v[86:87], v[2:3], off
	global_load_dwordx2 v[84:85], v[72:73], off
	;; [unrolled: 1-line block ×30, first 2 shown]
	v_addc_co_u32_e32 v79, vcc, v144, v79, vcc
	global_load_dwordx2 v[144:145], v[60:61], off
	global_load_dwordx2 v[146:147], v[62:63], off
	;; [unrolled: 1-line block ×8, first 2 shown]
	v_add_u32_e32 v80, s17, v80
	v_ashrrev_i32_e32 v81, 31, v80
	v_lshlrev_b64 v[80:81], 3, v[80:81]
	v_mov_b32_e32 v160, s5
	v_add_co_u32_e32 v80, vcc, s4, v80
	v_addc_co_u32_e32 v81, vcc, v160, v81, vcc
	global_load_dwordx2 v[160:161], v[80:81], off
	s_waitcnt vmcnt(39)
	buffer_store_dword v83, off, s[0:3], 0 offset:4
	buffer_store_dword v82, off, s[0:3], 0
	s_waitcnt vmcnt(39)
	buffer_store_dword v85, off, s[0:3], 0 offset:12
	buffer_store_dword v84, off, s[0:3], 0 offset:8
	;; [unrolled: 1-line block ×4, first 2 shown]
	s_waitcnt vmcnt(42)
	buffer_store_dword v89, off, s[0:3], 0 offset:28
	buffer_store_dword v88, off, s[0:3], 0 offset:24
	s_waitcnt vmcnt(43)
	buffer_store_dword v91, off, s[0:3], 0 offset:36
	buffer_store_dword v90, off, s[0:3], 0 offset:32
	;; [unrolled: 3-line block ×22, first 2 shown]
	buffer_store_dword v133, off, s[0:3], 0 offset:204
	buffer_store_dword v132, off, s[0:3], 0 offset:200
	s_waitcnt vmcnt(62)
	buffer_store_dword v135, off, s[0:3], 0 offset:212
	buffer_store_dword v134, off, s[0:3], 0 offset:208
	;; [unrolled: 1-line block ×8, first 2 shown]
	s_waitcnt vmcnt(62)
	buffer_store_dword v142, off, s[0:3], 0 offset:240
	buffer_store_dword v143, off, s[0:3], 0 offset:244
	;; [unrolled: 1-line block ×16, first 2 shown]
	s_waitcnt vmcnt(62)
	buffer_store_dword v159, off, s[0:3], 0 offset:308
	buffer_store_dword v158, off, s[0:3], 0 offset:304
	;; [unrolled: 1-line block ×4, first 2 shown]
	s_cmpk_lg_i32 s13, 0x84
	v_mov_b32_e32 v82, 0
	s_cselect_b64 s[8:9], -1, 0
	s_cmpk_eq_i32 s13, 0x84
	v_mov_b32_e32 v122, 0
	v_mov_b32_e32 v83, 0xbff00000
	s_cbranch_scc1 .LBB39_3
; %bb.2:
	v_lshl_add_u32 v92, v0, 3, v122
	buffer_load_dword v82, v92, s[0:3], 0 offen
	buffer_load_dword v83, v92, s[0:3], 0 offen offset:4
	s_waitcnt vmcnt(0)
	v_div_scale_f64 v[84:85], s[4:5], v[82:83], v[82:83], 1.0
	v_rcp_f64_e32 v[86:87], v[84:85]
	v_div_scale_f64 v[88:89], vcc, 1.0, v[82:83], 1.0
	v_fma_f64 v[90:91], -v[84:85], v[86:87], 1.0
	v_fmac_f64_e32 v[86:87], v[86:87], v[90:91]
	v_fma_f64 v[90:91], -v[84:85], v[86:87], 1.0
	v_fmac_f64_e32 v[86:87], v[86:87], v[90:91]
	v_mul_f64 v[90:91], v[88:89], v[86:87]
	v_fma_f64 v[84:85], -v[84:85], v[90:91], v[88:89]
	v_div_fmas_f64 v[84:85], v[84:85], v[86:87], v[90:91]
	v_div_fixup_f64 v[82:83], v[84:85], v[82:83], 1.0
	buffer_store_dword v82, v92, s[0:3], 0 offen
	buffer_store_dword v83, v92, s[0:3], 0 offen offset:4
	v_xor_b32_e32 v83, 0x80000000, v83
.LBB39_3:
	s_cmpk_eq_i32 s12, 0x79
	v_add_u32_e32 v84, 0x140, v1
	v_add_u32_e32 v85, 0, v1
	s_mov_b64 s[4:5], -1
	ds_write_b64 v1, v[82:83]
	s_cbranch_scc1 .LBB39_387
; %bb.4:
	buffer_load_dword v82, off, s[0:3], 0 offset:304
	buffer_load_dword v83, off, s[0:3], 0 offset:308
	v_cmp_eq_u32_e64 s[4:5], 39, v0
	s_waitcnt vmcnt(0)
	ds_write_b64 v84, v[82:83]
	s_waitcnt lgkmcnt(0)
	; wave barrier
	s_waitcnt lgkmcnt(0)
	s_and_saveexec_b64 s[6:7], s[4:5]
	s_cbranch_execz .LBB39_10
; %bb.5:
	s_and_b64 vcc, exec, s[8:9]
	s_cbranch_vccz .LBB39_7
; %bb.6:
	buffer_load_dword v82, v85, s[0:3], 0 offen
	buffer_load_dword v83, v85, s[0:3], 0 offen offset:4
	ds_read_b64 v[86:87], v84
	s_waitcnt vmcnt(0) lgkmcnt(0)
	v_mul_f64 v[82:83], v[82:83], v[86:87]
	s_cbranch_execz .LBB39_8
	s_branch .LBB39_9
.LBB39_7:
                                        ; implicit-def: $vgpr82_vgpr83
.LBB39_8:
	ds_read_b64 v[82:83], v84
.LBB39_9:
	v_mov_b32_e32 v86, 0
	ds_read_b64 v[86:87], v86 offset:304
	s_waitcnt lgkmcnt(0)
	v_mul_f64 v[82:83], v[82:83], v[86:87]
	buffer_store_dword v83, off, s[0:3], 0 offset:308
	buffer_store_dword v82, off, s[0:3], 0 offset:304
.LBB39_10:
	s_or_b64 exec, exec, s[6:7]
	buffer_load_dword v82, off, s[0:3], 0 offset:296
	buffer_load_dword v83, off, s[0:3], 0 offset:300
	v_or_b32_e32 v86, 8, v122
	v_add_u32_e32 v87, 16, v122
	v_add_u32_e32 v88, 24, v122
	;; [unrolled: 1-line block ×36, first 2 shown]
	v_cmp_lt_u32_e64 s[6:7], 37, v0
	s_waitcnt vmcnt(0)
	ds_write_b64 v84, v[82:83]
	s_waitcnt lgkmcnt(0)
	; wave barrier
	s_waitcnt lgkmcnt(0)
	s_and_saveexec_b64 s[10:11], s[6:7]
	s_cbranch_execz .LBB39_16
; %bb.11:
	s_andn2_b64 vcc, exec, s[8:9]
	s_cbranch_vccnz .LBB39_13
; %bb.12:
	buffer_load_dword v82, v85, s[0:3], 0 offen
	buffer_load_dword v83, v85, s[0:3], 0 offen offset:4
	ds_read_b64 v[124:125], v84
	s_waitcnt vmcnt(0) lgkmcnt(0)
	v_mul_f64 v[82:83], v[82:83], v[124:125]
	s_cbranch_execz .LBB39_14
	s_branch .LBB39_15
.LBB39_13:
                                        ; implicit-def: $vgpr82_vgpr83
.LBB39_14:
	ds_read_b64 v[82:83], v84
.LBB39_15:
	buffer_load_dword v128, off, s[0:3], 0 offset:304
	buffer_load_dword v129, off, s[0:3], 0 offset:308
	v_mov_b32_e32 v123, 0
	ds_read2_b64 v[124:127], v123 offset0:37 offset1:78
	s_waitcnt vmcnt(0) lgkmcnt(0)
	v_fma_f64 v[126:127], v[128:129], v[126:127], v[82:83]
	v_cndmask_b32_e64 v83, v83, v127, s[4:5]
	v_cndmask_b32_e64 v82, v82, v126, s[4:5]
	v_mul_f64 v[82:83], v[82:83], v[124:125]
	buffer_store_dword v83, off, s[0:3], 0 offset:300
	buffer_store_dword v82, off, s[0:3], 0 offset:296
.LBB39_16:
	s_or_b64 exec, exec, s[10:11]
	buffer_load_dword v82, off, s[0:3], 0 offset:288
	buffer_load_dword v83, off, s[0:3], 0 offset:292
	v_cmp_lt_u32_e64 s[4:5], 36, v0
	s_waitcnt vmcnt(0)
	ds_write_b64 v84, v[82:83]
	s_waitcnt lgkmcnt(0)
	; wave barrier
	s_waitcnt lgkmcnt(0)
	s_and_saveexec_b64 s[10:11], s[4:5]
	s_cbranch_execz .LBB39_26
; %bb.17:
	s_andn2_b64 vcc, exec, s[8:9]
	s_cbranch_vccnz .LBB39_19
; %bb.18:
	buffer_load_dword v82, v85, s[0:3], 0 offen
	buffer_load_dword v83, v85, s[0:3], 0 offen offset:4
	ds_read_b64 v[124:125], v84
	s_waitcnt vmcnt(0) lgkmcnt(0)
	v_mul_f64 v[82:83], v[82:83], v[124:125]
	s_cbranch_execz .LBB39_20
	s_branch .LBB39_21
.LBB39_19:
                                        ; implicit-def: $vgpr82_vgpr83
.LBB39_20:
	ds_read_b64 v[82:83], v84
.LBB39_21:
	s_and_saveexec_b64 s[12:13], s[6:7]
	s_cbranch_execz .LBB39_25
; %bb.22:
	v_subrev_u32_e32 v123, 37, v0
	s_movk_i32 s14, 0x268
	s_mov_b64 s[6:7], 0
.LBB39_23:                              ; =>This Inner Loop Header: Depth=1
	buffer_load_dword v124, v122, s[0:3], 0 offen
	buffer_load_dword v125, v122, s[0:3], 0 offen offset:4
	v_mov_b32_e32 v126, s14
	ds_read_b64 v[126:127], v126
	v_add_u32_e32 v123, -1, v123
	s_add_i32 s14, s14, 8
	v_cmp_eq_u32_e32 vcc, 0, v123
	v_add_u32_e32 v122, 8, v122
	s_or_b64 s[6:7], vcc, s[6:7]
	s_waitcnt vmcnt(0) lgkmcnt(0)
	v_fmac_f64_e32 v[82:83], v[124:125], v[126:127]
	s_andn2_b64 exec, exec, s[6:7]
	s_cbranch_execnz .LBB39_23
; %bb.24:
	s_or_b64 exec, exec, s[6:7]
.LBB39_25:
	s_or_b64 exec, exec, s[12:13]
	v_mov_b32_e32 v122, 0
	ds_read_b64 v[122:123], v122 offset:288
	s_waitcnt lgkmcnt(0)
	v_mul_f64 v[82:83], v[82:83], v[122:123]
	buffer_store_dword v83, off, s[0:3], 0 offset:292
	buffer_store_dword v82, off, s[0:3], 0 offset:288
.LBB39_26:
	s_or_b64 exec, exec, s[10:11]
	buffer_load_dword v82, off, s[0:3], 0 offset:280
	buffer_load_dword v83, off, s[0:3], 0 offset:284
	v_cmp_lt_u32_e64 s[6:7], 35, v0
	s_waitcnt vmcnt(0)
	ds_write_b64 v84, v[82:83]
	s_waitcnt lgkmcnt(0)
	; wave barrier
	s_waitcnt lgkmcnt(0)
	s_and_saveexec_b64 s[10:11], s[6:7]
	s_cbranch_execz .LBB39_36
; %bb.27:
	s_andn2_b64 vcc, exec, s[8:9]
	s_cbranch_vccnz .LBB39_29
; %bb.28:
	buffer_load_dword v82, v85, s[0:3], 0 offen
	buffer_load_dword v83, v85, s[0:3], 0 offen offset:4
	ds_read_b64 v[122:123], v84
	s_waitcnt vmcnt(0) lgkmcnt(0)
	v_mul_f64 v[82:83], v[82:83], v[122:123]
	s_cbranch_execz .LBB39_30
	s_branch .LBB39_31
.LBB39_29:
                                        ; implicit-def: $vgpr82_vgpr83
.LBB39_30:
	ds_read_b64 v[82:83], v84
.LBB39_31:
	s_and_saveexec_b64 s[12:13], s[4:5]
	s_cbranch_execz .LBB39_35
; %bb.32:
	v_subrev_u32_e32 v122, 36, v0
	s_movk_i32 s14, 0x260
	s_mov_b64 s[4:5], 0
.LBB39_33:                              ; =>This Inner Loop Header: Depth=1
	buffer_load_dword v124, v121, s[0:3], 0 offen
	buffer_load_dword v125, v121, s[0:3], 0 offen offset:4
	v_mov_b32_e32 v123, s14
	ds_read_b64 v[126:127], v123
	v_add_u32_e32 v122, -1, v122
	s_add_i32 s14, s14, 8
	v_cmp_eq_u32_e32 vcc, 0, v122
	v_add_u32_e32 v121, 8, v121
	s_or_b64 s[4:5], vcc, s[4:5]
	s_waitcnt vmcnt(0) lgkmcnt(0)
	v_fmac_f64_e32 v[82:83], v[124:125], v[126:127]
	s_andn2_b64 exec, exec, s[4:5]
	s_cbranch_execnz .LBB39_33
; %bb.34:
	s_or_b64 exec, exec, s[4:5]
.LBB39_35:
	s_or_b64 exec, exec, s[12:13]
	v_mov_b32_e32 v121, 0
	ds_read_b64 v[122:123], v121 offset:280
	s_waitcnt lgkmcnt(0)
	v_mul_f64 v[82:83], v[82:83], v[122:123]
	buffer_store_dword v83, off, s[0:3], 0 offset:284
	buffer_store_dword v82, off, s[0:3], 0 offset:280
.LBB39_36:
	;; [unrolled: 58-line block ×8, first 2 shown]
	s_or_b64 exec, exec, s[10:11]
	buffer_load_dword v82, off, s[0:3], 0 offset:224
	buffer_load_dword v83, off, s[0:3], 0 offset:228
	v_cmp_lt_u32_e64 s[4:5], 28, v0
	s_waitcnt vmcnt(0)
	ds_write_b64 v84, v[82:83]
	s_waitcnt lgkmcnt(0)
	; wave barrier
	s_waitcnt lgkmcnt(0)
	s_and_saveexec_b64 s[10:11], s[4:5]
	s_cbranch_execz .LBB39_106
; %bb.97:
	s_andn2_b64 vcc, exec, s[8:9]
	s_cbranch_vccnz .LBB39_99
; %bb.98:
	buffer_load_dword v82, v85, s[0:3], 0 offen
	buffer_load_dword v83, v85, s[0:3], 0 offen offset:4
	ds_read_b64 v[116:117], v84
	s_waitcnt vmcnt(0) lgkmcnt(0)
	v_mul_f64 v[82:83], v[82:83], v[116:117]
	s_cbranch_execz .LBB39_100
	s_branch .LBB39_101
.LBB39_99:
                                        ; implicit-def: $vgpr82_vgpr83
.LBB39_100:
	ds_read_b64 v[82:83], v84
.LBB39_101:
	s_and_saveexec_b64 s[12:13], s[6:7]
	s_cbranch_execz .LBB39_105
; %bb.102:
	v_subrev_u32_e32 v115, 29, v0
	s_movk_i32 s14, 0x228
	s_mov_b64 s[6:7], 0
.LBB39_103:                             ; =>This Inner Loop Header: Depth=1
	buffer_load_dword v116, v114, s[0:3], 0 offen
	buffer_load_dword v117, v114, s[0:3], 0 offen offset:4
	v_mov_b32_e32 v118, s14
	ds_read_b64 v[118:119], v118
	v_add_u32_e32 v115, -1, v115
	s_add_i32 s14, s14, 8
	v_cmp_eq_u32_e32 vcc, 0, v115
	v_add_u32_e32 v114, 8, v114
	s_or_b64 s[6:7], vcc, s[6:7]
	s_waitcnt vmcnt(0) lgkmcnt(0)
	v_fmac_f64_e32 v[82:83], v[116:117], v[118:119]
	s_andn2_b64 exec, exec, s[6:7]
	s_cbranch_execnz .LBB39_103
; %bb.104:
	s_or_b64 exec, exec, s[6:7]
.LBB39_105:
	s_or_b64 exec, exec, s[12:13]
	v_mov_b32_e32 v114, 0
	ds_read_b64 v[114:115], v114 offset:224
	s_waitcnt lgkmcnt(0)
	v_mul_f64 v[82:83], v[82:83], v[114:115]
	buffer_store_dword v83, off, s[0:3], 0 offset:228
	buffer_store_dword v82, off, s[0:3], 0 offset:224
.LBB39_106:
	s_or_b64 exec, exec, s[10:11]
	buffer_load_dword v82, off, s[0:3], 0 offset:216
	buffer_load_dword v83, off, s[0:3], 0 offset:220
	v_cmp_lt_u32_e64 s[6:7], 27, v0
	s_waitcnt vmcnt(0)
	ds_write_b64 v84, v[82:83]
	s_waitcnt lgkmcnt(0)
	; wave barrier
	s_waitcnt lgkmcnt(0)
	s_and_saveexec_b64 s[10:11], s[6:7]
	s_cbranch_execz .LBB39_116
; %bb.107:
	s_andn2_b64 vcc, exec, s[8:9]
	s_cbranch_vccnz .LBB39_109
; %bb.108:
	buffer_load_dword v82, v85, s[0:3], 0 offen
	buffer_load_dword v83, v85, s[0:3], 0 offen offset:4
	ds_read_b64 v[114:115], v84
	s_waitcnt vmcnt(0) lgkmcnt(0)
	v_mul_f64 v[82:83], v[82:83], v[114:115]
	s_cbranch_execz .LBB39_110
	s_branch .LBB39_111
.LBB39_109:
                                        ; implicit-def: $vgpr82_vgpr83
.LBB39_110:
	ds_read_b64 v[82:83], v84
.LBB39_111:
	s_and_saveexec_b64 s[12:13], s[4:5]
	s_cbranch_execz .LBB39_115
; %bb.112:
	v_subrev_u32_e32 v114, 28, v0
	s_movk_i32 s14, 0x220
	s_mov_b64 s[4:5], 0
.LBB39_113:                             ; =>This Inner Loop Header: Depth=1
	buffer_load_dword v116, v113, s[0:3], 0 offen
	buffer_load_dword v117, v113, s[0:3], 0 offen offset:4
	v_mov_b32_e32 v115, s14
	ds_read_b64 v[118:119], v115
	v_add_u32_e32 v114, -1, v114
	s_add_i32 s14, s14, 8
	v_cmp_eq_u32_e32 vcc, 0, v114
	v_add_u32_e32 v113, 8, v113
	s_or_b64 s[4:5], vcc, s[4:5]
	s_waitcnt vmcnt(0) lgkmcnt(0)
	v_fmac_f64_e32 v[82:83], v[116:117], v[118:119]
	s_andn2_b64 exec, exec, s[4:5]
	s_cbranch_execnz .LBB39_113
; %bb.114:
	s_or_b64 exec, exec, s[4:5]
.LBB39_115:
	s_or_b64 exec, exec, s[12:13]
	v_mov_b32_e32 v113, 0
	ds_read_b64 v[114:115], v113 offset:216
	s_waitcnt lgkmcnt(0)
	v_mul_f64 v[82:83], v[82:83], v[114:115]
	buffer_store_dword v83, off, s[0:3], 0 offset:220
	buffer_store_dword v82, off, s[0:3], 0 offset:216
.LBB39_116:
	;; [unrolled: 58-line block ×13, first 2 shown]
	s_or_b64 exec, exec, s[10:11]
	buffer_load_dword v82, off, s[0:3], 0 offset:120
	buffer_load_dword v83, off, s[0:3], 0 offset:124
	v_cmp_lt_u32_e64 s[6:7], 15, v0
	s_waitcnt vmcnt(0)
	ds_write_b64 v84, v[82:83]
	s_waitcnt lgkmcnt(0)
	; wave barrier
	s_waitcnt lgkmcnt(0)
	s_and_saveexec_b64 s[10:11], s[6:7]
	s_cbranch_execz .LBB39_236
; %bb.227:
	s_andn2_b64 vcc, exec, s[8:9]
	s_cbranch_vccnz .LBB39_229
; %bb.228:
	buffer_load_dword v82, v85, s[0:3], 0 offen
	buffer_load_dword v83, v85, s[0:3], 0 offen offset:4
	ds_read_b64 v[102:103], v84
	s_waitcnt vmcnt(0) lgkmcnt(0)
	v_mul_f64 v[82:83], v[82:83], v[102:103]
	s_cbranch_execz .LBB39_230
	s_branch .LBB39_231
.LBB39_229:
                                        ; implicit-def: $vgpr82_vgpr83
.LBB39_230:
	ds_read_b64 v[82:83], v84
.LBB39_231:
	s_and_saveexec_b64 s[12:13], s[4:5]
	s_cbranch_execz .LBB39_235
; %bb.232:
	v_add_u32_e32 v102, -16, v0
	s_movk_i32 s14, 0x1c0
	s_mov_b64 s[4:5], 0
.LBB39_233:                             ; =>This Inner Loop Header: Depth=1
	buffer_load_dword v104, v101, s[0:3], 0 offen
	buffer_load_dword v105, v101, s[0:3], 0 offen offset:4
	v_mov_b32_e32 v103, s14
	ds_read_b64 v[106:107], v103
	v_add_u32_e32 v102, -1, v102
	s_add_i32 s14, s14, 8
	v_cmp_eq_u32_e32 vcc, 0, v102
	v_add_u32_e32 v101, 8, v101
	s_or_b64 s[4:5], vcc, s[4:5]
	s_waitcnt vmcnt(0) lgkmcnt(0)
	v_fmac_f64_e32 v[82:83], v[104:105], v[106:107]
	s_andn2_b64 exec, exec, s[4:5]
	s_cbranch_execnz .LBB39_233
; %bb.234:
	s_or_b64 exec, exec, s[4:5]
.LBB39_235:
	s_or_b64 exec, exec, s[12:13]
	v_mov_b32_e32 v101, 0
	ds_read_b64 v[102:103], v101 offset:120
	s_waitcnt lgkmcnt(0)
	v_mul_f64 v[82:83], v[82:83], v[102:103]
	buffer_store_dword v83, off, s[0:3], 0 offset:124
	buffer_store_dword v82, off, s[0:3], 0 offset:120
.LBB39_236:
	s_or_b64 exec, exec, s[10:11]
	buffer_load_dword v82, off, s[0:3], 0 offset:112
	buffer_load_dword v83, off, s[0:3], 0 offset:116
	v_cmp_lt_u32_e64 s[4:5], 14, v0
	s_waitcnt vmcnt(0)
	ds_write_b64 v84, v[82:83]
	s_waitcnt lgkmcnt(0)
	; wave barrier
	s_waitcnt lgkmcnt(0)
	s_and_saveexec_b64 s[10:11], s[4:5]
	s_cbranch_execz .LBB39_246
; %bb.237:
	s_andn2_b64 vcc, exec, s[8:9]
	s_cbranch_vccnz .LBB39_239
; %bb.238:
	buffer_load_dword v82, v85, s[0:3], 0 offen
	buffer_load_dword v83, v85, s[0:3], 0 offen offset:4
	ds_read_b64 v[102:103], v84
	s_waitcnt vmcnt(0) lgkmcnt(0)
	v_mul_f64 v[82:83], v[82:83], v[102:103]
	s_cbranch_execz .LBB39_240
	s_branch .LBB39_241
.LBB39_239:
                                        ; implicit-def: $vgpr82_vgpr83
.LBB39_240:
	ds_read_b64 v[82:83], v84
.LBB39_241:
	s_and_saveexec_b64 s[12:13], s[6:7]
	s_cbranch_execz .LBB39_245
; %bb.242:
	v_add_u32_e32 v101, -15, v0
	s_movk_i32 s14, 0x1b8
	s_mov_b64 s[6:7], 0
.LBB39_243:                             ; =>This Inner Loop Header: Depth=1
	buffer_load_dword v102, v100, s[0:3], 0 offen
	buffer_load_dword v103, v100, s[0:3], 0 offen offset:4
	v_mov_b32_e32 v104, s14
	ds_read_b64 v[104:105], v104
	v_add_u32_e32 v101, -1, v101
	s_add_i32 s14, s14, 8
	v_cmp_eq_u32_e32 vcc, 0, v101
	v_add_u32_e32 v100, 8, v100
	s_or_b64 s[6:7], vcc, s[6:7]
	s_waitcnt vmcnt(0) lgkmcnt(0)
	v_fmac_f64_e32 v[82:83], v[102:103], v[104:105]
	s_andn2_b64 exec, exec, s[6:7]
	s_cbranch_execnz .LBB39_243
; %bb.244:
	s_or_b64 exec, exec, s[6:7]
.LBB39_245:
	s_or_b64 exec, exec, s[12:13]
	v_mov_b32_e32 v100, 0
	ds_read_b64 v[100:101], v100 offset:112
	s_waitcnt lgkmcnt(0)
	v_mul_f64 v[82:83], v[82:83], v[100:101]
	buffer_store_dword v83, off, s[0:3], 0 offset:116
	buffer_store_dword v82, off, s[0:3], 0 offset:112
.LBB39_246:
	s_or_b64 exec, exec, s[10:11]
	buffer_load_dword v82, off, s[0:3], 0 offset:104
	buffer_load_dword v83, off, s[0:3], 0 offset:108
	v_cmp_lt_u32_e64 s[6:7], 13, v0
	s_waitcnt vmcnt(0)
	ds_write_b64 v84, v[82:83]
	s_waitcnt lgkmcnt(0)
	; wave barrier
	s_waitcnt lgkmcnt(0)
	s_and_saveexec_b64 s[10:11], s[6:7]
	s_cbranch_execz .LBB39_256
; %bb.247:
	s_andn2_b64 vcc, exec, s[8:9]
	s_cbranch_vccnz .LBB39_249
; %bb.248:
	buffer_load_dword v82, v85, s[0:3], 0 offen
	buffer_load_dword v83, v85, s[0:3], 0 offen offset:4
	ds_read_b64 v[100:101], v84
	s_waitcnt vmcnt(0) lgkmcnt(0)
	v_mul_f64 v[82:83], v[82:83], v[100:101]
	s_cbranch_execz .LBB39_250
	s_branch .LBB39_251
.LBB39_249:
                                        ; implicit-def: $vgpr82_vgpr83
.LBB39_250:
	ds_read_b64 v[82:83], v84
.LBB39_251:
	s_and_saveexec_b64 s[12:13], s[4:5]
	s_cbranch_execz .LBB39_255
; %bb.252:
	v_add_u32_e32 v100, -14, v0
	s_movk_i32 s14, 0x1b0
	s_mov_b64 s[4:5], 0
.LBB39_253:                             ; =>This Inner Loop Header: Depth=1
	buffer_load_dword v102, v99, s[0:3], 0 offen
	buffer_load_dword v103, v99, s[0:3], 0 offen offset:4
	v_mov_b32_e32 v101, s14
	ds_read_b64 v[104:105], v101
	v_add_u32_e32 v100, -1, v100
	s_add_i32 s14, s14, 8
	v_cmp_eq_u32_e32 vcc, 0, v100
	v_add_u32_e32 v99, 8, v99
	s_or_b64 s[4:5], vcc, s[4:5]
	s_waitcnt vmcnt(0) lgkmcnt(0)
	v_fmac_f64_e32 v[82:83], v[102:103], v[104:105]
	s_andn2_b64 exec, exec, s[4:5]
	s_cbranch_execnz .LBB39_253
; %bb.254:
	s_or_b64 exec, exec, s[4:5]
.LBB39_255:
	s_or_b64 exec, exec, s[12:13]
	v_mov_b32_e32 v99, 0
	ds_read_b64 v[100:101], v99 offset:104
	s_waitcnt lgkmcnt(0)
	v_mul_f64 v[82:83], v[82:83], v[100:101]
	buffer_store_dword v83, off, s[0:3], 0 offset:108
	buffer_store_dword v82, off, s[0:3], 0 offset:104
.LBB39_256:
	s_or_b64 exec, exec, s[10:11]
	buffer_load_dword v82, off, s[0:3], 0 offset:96
	buffer_load_dword v83, off, s[0:3], 0 offset:100
	v_cmp_lt_u32_e64 s[4:5], 12, v0
	s_waitcnt vmcnt(0)
	ds_write_b64 v84, v[82:83]
	s_waitcnt lgkmcnt(0)
	; wave barrier
	s_waitcnt lgkmcnt(0)
	s_and_saveexec_b64 s[10:11], s[4:5]
	s_cbranch_execz .LBB39_266
; %bb.257:
	s_andn2_b64 vcc, exec, s[8:9]
	s_cbranch_vccnz .LBB39_259
; %bb.258:
	buffer_load_dword v82, v85, s[0:3], 0 offen
	buffer_load_dword v83, v85, s[0:3], 0 offen offset:4
	ds_read_b64 v[100:101], v84
	s_waitcnt vmcnt(0) lgkmcnt(0)
	v_mul_f64 v[82:83], v[82:83], v[100:101]
	s_cbranch_execz .LBB39_260
	s_branch .LBB39_261
.LBB39_259:
                                        ; implicit-def: $vgpr82_vgpr83
.LBB39_260:
	ds_read_b64 v[82:83], v84
.LBB39_261:
	s_and_saveexec_b64 s[12:13], s[6:7]
	s_cbranch_execz .LBB39_265
; %bb.262:
	v_add_u32_e32 v99, -13, v0
	s_movk_i32 s14, 0x1a8
	s_mov_b64 s[6:7], 0
.LBB39_263:                             ; =>This Inner Loop Header: Depth=1
	buffer_load_dword v100, v98, s[0:3], 0 offen
	buffer_load_dword v101, v98, s[0:3], 0 offen offset:4
	v_mov_b32_e32 v102, s14
	ds_read_b64 v[102:103], v102
	v_add_u32_e32 v99, -1, v99
	s_add_i32 s14, s14, 8
	v_cmp_eq_u32_e32 vcc, 0, v99
	v_add_u32_e32 v98, 8, v98
	s_or_b64 s[6:7], vcc, s[6:7]
	s_waitcnt vmcnt(0) lgkmcnt(0)
	v_fmac_f64_e32 v[82:83], v[100:101], v[102:103]
	s_andn2_b64 exec, exec, s[6:7]
	s_cbranch_execnz .LBB39_263
; %bb.264:
	s_or_b64 exec, exec, s[6:7]
.LBB39_265:
	s_or_b64 exec, exec, s[12:13]
	v_mov_b32_e32 v98, 0
	ds_read_b64 v[98:99], v98 offset:96
	s_waitcnt lgkmcnt(0)
	v_mul_f64 v[82:83], v[82:83], v[98:99]
	buffer_store_dword v83, off, s[0:3], 0 offset:100
	buffer_store_dword v82, off, s[0:3], 0 offset:96
.LBB39_266:
	s_or_b64 exec, exec, s[10:11]
	buffer_load_dword v82, off, s[0:3], 0 offset:88
	buffer_load_dword v83, off, s[0:3], 0 offset:92
	v_cmp_lt_u32_e64 s[6:7], 11, v0
	s_waitcnt vmcnt(0)
	ds_write_b64 v84, v[82:83]
	s_waitcnt lgkmcnt(0)
	; wave barrier
	s_waitcnt lgkmcnt(0)
	s_and_saveexec_b64 s[10:11], s[6:7]
	s_cbranch_execz .LBB39_276
; %bb.267:
	s_andn2_b64 vcc, exec, s[8:9]
	s_cbranch_vccnz .LBB39_269
; %bb.268:
	buffer_load_dword v82, v85, s[0:3], 0 offen
	buffer_load_dword v83, v85, s[0:3], 0 offen offset:4
	ds_read_b64 v[98:99], v84
	s_waitcnt vmcnt(0) lgkmcnt(0)
	v_mul_f64 v[82:83], v[82:83], v[98:99]
	s_cbranch_execz .LBB39_270
	s_branch .LBB39_271
.LBB39_269:
                                        ; implicit-def: $vgpr82_vgpr83
.LBB39_270:
	ds_read_b64 v[82:83], v84
.LBB39_271:
	s_and_saveexec_b64 s[12:13], s[4:5]
	s_cbranch_execz .LBB39_275
; %bb.272:
	v_add_u32_e32 v98, -12, v0
	s_movk_i32 s14, 0x1a0
	s_mov_b64 s[4:5], 0
.LBB39_273:                             ; =>This Inner Loop Header: Depth=1
	buffer_load_dword v100, v97, s[0:3], 0 offen
	buffer_load_dword v101, v97, s[0:3], 0 offen offset:4
	v_mov_b32_e32 v99, s14
	ds_read_b64 v[102:103], v99
	v_add_u32_e32 v98, -1, v98
	s_add_i32 s14, s14, 8
	v_cmp_eq_u32_e32 vcc, 0, v98
	v_add_u32_e32 v97, 8, v97
	s_or_b64 s[4:5], vcc, s[4:5]
	s_waitcnt vmcnt(0) lgkmcnt(0)
	v_fmac_f64_e32 v[82:83], v[100:101], v[102:103]
	s_andn2_b64 exec, exec, s[4:5]
	s_cbranch_execnz .LBB39_273
; %bb.274:
	s_or_b64 exec, exec, s[4:5]
.LBB39_275:
	s_or_b64 exec, exec, s[12:13]
	v_mov_b32_e32 v97, 0
	ds_read_b64 v[98:99], v97 offset:88
	s_waitcnt lgkmcnt(0)
	v_mul_f64 v[82:83], v[82:83], v[98:99]
	buffer_store_dword v83, off, s[0:3], 0 offset:92
	buffer_store_dword v82, off, s[0:3], 0 offset:88
.LBB39_276:
	s_or_b64 exec, exec, s[10:11]
	buffer_load_dword v82, off, s[0:3], 0 offset:80
	buffer_load_dword v83, off, s[0:3], 0 offset:84
	v_cmp_lt_u32_e64 s[4:5], 10, v0
	s_waitcnt vmcnt(0)
	ds_write_b64 v84, v[82:83]
	s_waitcnt lgkmcnt(0)
	; wave barrier
	s_waitcnt lgkmcnt(0)
	s_and_saveexec_b64 s[10:11], s[4:5]
	s_cbranch_execz .LBB39_286
; %bb.277:
	s_andn2_b64 vcc, exec, s[8:9]
	s_cbranch_vccnz .LBB39_279
; %bb.278:
	buffer_load_dword v82, v85, s[0:3], 0 offen
	buffer_load_dword v83, v85, s[0:3], 0 offen offset:4
	ds_read_b64 v[98:99], v84
	s_waitcnt vmcnt(0) lgkmcnt(0)
	v_mul_f64 v[82:83], v[82:83], v[98:99]
	s_cbranch_execz .LBB39_280
	s_branch .LBB39_281
.LBB39_279:
                                        ; implicit-def: $vgpr82_vgpr83
.LBB39_280:
	ds_read_b64 v[82:83], v84
.LBB39_281:
	s_and_saveexec_b64 s[12:13], s[6:7]
	s_cbranch_execz .LBB39_285
; %bb.282:
	v_add_u32_e32 v97, -11, v0
	s_movk_i32 s14, 0x198
	s_mov_b64 s[6:7], 0
.LBB39_283:                             ; =>This Inner Loop Header: Depth=1
	buffer_load_dword v98, v96, s[0:3], 0 offen
	buffer_load_dword v99, v96, s[0:3], 0 offen offset:4
	v_mov_b32_e32 v100, s14
	ds_read_b64 v[100:101], v100
	v_add_u32_e32 v97, -1, v97
	s_add_i32 s14, s14, 8
	v_cmp_eq_u32_e32 vcc, 0, v97
	v_add_u32_e32 v96, 8, v96
	s_or_b64 s[6:7], vcc, s[6:7]
	s_waitcnt vmcnt(0) lgkmcnt(0)
	v_fmac_f64_e32 v[82:83], v[98:99], v[100:101]
	s_andn2_b64 exec, exec, s[6:7]
	s_cbranch_execnz .LBB39_283
; %bb.284:
	s_or_b64 exec, exec, s[6:7]
.LBB39_285:
	s_or_b64 exec, exec, s[12:13]
	v_mov_b32_e32 v96, 0
	ds_read_b64 v[96:97], v96 offset:80
	s_waitcnt lgkmcnt(0)
	v_mul_f64 v[82:83], v[82:83], v[96:97]
	buffer_store_dword v83, off, s[0:3], 0 offset:84
	buffer_store_dword v82, off, s[0:3], 0 offset:80
.LBB39_286:
	s_or_b64 exec, exec, s[10:11]
	buffer_load_dword v82, off, s[0:3], 0 offset:72
	buffer_load_dword v83, off, s[0:3], 0 offset:76
	v_cmp_lt_u32_e64 s[6:7], 9, v0
	s_waitcnt vmcnt(0)
	ds_write_b64 v84, v[82:83]
	s_waitcnt lgkmcnt(0)
	; wave barrier
	s_waitcnt lgkmcnt(0)
	s_and_saveexec_b64 s[10:11], s[6:7]
	s_cbranch_execz .LBB39_296
; %bb.287:
	s_andn2_b64 vcc, exec, s[8:9]
	s_cbranch_vccnz .LBB39_289
; %bb.288:
	buffer_load_dword v82, v85, s[0:3], 0 offen
	buffer_load_dword v83, v85, s[0:3], 0 offen offset:4
	ds_read_b64 v[96:97], v84
	s_waitcnt vmcnt(0) lgkmcnt(0)
	v_mul_f64 v[82:83], v[82:83], v[96:97]
	s_cbranch_execz .LBB39_290
	s_branch .LBB39_291
.LBB39_289:
                                        ; implicit-def: $vgpr82_vgpr83
.LBB39_290:
	ds_read_b64 v[82:83], v84
.LBB39_291:
	s_and_saveexec_b64 s[12:13], s[4:5]
	s_cbranch_execz .LBB39_295
; %bb.292:
	v_add_u32_e32 v96, -10, v0
	s_movk_i32 s14, 0x190
	s_mov_b64 s[4:5], 0
.LBB39_293:                             ; =>This Inner Loop Header: Depth=1
	buffer_load_dword v98, v95, s[0:3], 0 offen
	buffer_load_dword v99, v95, s[0:3], 0 offen offset:4
	v_mov_b32_e32 v97, s14
	ds_read_b64 v[100:101], v97
	v_add_u32_e32 v96, -1, v96
	s_add_i32 s14, s14, 8
	v_cmp_eq_u32_e32 vcc, 0, v96
	v_add_u32_e32 v95, 8, v95
	s_or_b64 s[4:5], vcc, s[4:5]
	s_waitcnt vmcnt(0) lgkmcnt(0)
	v_fmac_f64_e32 v[82:83], v[98:99], v[100:101]
	s_andn2_b64 exec, exec, s[4:5]
	s_cbranch_execnz .LBB39_293
; %bb.294:
	s_or_b64 exec, exec, s[4:5]
.LBB39_295:
	s_or_b64 exec, exec, s[12:13]
	v_mov_b32_e32 v95, 0
	ds_read_b64 v[96:97], v95 offset:72
	s_waitcnt lgkmcnt(0)
	v_mul_f64 v[82:83], v[82:83], v[96:97]
	buffer_store_dword v83, off, s[0:3], 0 offset:76
	buffer_store_dword v82, off, s[0:3], 0 offset:72
.LBB39_296:
	s_or_b64 exec, exec, s[10:11]
	buffer_load_dword v82, off, s[0:3], 0 offset:64
	buffer_load_dword v83, off, s[0:3], 0 offset:68
	v_cmp_lt_u32_e64 s[4:5], 8, v0
	s_waitcnt vmcnt(0)
	ds_write_b64 v84, v[82:83]
	s_waitcnt lgkmcnt(0)
	; wave barrier
	s_waitcnt lgkmcnt(0)
	s_and_saveexec_b64 s[10:11], s[4:5]
	s_cbranch_execz .LBB39_306
; %bb.297:
	s_andn2_b64 vcc, exec, s[8:9]
	s_cbranch_vccnz .LBB39_299
; %bb.298:
	buffer_load_dword v82, v85, s[0:3], 0 offen
	buffer_load_dword v83, v85, s[0:3], 0 offen offset:4
	ds_read_b64 v[96:97], v84
	s_waitcnt vmcnt(0) lgkmcnt(0)
	v_mul_f64 v[82:83], v[82:83], v[96:97]
	s_cbranch_execz .LBB39_300
	s_branch .LBB39_301
.LBB39_299:
                                        ; implicit-def: $vgpr82_vgpr83
.LBB39_300:
	ds_read_b64 v[82:83], v84
.LBB39_301:
	s_and_saveexec_b64 s[12:13], s[6:7]
	s_cbranch_execz .LBB39_305
; %bb.302:
	v_add_u32_e32 v95, -9, v0
	s_movk_i32 s14, 0x188
	s_mov_b64 s[6:7], 0
.LBB39_303:                             ; =>This Inner Loop Header: Depth=1
	buffer_load_dword v96, v94, s[0:3], 0 offen
	buffer_load_dword v97, v94, s[0:3], 0 offen offset:4
	v_mov_b32_e32 v98, s14
	ds_read_b64 v[98:99], v98
	v_add_u32_e32 v95, -1, v95
	s_add_i32 s14, s14, 8
	v_cmp_eq_u32_e32 vcc, 0, v95
	v_add_u32_e32 v94, 8, v94
	s_or_b64 s[6:7], vcc, s[6:7]
	s_waitcnt vmcnt(0) lgkmcnt(0)
	v_fmac_f64_e32 v[82:83], v[96:97], v[98:99]
	s_andn2_b64 exec, exec, s[6:7]
	s_cbranch_execnz .LBB39_303
; %bb.304:
	s_or_b64 exec, exec, s[6:7]
.LBB39_305:
	s_or_b64 exec, exec, s[12:13]
	v_mov_b32_e32 v94, 0
	ds_read_b64 v[94:95], v94 offset:64
	s_waitcnt lgkmcnt(0)
	v_mul_f64 v[82:83], v[82:83], v[94:95]
	buffer_store_dword v83, off, s[0:3], 0 offset:68
	buffer_store_dword v82, off, s[0:3], 0 offset:64
.LBB39_306:
	s_or_b64 exec, exec, s[10:11]
	buffer_load_dword v82, off, s[0:3], 0 offset:56
	buffer_load_dword v83, off, s[0:3], 0 offset:60
	v_cmp_lt_u32_e64 s[6:7], 7, v0
	s_waitcnt vmcnt(0)
	ds_write_b64 v84, v[82:83]
	s_waitcnt lgkmcnt(0)
	; wave barrier
	s_waitcnt lgkmcnt(0)
	s_and_saveexec_b64 s[10:11], s[6:7]
	s_cbranch_execz .LBB39_316
; %bb.307:
	s_andn2_b64 vcc, exec, s[8:9]
	s_cbranch_vccnz .LBB39_309
; %bb.308:
	buffer_load_dword v82, v85, s[0:3], 0 offen
	buffer_load_dword v83, v85, s[0:3], 0 offen offset:4
	ds_read_b64 v[94:95], v84
	s_waitcnt vmcnt(0) lgkmcnt(0)
	v_mul_f64 v[82:83], v[82:83], v[94:95]
	s_cbranch_execz .LBB39_310
	s_branch .LBB39_311
.LBB39_309:
                                        ; implicit-def: $vgpr82_vgpr83
.LBB39_310:
	ds_read_b64 v[82:83], v84
.LBB39_311:
	s_and_saveexec_b64 s[12:13], s[4:5]
	s_cbranch_execz .LBB39_315
; %bb.312:
	v_add_u32_e32 v94, -8, v0
	s_movk_i32 s14, 0x180
	s_mov_b64 s[4:5], 0
.LBB39_313:                             ; =>This Inner Loop Header: Depth=1
	buffer_load_dword v96, v93, s[0:3], 0 offen
	buffer_load_dword v97, v93, s[0:3], 0 offen offset:4
	v_mov_b32_e32 v95, s14
	ds_read_b64 v[98:99], v95
	v_add_u32_e32 v94, -1, v94
	s_add_i32 s14, s14, 8
	v_cmp_eq_u32_e32 vcc, 0, v94
	v_add_u32_e32 v93, 8, v93
	s_or_b64 s[4:5], vcc, s[4:5]
	s_waitcnt vmcnt(0) lgkmcnt(0)
	v_fmac_f64_e32 v[82:83], v[96:97], v[98:99]
	s_andn2_b64 exec, exec, s[4:5]
	s_cbranch_execnz .LBB39_313
; %bb.314:
	s_or_b64 exec, exec, s[4:5]
.LBB39_315:
	s_or_b64 exec, exec, s[12:13]
	v_mov_b32_e32 v93, 0
	ds_read_b64 v[94:95], v93 offset:56
	s_waitcnt lgkmcnt(0)
	v_mul_f64 v[82:83], v[82:83], v[94:95]
	buffer_store_dword v83, off, s[0:3], 0 offset:60
	buffer_store_dword v82, off, s[0:3], 0 offset:56
.LBB39_316:
	s_or_b64 exec, exec, s[10:11]
	buffer_load_dword v82, off, s[0:3], 0 offset:48
	buffer_load_dword v83, off, s[0:3], 0 offset:52
	v_cmp_lt_u32_e64 s[4:5], 6, v0
	s_waitcnt vmcnt(0)
	ds_write_b64 v84, v[82:83]
	s_waitcnt lgkmcnt(0)
	; wave barrier
	s_waitcnt lgkmcnt(0)
	s_and_saveexec_b64 s[10:11], s[4:5]
	s_cbranch_execz .LBB39_326
; %bb.317:
	s_andn2_b64 vcc, exec, s[8:9]
	s_cbranch_vccnz .LBB39_319
; %bb.318:
	buffer_load_dword v82, v85, s[0:3], 0 offen
	buffer_load_dword v83, v85, s[0:3], 0 offen offset:4
	ds_read_b64 v[94:95], v84
	s_waitcnt vmcnt(0) lgkmcnt(0)
	v_mul_f64 v[82:83], v[82:83], v[94:95]
	s_cbranch_execz .LBB39_320
	s_branch .LBB39_321
.LBB39_319:
                                        ; implicit-def: $vgpr82_vgpr83
.LBB39_320:
	ds_read_b64 v[82:83], v84
.LBB39_321:
	s_and_saveexec_b64 s[12:13], s[6:7]
	s_cbranch_execz .LBB39_325
; %bb.322:
	v_add_u32_e32 v93, -7, v0
	s_movk_i32 s14, 0x178
	s_mov_b64 s[6:7], 0
.LBB39_323:                             ; =>This Inner Loop Header: Depth=1
	buffer_load_dword v94, v92, s[0:3], 0 offen
	buffer_load_dword v95, v92, s[0:3], 0 offen offset:4
	v_mov_b32_e32 v96, s14
	ds_read_b64 v[96:97], v96
	v_add_u32_e32 v93, -1, v93
	s_add_i32 s14, s14, 8
	v_cmp_eq_u32_e32 vcc, 0, v93
	v_add_u32_e32 v92, 8, v92
	s_or_b64 s[6:7], vcc, s[6:7]
	s_waitcnt vmcnt(0) lgkmcnt(0)
	v_fmac_f64_e32 v[82:83], v[94:95], v[96:97]
	s_andn2_b64 exec, exec, s[6:7]
	s_cbranch_execnz .LBB39_323
; %bb.324:
	s_or_b64 exec, exec, s[6:7]
.LBB39_325:
	s_or_b64 exec, exec, s[12:13]
	v_mov_b32_e32 v92, 0
	ds_read_b64 v[92:93], v92 offset:48
	s_waitcnt lgkmcnt(0)
	v_mul_f64 v[82:83], v[82:83], v[92:93]
	buffer_store_dword v83, off, s[0:3], 0 offset:52
	buffer_store_dword v82, off, s[0:3], 0 offset:48
.LBB39_326:
	s_or_b64 exec, exec, s[10:11]
	buffer_load_dword v82, off, s[0:3], 0 offset:40
	buffer_load_dword v83, off, s[0:3], 0 offset:44
	v_cmp_lt_u32_e64 s[6:7], 5, v0
	s_waitcnt vmcnt(0)
	ds_write_b64 v84, v[82:83]
	s_waitcnt lgkmcnt(0)
	; wave barrier
	s_waitcnt lgkmcnt(0)
	s_and_saveexec_b64 s[10:11], s[6:7]
	s_cbranch_execz .LBB39_336
; %bb.327:
	s_andn2_b64 vcc, exec, s[8:9]
	s_cbranch_vccnz .LBB39_329
; %bb.328:
	buffer_load_dword v82, v85, s[0:3], 0 offen
	buffer_load_dword v83, v85, s[0:3], 0 offen offset:4
	ds_read_b64 v[92:93], v84
	s_waitcnt vmcnt(0) lgkmcnt(0)
	v_mul_f64 v[82:83], v[82:83], v[92:93]
	s_cbranch_execz .LBB39_330
	s_branch .LBB39_331
.LBB39_329:
                                        ; implicit-def: $vgpr82_vgpr83
.LBB39_330:
	ds_read_b64 v[82:83], v84
.LBB39_331:
	s_and_saveexec_b64 s[12:13], s[4:5]
	s_cbranch_execz .LBB39_335
; %bb.332:
	v_add_u32_e32 v92, -6, v0
	s_movk_i32 s14, 0x170
	s_mov_b64 s[4:5], 0
.LBB39_333:                             ; =>This Inner Loop Header: Depth=1
	buffer_load_dword v94, v91, s[0:3], 0 offen
	buffer_load_dword v95, v91, s[0:3], 0 offen offset:4
	v_mov_b32_e32 v93, s14
	ds_read_b64 v[96:97], v93
	v_add_u32_e32 v92, -1, v92
	s_add_i32 s14, s14, 8
	v_cmp_eq_u32_e32 vcc, 0, v92
	v_add_u32_e32 v91, 8, v91
	s_or_b64 s[4:5], vcc, s[4:5]
	s_waitcnt vmcnt(0) lgkmcnt(0)
	v_fmac_f64_e32 v[82:83], v[94:95], v[96:97]
	s_andn2_b64 exec, exec, s[4:5]
	s_cbranch_execnz .LBB39_333
; %bb.334:
	s_or_b64 exec, exec, s[4:5]
.LBB39_335:
	s_or_b64 exec, exec, s[12:13]
	v_mov_b32_e32 v91, 0
	ds_read_b64 v[92:93], v91 offset:40
	s_waitcnt lgkmcnt(0)
	v_mul_f64 v[82:83], v[82:83], v[92:93]
	buffer_store_dword v83, off, s[0:3], 0 offset:44
	buffer_store_dword v82, off, s[0:3], 0 offset:40
.LBB39_336:
	s_or_b64 exec, exec, s[10:11]
	buffer_load_dword v82, off, s[0:3], 0 offset:32
	buffer_load_dword v83, off, s[0:3], 0 offset:36
	v_cmp_lt_u32_e64 s[4:5], 4, v0
	s_waitcnt vmcnt(0)
	ds_write_b64 v84, v[82:83]
	s_waitcnt lgkmcnt(0)
	; wave barrier
	s_waitcnt lgkmcnt(0)
	s_and_saveexec_b64 s[10:11], s[4:5]
	s_cbranch_execz .LBB39_346
; %bb.337:
	s_andn2_b64 vcc, exec, s[8:9]
	s_cbranch_vccnz .LBB39_339
; %bb.338:
	buffer_load_dword v82, v85, s[0:3], 0 offen
	buffer_load_dword v83, v85, s[0:3], 0 offen offset:4
	ds_read_b64 v[92:93], v84
	s_waitcnt vmcnt(0) lgkmcnt(0)
	v_mul_f64 v[82:83], v[82:83], v[92:93]
	s_cbranch_execz .LBB39_340
	s_branch .LBB39_341
.LBB39_339:
                                        ; implicit-def: $vgpr82_vgpr83
.LBB39_340:
	ds_read_b64 v[82:83], v84
.LBB39_341:
	s_and_saveexec_b64 s[12:13], s[6:7]
	s_cbranch_execz .LBB39_345
; %bb.342:
	v_add_u32_e32 v91, -5, v0
	s_movk_i32 s14, 0x168
	s_mov_b64 s[6:7], 0
.LBB39_343:                             ; =>This Inner Loop Header: Depth=1
	buffer_load_dword v92, v90, s[0:3], 0 offen
	buffer_load_dword v93, v90, s[0:3], 0 offen offset:4
	v_mov_b32_e32 v94, s14
	ds_read_b64 v[94:95], v94
	v_add_u32_e32 v91, -1, v91
	s_add_i32 s14, s14, 8
	v_cmp_eq_u32_e32 vcc, 0, v91
	v_add_u32_e32 v90, 8, v90
	s_or_b64 s[6:7], vcc, s[6:7]
	s_waitcnt vmcnt(0) lgkmcnt(0)
	v_fmac_f64_e32 v[82:83], v[92:93], v[94:95]
	s_andn2_b64 exec, exec, s[6:7]
	s_cbranch_execnz .LBB39_343
; %bb.344:
	s_or_b64 exec, exec, s[6:7]
.LBB39_345:
	s_or_b64 exec, exec, s[12:13]
	v_mov_b32_e32 v90, 0
	ds_read_b64 v[90:91], v90 offset:32
	s_waitcnt lgkmcnt(0)
	v_mul_f64 v[82:83], v[82:83], v[90:91]
	buffer_store_dword v83, off, s[0:3], 0 offset:36
	buffer_store_dword v82, off, s[0:3], 0 offset:32
.LBB39_346:
	s_or_b64 exec, exec, s[10:11]
	buffer_load_dword v82, off, s[0:3], 0 offset:24
	buffer_load_dword v83, off, s[0:3], 0 offset:28
	v_cmp_lt_u32_e64 s[6:7], 3, v0
	s_waitcnt vmcnt(0)
	ds_write_b64 v84, v[82:83]
	s_waitcnt lgkmcnt(0)
	; wave barrier
	s_waitcnt lgkmcnt(0)
	s_and_saveexec_b64 s[10:11], s[6:7]
	s_cbranch_execz .LBB39_356
; %bb.347:
	s_andn2_b64 vcc, exec, s[8:9]
	s_cbranch_vccnz .LBB39_349
; %bb.348:
	buffer_load_dword v82, v85, s[0:3], 0 offen
	buffer_load_dword v83, v85, s[0:3], 0 offen offset:4
	ds_read_b64 v[90:91], v84
	s_waitcnt vmcnt(0) lgkmcnt(0)
	v_mul_f64 v[82:83], v[82:83], v[90:91]
	s_cbranch_execz .LBB39_350
	s_branch .LBB39_351
.LBB39_349:
                                        ; implicit-def: $vgpr82_vgpr83
.LBB39_350:
	ds_read_b64 v[82:83], v84
.LBB39_351:
	s_and_saveexec_b64 s[12:13], s[4:5]
	s_cbranch_execz .LBB39_355
; %bb.352:
	v_add_u32_e32 v90, -4, v0
	s_movk_i32 s14, 0x160
	s_mov_b64 s[4:5], 0
.LBB39_353:                             ; =>This Inner Loop Header: Depth=1
	buffer_load_dword v92, v89, s[0:3], 0 offen
	buffer_load_dword v93, v89, s[0:3], 0 offen offset:4
	v_mov_b32_e32 v91, s14
	ds_read_b64 v[94:95], v91
	v_add_u32_e32 v90, -1, v90
	s_add_i32 s14, s14, 8
	v_cmp_eq_u32_e32 vcc, 0, v90
	v_add_u32_e32 v89, 8, v89
	s_or_b64 s[4:5], vcc, s[4:5]
	s_waitcnt vmcnt(0) lgkmcnt(0)
	v_fmac_f64_e32 v[82:83], v[92:93], v[94:95]
	s_andn2_b64 exec, exec, s[4:5]
	s_cbranch_execnz .LBB39_353
; %bb.354:
	s_or_b64 exec, exec, s[4:5]
.LBB39_355:
	s_or_b64 exec, exec, s[12:13]
	v_mov_b32_e32 v89, 0
	ds_read_b64 v[90:91], v89 offset:24
	s_waitcnt lgkmcnt(0)
	v_mul_f64 v[82:83], v[82:83], v[90:91]
	buffer_store_dword v83, off, s[0:3], 0 offset:28
	buffer_store_dword v82, off, s[0:3], 0 offset:24
.LBB39_356:
	s_or_b64 exec, exec, s[10:11]
	buffer_load_dword v82, off, s[0:3], 0 offset:16
	buffer_load_dword v83, off, s[0:3], 0 offset:20
	v_cmp_lt_u32_e64 s[4:5], 2, v0
	s_waitcnt vmcnt(0)
	ds_write_b64 v84, v[82:83]
	s_waitcnt lgkmcnt(0)
	; wave barrier
	s_waitcnt lgkmcnt(0)
	s_and_saveexec_b64 s[10:11], s[4:5]
	s_cbranch_execz .LBB39_366
; %bb.357:
	s_andn2_b64 vcc, exec, s[8:9]
	s_cbranch_vccnz .LBB39_359
; %bb.358:
	buffer_load_dword v82, v85, s[0:3], 0 offen
	buffer_load_dword v83, v85, s[0:3], 0 offen offset:4
	ds_read_b64 v[90:91], v84
	s_waitcnt vmcnt(0) lgkmcnt(0)
	v_mul_f64 v[82:83], v[82:83], v[90:91]
	s_cbranch_execz .LBB39_360
	s_branch .LBB39_361
.LBB39_359:
                                        ; implicit-def: $vgpr82_vgpr83
.LBB39_360:
	ds_read_b64 v[82:83], v84
.LBB39_361:
	s_and_saveexec_b64 s[12:13], s[6:7]
	s_cbranch_execz .LBB39_365
; %bb.362:
	v_add_u32_e32 v89, -3, v0
	s_movk_i32 s14, 0x158
	s_mov_b64 s[6:7], 0
.LBB39_363:                             ; =>This Inner Loop Header: Depth=1
	buffer_load_dword v90, v88, s[0:3], 0 offen
	buffer_load_dword v91, v88, s[0:3], 0 offen offset:4
	v_mov_b32_e32 v92, s14
	ds_read_b64 v[92:93], v92
	v_add_u32_e32 v89, -1, v89
	s_add_i32 s14, s14, 8
	v_cmp_eq_u32_e32 vcc, 0, v89
	v_add_u32_e32 v88, 8, v88
	s_or_b64 s[6:7], vcc, s[6:7]
	s_waitcnt vmcnt(0) lgkmcnt(0)
	v_fmac_f64_e32 v[82:83], v[90:91], v[92:93]
	s_andn2_b64 exec, exec, s[6:7]
	s_cbranch_execnz .LBB39_363
; %bb.364:
	s_or_b64 exec, exec, s[6:7]
.LBB39_365:
	s_or_b64 exec, exec, s[12:13]
	v_mov_b32_e32 v88, 0
	ds_read_b64 v[88:89], v88 offset:16
	s_waitcnt lgkmcnt(0)
	v_mul_f64 v[82:83], v[82:83], v[88:89]
	buffer_store_dword v83, off, s[0:3], 0 offset:20
	buffer_store_dword v82, off, s[0:3], 0 offset:16
.LBB39_366:
	s_or_b64 exec, exec, s[10:11]
	buffer_load_dword v82, off, s[0:3], 0 offset:8
	buffer_load_dword v83, off, s[0:3], 0 offset:12
	v_cmp_lt_u32_e64 s[6:7], 1, v0
	s_waitcnt vmcnt(0)
	ds_write_b64 v84, v[82:83]
	s_waitcnt lgkmcnt(0)
	; wave barrier
	s_waitcnt lgkmcnt(0)
	s_and_saveexec_b64 s[10:11], s[6:7]
	s_cbranch_execz .LBB39_376
; %bb.367:
	s_andn2_b64 vcc, exec, s[8:9]
	s_cbranch_vccnz .LBB39_369
; %bb.368:
	buffer_load_dword v82, v85, s[0:3], 0 offen
	buffer_load_dword v83, v85, s[0:3], 0 offen offset:4
	ds_read_b64 v[88:89], v84
	s_waitcnt vmcnt(0) lgkmcnt(0)
	v_mul_f64 v[82:83], v[82:83], v[88:89]
	s_cbranch_execz .LBB39_370
	s_branch .LBB39_371
.LBB39_369:
                                        ; implicit-def: $vgpr82_vgpr83
.LBB39_370:
	ds_read_b64 v[82:83], v84
.LBB39_371:
	s_and_saveexec_b64 s[12:13], s[4:5]
	s_cbranch_execz .LBB39_375
; %bb.372:
	v_add_u32_e32 v88, -2, v0
	s_movk_i32 s14, 0x150
	s_mov_b64 s[4:5], 0
.LBB39_373:                             ; =>This Inner Loop Header: Depth=1
	buffer_load_dword v90, v87, s[0:3], 0 offen
	buffer_load_dword v91, v87, s[0:3], 0 offen offset:4
	v_mov_b32_e32 v89, s14
	ds_read_b64 v[92:93], v89
	v_add_u32_e32 v88, -1, v88
	s_add_i32 s14, s14, 8
	v_cmp_eq_u32_e32 vcc, 0, v88
	v_add_u32_e32 v87, 8, v87
	s_or_b64 s[4:5], vcc, s[4:5]
	s_waitcnt vmcnt(0) lgkmcnt(0)
	v_fmac_f64_e32 v[82:83], v[90:91], v[92:93]
	s_andn2_b64 exec, exec, s[4:5]
	s_cbranch_execnz .LBB39_373
; %bb.374:
	s_or_b64 exec, exec, s[4:5]
.LBB39_375:
	s_or_b64 exec, exec, s[12:13]
	v_mov_b32_e32 v87, 0
	ds_read_b64 v[88:89], v87 offset:8
	s_waitcnt lgkmcnt(0)
	v_mul_f64 v[82:83], v[82:83], v[88:89]
	buffer_store_dword v83, off, s[0:3], 0 offset:12
	buffer_store_dword v82, off, s[0:3], 0 offset:8
.LBB39_376:
	s_or_b64 exec, exec, s[10:11]
	buffer_load_dword v82, off, s[0:3], 0
	buffer_load_dword v83, off, s[0:3], 0 offset:4
	v_cmp_ne_u32_e32 vcc, 0, v0
	s_waitcnt vmcnt(0)
	ds_write_b64 v84, v[82:83]
	s_waitcnt lgkmcnt(0)
	; wave barrier
	s_waitcnt lgkmcnt(0)
	s_and_saveexec_b64 s[4:5], vcc
	s_cbranch_execz .LBB39_386
; %bb.377:
	s_andn2_b64 vcc, exec, s[8:9]
	s_cbranch_vccnz .LBB39_379
; %bb.378:
	buffer_load_dword v82, v85, s[0:3], 0 offen
	buffer_load_dword v83, v85, s[0:3], 0 offen offset:4
	ds_read_b64 v[88:89], v84
	s_waitcnt vmcnt(0) lgkmcnt(0)
	v_mul_f64 v[82:83], v[82:83], v[88:89]
	s_cbranch_execz .LBB39_380
	s_branch .LBB39_381
.LBB39_379:
                                        ; implicit-def: $vgpr82_vgpr83
.LBB39_380:
	ds_read_b64 v[82:83], v84
.LBB39_381:
	s_and_saveexec_b64 s[10:11], s[6:7]
	s_cbranch_execz .LBB39_385
; %bb.382:
	v_add_u32_e32 v87, -1, v0
	s_movk_i32 s12, 0x148
	s_mov_b64 s[6:7], 0
.LBB39_383:                             ; =>This Inner Loop Header: Depth=1
	buffer_load_dword v88, v86, s[0:3], 0 offen
	buffer_load_dword v89, v86, s[0:3], 0 offen offset:4
	v_mov_b32_e32 v90, s12
	ds_read_b64 v[90:91], v90
	v_add_u32_e32 v87, -1, v87
	s_add_i32 s12, s12, 8
	v_cmp_eq_u32_e32 vcc, 0, v87
	v_add_u32_e32 v86, 8, v86
	s_or_b64 s[6:7], vcc, s[6:7]
	s_waitcnt vmcnt(0) lgkmcnt(0)
	v_fmac_f64_e32 v[82:83], v[88:89], v[90:91]
	s_andn2_b64 exec, exec, s[6:7]
	s_cbranch_execnz .LBB39_383
; %bb.384:
	s_or_b64 exec, exec, s[6:7]
.LBB39_385:
	s_or_b64 exec, exec, s[10:11]
	v_mov_b32_e32 v86, 0
	ds_read_b64 v[86:87], v86
	s_waitcnt lgkmcnt(0)
	v_mul_f64 v[82:83], v[82:83], v[86:87]
	buffer_store_dword v83, off, s[0:3], 0 offset:4
	buffer_store_dword v82, off, s[0:3], 0
.LBB39_386:
	s_or_b64 exec, exec, s[4:5]
	s_mov_b64 s[4:5], 0
.LBB39_387:
	s_and_b64 vcc, exec, s[4:5]
	s_cbranch_vccz .LBB39_771
; %bb.388:
	buffer_load_dword v82, off, s[0:3], 0 offset:8
	buffer_load_dword v83, off, s[0:3], 0 offset:12
	v_cmp_eq_u32_e64 s[6:7], 0, v0
	s_waitcnt vmcnt(0)
	ds_write_b64 v84, v[82:83]
	s_waitcnt lgkmcnt(0)
	; wave barrier
	s_waitcnt lgkmcnt(0)
	s_and_saveexec_b64 s[4:5], s[6:7]
	s_cbranch_execz .LBB39_394
; %bb.389:
	s_and_b64 vcc, exec, s[8:9]
	s_cbranch_vccz .LBB39_391
; %bb.390:
	buffer_load_dword v82, v85, s[0:3], 0 offen
	buffer_load_dword v83, v85, s[0:3], 0 offen offset:4
	ds_read_b64 v[86:87], v84
	s_waitcnt vmcnt(0) lgkmcnt(0)
	v_mul_f64 v[82:83], v[82:83], v[86:87]
	s_cbranch_execz .LBB39_392
	s_branch .LBB39_393
.LBB39_391:
                                        ; implicit-def: $vgpr82_vgpr83
.LBB39_392:
	ds_read_b64 v[82:83], v84
.LBB39_393:
	v_mov_b32_e32 v86, 0
	ds_read_b64 v[86:87], v86 offset:8
	s_waitcnt lgkmcnt(0)
	v_mul_f64 v[82:83], v[82:83], v[86:87]
	buffer_store_dword v83, off, s[0:3], 0 offset:12
	buffer_store_dword v82, off, s[0:3], 0 offset:8
.LBB39_394:
	s_or_b64 exec, exec, s[4:5]
	buffer_load_dword v82, off, s[0:3], 0 offset:16
	buffer_load_dword v83, off, s[0:3], 0 offset:20
	v_cndmask_b32_e64 v86, 0, 1, s[8:9]
	v_cmp_gt_u32_e32 vcc, 2, v0
	v_cmp_ne_u32_e64 s[4:5], 1, v86
	s_waitcnt vmcnt(0)
	ds_write_b64 v84, v[82:83]
	s_waitcnt lgkmcnt(0)
	; wave barrier
	s_waitcnt lgkmcnt(0)
	s_and_saveexec_b64 s[8:9], vcc
	s_cbranch_execz .LBB39_402
; %bb.395:
	s_and_b64 vcc, exec, s[4:5]
	s_cbranch_vccnz .LBB39_397
; %bb.396:
	buffer_load_dword v82, v85, s[0:3], 0 offen
	buffer_load_dword v83, v85, s[0:3], 0 offen offset:4
	ds_read_b64 v[86:87], v84
	s_waitcnt vmcnt(0) lgkmcnt(0)
	v_mul_f64 v[82:83], v[82:83], v[86:87]
	s_cbranch_execz .LBB39_398
	s_branch .LBB39_399
.LBB39_397:
                                        ; implicit-def: $vgpr82_vgpr83
.LBB39_398:
	ds_read_b64 v[82:83], v84
.LBB39_399:
	s_and_saveexec_b64 s[10:11], s[6:7]
	s_cbranch_execz .LBB39_401
; %bb.400:
	buffer_load_dword v86, v85, s[0:3], 0 offen offset:8
	buffer_load_dword v87, v85, s[0:3], 0 offen offset:12
	ds_read_b64 v[88:89], v84 offset:8
	s_waitcnt vmcnt(0) lgkmcnt(0)
	v_fmac_f64_e32 v[82:83], v[86:87], v[88:89]
.LBB39_401:
	s_or_b64 exec, exec, s[10:11]
	v_mov_b32_e32 v86, 0
	ds_read_b64 v[86:87], v86 offset:16
	s_waitcnt lgkmcnt(0)
	v_mul_f64 v[82:83], v[82:83], v[86:87]
	buffer_store_dword v83, off, s[0:3], 0 offset:20
	buffer_store_dword v82, off, s[0:3], 0 offset:16
.LBB39_402:
	s_or_b64 exec, exec, s[8:9]
	buffer_load_dword v82, off, s[0:3], 0 offset:24
	buffer_load_dword v83, off, s[0:3], 0 offset:28
	v_cmp_gt_u32_e32 vcc, 3, v0
	s_waitcnt vmcnt(0)
	ds_write_b64 v84, v[82:83]
	s_waitcnt lgkmcnt(0)
	; wave barrier
	s_waitcnt lgkmcnt(0)
	s_and_saveexec_b64 s[8:9], vcc
	s_cbranch_execz .LBB39_410
; %bb.403:
	s_and_b64 vcc, exec, s[4:5]
	s_cbranch_vccnz .LBB39_405
; %bb.404:
	buffer_load_dword v82, v85, s[0:3], 0 offen
	buffer_load_dword v83, v85, s[0:3], 0 offen offset:4
	ds_read_b64 v[86:87], v84
	s_waitcnt vmcnt(0) lgkmcnt(0)
	v_mul_f64 v[82:83], v[82:83], v[86:87]
	s_cbranch_execz .LBB39_406
	s_branch .LBB39_407
.LBB39_405:
                                        ; implicit-def: $vgpr82_vgpr83
.LBB39_406:
	ds_read_b64 v[82:83], v84
.LBB39_407:
	v_cmp_ne_u32_e32 vcc, 2, v0
	s_and_saveexec_b64 s[10:11], vcc
	s_cbranch_execz .LBB39_409
; %bb.408:
	buffer_load_dword v87, v85, s[0:3], 0 offen offset:12
	buffer_load_dword v88, off, s[0:3], 0 offset:16
	buffer_load_dword v86, v85, s[0:3], 0 offen offset:8
	buffer_load_dword v89, off, s[0:3], 0 offset:20
	v_mov_b32_e32 v92, 0
	ds_read_b64 v[90:91], v84 offset:8
	ds_read_b64 v[92:93], v92 offset:336
	s_waitcnt vmcnt(1) lgkmcnt(1)
	v_fmac_f64_e32 v[82:83], v[86:87], v[90:91]
	s_waitcnt vmcnt(0) lgkmcnt(0)
	v_fma_f64 v[86:87], v[88:89], v[92:93], v[82:83]
	v_cndmask_b32_e64 v83, v83, v87, s[6:7]
	v_cndmask_b32_e64 v82, v82, v86, s[6:7]
.LBB39_409:
	s_or_b64 exec, exec, s[10:11]
	v_mov_b32_e32 v86, 0
	ds_read_b64 v[86:87], v86 offset:24
	s_waitcnt lgkmcnt(0)
	v_mul_f64 v[82:83], v[82:83], v[86:87]
	buffer_store_dword v83, off, s[0:3], 0 offset:28
	buffer_store_dword v82, off, s[0:3], 0 offset:24
.LBB39_410:
	s_or_b64 exec, exec, s[8:9]
	buffer_load_dword v82, off, s[0:3], 0 offset:32
	buffer_load_dword v83, off, s[0:3], 0 offset:36
	v_cmp_gt_u32_e32 vcc, 4, v0
	s_waitcnt vmcnt(0)
	ds_write_b64 v84, v[82:83]
	s_waitcnt lgkmcnt(0)
	; wave barrier
	s_waitcnt lgkmcnt(0)
	s_and_saveexec_b64 s[6:7], vcc
	s_cbranch_execz .LBB39_420
; %bb.411:
	s_and_b64 vcc, exec, s[4:5]
	s_cbranch_vccnz .LBB39_413
; %bb.412:
	buffer_load_dword v82, v85, s[0:3], 0 offen
	buffer_load_dword v83, v85, s[0:3], 0 offen offset:4
	ds_read_b64 v[86:87], v84
	s_waitcnt vmcnt(0) lgkmcnt(0)
	v_mul_f64 v[82:83], v[82:83], v[86:87]
	s_cbranch_execz .LBB39_414
	s_branch .LBB39_415
.LBB39_413:
                                        ; implicit-def: $vgpr82_vgpr83
.LBB39_414:
	ds_read_b64 v[82:83], v84
.LBB39_415:
	v_cmp_ne_u32_e32 vcc, 3, v0
	s_and_saveexec_b64 s[8:9], vcc
	s_cbranch_execz .LBB39_419
; %bb.416:
	v_mov_b32_e32 v87, 0
	v_add_u32_e32 v86, 0x148, v1
	v_add3_u32 v87, v1, v87, 8
	s_mov_b64 s[10:11], 0
	v_mov_b32_e32 v88, v0
.LBB39_417:                             ; =>This Inner Loop Header: Depth=1
	buffer_load_dword v90, v87, s[0:3], 0 offen
	buffer_load_dword v91, v87, s[0:3], 0 offen offset:4
	ds_read_b64 v[92:93], v86
	v_add_u32_e32 v88, 1, v88
	v_cmp_lt_u32_e32 vcc, 2, v88
	v_add_u32_e32 v86, 8, v86
	v_add_u32_e32 v87, 8, v87
	s_or_b64 s[10:11], vcc, s[10:11]
	s_waitcnt vmcnt(0) lgkmcnt(0)
	v_fmac_f64_e32 v[82:83], v[90:91], v[92:93]
	s_andn2_b64 exec, exec, s[10:11]
	s_cbranch_execnz .LBB39_417
; %bb.418:
	s_or_b64 exec, exec, s[10:11]
.LBB39_419:
	s_or_b64 exec, exec, s[8:9]
	v_mov_b32_e32 v86, 0
	ds_read_b64 v[86:87], v86 offset:32
	s_waitcnt lgkmcnt(0)
	v_mul_f64 v[82:83], v[82:83], v[86:87]
	buffer_store_dword v83, off, s[0:3], 0 offset:36
	buffer_store_dword v82, off, s[0:3], 0 offset:32
.LBB39_420:
	s_or_b64 exec, exec, s[6:7]
	buffer_load_dword v82, off, s[0:3], 0 offset:40
	buffer_load_dword v83, off, s[0:3], 0 offset:44
	v_cmp_gt_u32_e32 vcc, 5, v0
	s_waitcnt vmcnt(0)
	ds_write_b64 v84, v[82:83]
	s_waitcnt lgkmcnt(0)
	; wave barrier
	s_waitcnt lgkmcnt(0)
	s_and_saveexec_b64 s[6:7], vcc
	s_cbranch_execz .LBB39_430
; %bb.421:
	s_and_b64 vcc, exec, s[4:5]
	s_cbranch_vccnz .LBB39_423
; %bb.422:
	buffer_load_dword v82, v85, s[0:3], 0 offen
	buffer_load_dword v83, v85, s[0:3], 0 offen offset:4
	ds_read_b64 v[86:87], v84
	s_waitcnt vmcnt(0) lgkmcnt(0)
	v_mul_f64 v[82:83], v[82:83], v[86:87]
	s_cbranch_execz .LBB39_424
	s_branch .LBB39_425
.LBB39_423:
                                        ; implicit-def: $vgpr82_vgpr83
.LBB39_424:
	ds_read_b64 v[82:83], v84
.LBB39_425:
	v_cmp_ne_u32_e32 vcc, 4, v0
	s_and_saveexec_b64 s[8:9], vcc
	s_cbranch_execz .LBB39_429
; %bb.426:
	v_mov_b32_e32 v87, 0
	v_add_u32_e32 v86, 0x148, v1
	v_add3_u32 v87, v1, v87, 8
	s_mov_b64 s[10:11], 0
	v_mov_b32_e32 v88, v0
.LBB39_427:                             ; =>This Inner Loop Header: Depth=1
	buffer_load_dword v90, v87, s[0:3], 0 offen
	buffer_load_dword v91, v87, s[0:3], 0 offen offset:4
	ds_read_b64 v[92:93], v86
	v_add_u32_e32 v88, 1, v88
	v_cmp_lt_u32_e32 vcc, 3, v88
	v_add_u32_e32 v86, 8, v86
	v_add_u32_e32 v87, 8, v87
	s_or_b64 s[10:11], vcc, s[10:11]
	s_waitcnt vmcnt(0) lgkmcnt(0)
	v_fmac_f64_e32 v[82:83], v[90:91], v[92:93]
	s_andn2_b64 exec, exec, s[10:11]
	s_cbranch_execnz .LBB39_427
; %bb.428:
	s_or_b64 exec, exec, s[10:11]
.LBB39_429:
	s_or_b64 exec, exec, s[8:9]
	v_mov_b32_e32 v86, 0
	ds_read_b64 v[86:87], v86 offset:40
	s_waitcnt lgkmcnt(0)
	v_mul_f64 v[82:83], v[82:83], v[86:87]
	buffer_store_dword v83, off, s[0:3], 0 offset:44
	buffer_store_dword v82, off, s[0:3], 0 offset:40
.LBB39_430:
	;; [unrolled: 60-line block ×34, first 2 shown]
	s_or_b64 exec, exec, s[6:7]
	buffer_load_dword v82, off, s[0:3], 0 offset:304
	buffer_load_dword v83, off, s[0:3], 0 offset:308
	v_cmp_gt_u32_e64 s[6:7], 38, v0
	s_waitcnt vmcnt(0)
	ds_write_b64 v84, v[82:83]
	s_waitcnt lgkmcnt(0)
	; wave barrier
	s_waitcnt lgkmcnt(0)
	s_and_saveexec_b64 s[8:9], s[6:7]
	s_cbranch_execz .LBB39_760
; %bb.751:
	s_and_b64 vcc, exec, s[4:5]
	s_cbranch_vccnz .LBB39_753
; %bb.752:
	buffer_load_dword v82, v85, s[0:3], 0 offen
	buffer_load_dword v83, v85, s[0:3], 0 offen offset:4
	ds_read_b64 v[86:87], v84
	s_waitcnt vmcnt(0) lgkmcnt(0)
	v_mul_f64 v[82:83], v[82:83], v[86:87]
	s_cbranch_execz .LBB39_754
	s_branch .LBB39_755
.LBB39_753:
                                        ; implicit-def: $vgpr82_vgpr83
.LBB39_754:
	ds_read_b64 v[82:83], v84
.LBB39_755:
	v_cmp_ne_u32_e32 vcc, 37, v0
	s_and_saveexec_b64 s[10:11], vcc
	s_cbranch_execz .LBB39_759
; %bb.756:
	v_mov_b32_e32 v87, 0
	v_add_u32_e32 v86, 0x148, v1
	v_add3_u32 v87, v1, v87, 8
	s_mov_b64 s[12:13], 0
	v_mov_b32_e32 v88, v0
.LBB39_757:                             ; =>This Inner Loop Header: Depth=1
	buffer_load_dword v90, v87, s[0:3], 0 offen
	buffer_load_dword v91, v87, s[0:3], 0 offen offset:4
	ds_read_b64 v[92:93], v86
	v_add_u32_e32 v88, 1, v88
	v_cmp_lt_u32_e32 vcc, 36, v88
	v_add_u32_e32 v86, 8, v86
	v_add_u32_e32 v87, 8, v87
	s_or_b64 s[12:13], vcc, s[12:13]
	s_waitcnt vmcnt(0) lgkmcnt(0)
	v_fmac_f64_e32 v[82:83], v[90:91], v[92:93]
	s_andn2_b64 exec, exec, s[12:13]
	s_cbranch_execnz .LBB39_757
; %bb.758:
	s_or_b64 exec, exec, s[12:13]
.LBB39_759:
	s_or_b64 exec, exec, s[10:11]
	v_mov_b32_e32 v86, 0
	ds_read_b64 v[86:87], v86 offset:304
	s_waitcnt lgkmcnt(0)
	v_mul_f64 v[82:83], v[82:83], v[86:87]
	buffer_store_dword v83, off, s[0:3], 0 offset:308
	buffer_store_dword v82, off, s[0:3], 0 offset:304
.LBB39_760:
	s_or_b64 exec, exec, s[8:9]
	buffer_load_dword v82, off, s[0:3], 0 offset:312
	buffer_load_dword v83, off, s[0:3], 0 offset:316
	v_cmp_ne_u32_e32 vcc, 39, v0
	s_waitcnt vmcnt(0)
	ds_write_b64 v84, v[82:83]
	s_waitcnt lgkmcnt(0)
	; wave barrier
	s_waitcnt lgkmcnt(0)
	s_and_saveexec_b64 s[8:9], vcc
	s_cbranch_execz .LBB39_770
; %bb.761:
	s_and_b64 vcc, exec, s[4:5]
	s_cbranch_vccnz .LBB39_763
; %bb.762:
	buffer_load_dword v82, v85, s[0:3], 0 offen
	buffer_load_dword v83, v85, s[0:3], 0 offen offset:4
	ds_read_b64 v[86:87], v84
	s_waitcnt vmcnt(0) lgkmcnt(0)
	v_mul_f64 v[82:83], v[82:83], v[86:87]
	s_cbranch_execz .LBB39_764
	s_branch .LBB39_765
.LBB39_763:
                                        ; implicit-def: $vgpr82_vgpr83
.LBB39_764:
	ds_read_b64 v[82:83], v84
.LBB39_765:
	s_and_saveexec_b64 s[4:5], s[6:7]
	s_cbranch_execz .LBB39_769
; %bb.766:
	v_mov_b32_e32 v85, 0
	v_add_u32_e32 v84, 0x148, v1
	v_add3_u32 v1, v1, v85, 8
	s_mov_b64 s[6:7], 0
.LBB39_767:                             ; =>This Inner Loop Header: Depth=1
	buffer_load_dword v86, v1, s[0:3], 0 offen
	buffer_load_dword v87, v1, s[0:3], 0 offen offset:4
	ds_read_b64 v[88:89], v84
	v_add_u32_e32 v0, 1, v0
	v_cmp_lt_u32_e32 vcc, 37, v0
	v_add_u32_e32 v84, 8, v84
	v_add_u32_e32 v1, 8, v1
	s_or_b64 s[6:7], vcc, s[6:7]
	s_waitcnt vmcnt(0) lgkmcnt(0)
	v_fmac_f64_e32 v[82:83], v[86:87], v[88:89]
	s_andn2_b64 exec, exec, s[6:7]
	s_cbranch_execnz .LBB39_767
; %bb.768:
	s_or_b64 exec, exec, s[6:7]
.LBB39_769:
	s_or_b64 exec, exec, s[4:5]
	v_mov_b32_e32 v0, 0
	ds_read_b64 v[0:1], v0 offset:312
	s_waitcnt lgkmcnt(0)
	v_mul_f64 v[0:1], v[82:83], v[0:1]
	buffer_store_dword v1, off, s[0:3], 0 offset:316
	buffer_store_dword v0, off, s[0:3], 0 offset:312
.LBB39_770:
	s_or_b64 exec, exec, s[8:9]
.LBB39_771:
	buffer_load_dword v0, off, s[0:3], 0
	buffer_load_dword v1, off, s[0:3], 0 offset:4
	buffer_load_dword v82, off, s[0:3], 0 offset:8
	;; [unrolled: 1-line block ×79, first 2 shown]
	s_waitcnt vmcnt(62)
	global_store_dwordx2 v[70:71], v[0:1], off
	global_store_dwordx2 v[72:73], v[82:83], off
	;; [unrolled: 1-line block ×8, first 2 shown]
	s_waitcnt vmcnt(62)
	global_store_dwordx2 v[14:15], v[102:103], off
	global_store_dwordx2 v[16:17], v[96:97], off
	;; [unrolled: 1-line block ×5, first 2 shown]
	s_waitcnt vmcnt(62)
	global_store_dwordx2 v[24:25], v[106:107], off
	global_store_dwordx2 v[26:27], v[108:109], off
	s_waitcnt vmcnt(62)
	global_store_dwordx2 v[28:29], v[110:111], off
	s_waitcnt vmcnt(62)
	;; [unrolled: 2-line block ×25, first 2 shown]
	global_store_dwordx2 v[80:81], v[158:159], off
.LBB39_772:
	s_endpgm
	.section	.rodata,"a",@progbits
	.p2align	6, 0x0
	.amdhsa_kernel _ZN9rocsolver6v33100L18trti2_kernel_smallILi40EdPdEEv13rocblas_fill_17rocblas_diagonal_T1_iil
		.amdhsa_group_segment_fixed_size 640
		.amdhsa_private_segment_fixed_size 336
		.amdhsa_kernarg_size 32
		.amdhsa_user_sgpr_count 8
		.amdhsa_user_sgpr_private_segment_buffer 1
		.amdhsa_user_sgpr_dispatch_ptr 0
		.amdhsa_user_sgpr_queue_ptr 0
		.amdhsa_user_sgpr_kernarg_segment_ptr 1
		.amdhsa_user_sgpr_dispatch_id 0
		.amdhsa_user_sgpr_flat_scratch_init 1
		.amdhsa_user_sgpr_kernarg_preload_length 0
		.amdhsa_user_sgpr_kernarg_preload_offset 0
		.amdhsa_user_sgpr_private_segment_size 0
		.amdhsa_uses_dynamic_stack 0
		.amdhsa_system_sgpr_private_segment_wavefront_offset 1
		.amdhsa_system_sgpr_workgroup_id_x 1
		.amdhsa_system_sgpr_workgroup_id_y 0
		.amdhsa_system_sgpr_workgroup_id_z 0
		.amdhsa_system_sgpr_workgroup_info 0
		.amdhsa_system_vgpr_workitem_id 0
		.amdhsa_next_free_vgpr 162
		.amdhsa_next_free_sgpr 20
		.amdhsa_accum_offset 164
		.amdhsa_reserve_vcc 1
		.amdhsa_reserve_flat_scratch 0
		.amdhsa_float_round_mode_32 0
		.amdhsa_float_round_mode_16_64 0
		.amdhsa_float_denorm_mode_32 3
		.amdhsa_float_denorm_mode_16_64 3
		.amdhsa_dx10_clamp 1
		.amdhsa_ieee_mode 1
		.amdhsa_fp16_overflow 0
		.amdhsa_tg_split 0
		.amdhsa_exception_fp_ieee_invalid_op 0
		.amdhsa_exception_fp_denorm_src 0
		.amdhsa_exception_fp_ieee_div_zero 0
		.amdhsa_exception_fp_ieee_overflow 0
		.amdhsa_exception_fp_ieee_underflow 0
		.amdhsa_exception_fp_ieee_inexact 0
		.amdhsa_exception_int_div_zero 0
	.end_amdhsa_kernel
	.section	.text._ZN9rocsolver6v33100L18trti2_kernel_smallILi40EdPdEEv13rocblas_fill_17rocblas_diagonal_T1_iil,"axG",@progbits,_ZN9rocsolver6v33100L18trti2_kernel_smallILi40EdPdEEv13rocblas_fill_17rocblas_diagonal_T1_iil,comdat
.Lfunc_end39:
	.size	_ZN9rocsolver6v33100L18trti2_kernel_smallILi40EdPdEEv13rocblas_fill_17rocblas_diagonal_T1_iil, .Lfunc_end39-_ZN9rocsolver6v33100L18trti2_kernel_smallILi40EdPdEEv13rocblas_fill_17rocblas_diagonal_T1_iil
                                        ; -- End function
	.section	.AMDGPU.csdata,"",@progbits
; Kernel info:
; codeLenInByte = 23188
; NumSgprs: 24
; NumVgprs: 162
; NumAgprs: 0
; TotalNumVgprs: 162
; ScratchSize: 336
; MemoryBound: 0
; FloatMode: 240
; IeeeMode: 1
; LDSByteSize: 640 bytes/workgroup (compile time only)
; SGPRBlocks: 2
; VGPRBlocks: 20
; NumSGPRsForWavesPerEU: 24
; NumVGPRsForWavesPerEU: 162
; AccumOffset: 164
; Occupancy: 3
; WaveLimiterHint : 0
; COMPUTE_PGM_RSRC2:SCRATCH_EN: 1
; COMPUTE_PGM_RSRC2:USER_SGPR: 8
; COMPUTE_PGM_RSRC2:TRAP_HANDLER: 0
; COMPUTE_PGM_RSRC2:TGID_X_EN: 1
; COMPUTE_PGM_RSRC2:TGID_Y_EN: 0
; COMPUTE_PGM_RSRC2:TGID_Z_EN: 0
; COMPUTE_PGM_RSRC2:TIDIG_COMP_CNT: 0
; COMPUTE_PGM_RSRC3_GFX90A:ACCUM_OFFSET: 40
; COMPUTE_PGM_RSRC3_GFX90A:TG_SPLIT: 0
	.section	.text._ZN9rocsolver6v33100L18trti2_kernel_smallILi41EdPdEEv13rocblas_fill_17rocblas_diagonal_T1_iil,"axG",@progbits,_ZN9rocsolver6v33100L18trti2_kernel_smallILi41EdPdEEv13rocblas_fill_17rocblas_diagonal_T1_iil,comdat
	.globl	_ZN9rocsolver6v33100L18trti2_kernel_smallILi41EdPdEEv13rocblas_fill_17rocblas_diagonal_T1_iil ; -- Begin function _ZN9rocsolver6v33100L18trti2_kernel_smallILi41EdPdEEv13rocblas_fill_17rocblas_diagonal_T1_iil
	.p2align	8
	.type	_ZN9rocsolver6v33100L18trti2_kernel_smallILi41EdPdEEv13rocblas_fill_17rocblas_diagonal_T1_iil,@function
_ZN9rocsolver6v33100L18trti2_kernel_smallILi41EdPdEEv13rocblas_fill_17rocblas_diagonal_T1_iil: ; @_ZN9rocsolver6v33100L18trti2_kernel_smallILi41EdPdEEv13rocblas_fill_17rocblas_diagonal_T1_iil
; %bb.0:
	s_add_u32 s0, s0, s9
	s_addc_u32 s1, s1, 0
	v_cmp_gt_u32_e32 vcc, 41, v0
	s_and_saveexec_b64 s[6:7], vcc
	s_cbranch_execz .LBB40_792
; %bb.1:
	s_load_dwordx8 s[12:19], s[4:5], 0x0
	s_ashr_i32 s6, s8, 31
	s_waitcnt lgkmcnt(0)
	s_mul_i32 s7, s8, s19
	s_mul_hi_u32 s9, s8, s18
	s_add_i32 s7, s9, s7
	s_mul_i32 s6, s6, s18
	s_add_i32 s7, s7, s6
	s_mul_i32 s6, s8, s18
	s_ashr_i32 s5, s16, 31
	s_lshl_b64 s[6:7], s[6:7], 3
	s_mov_b32 s4, s16
	s_add_u32 s6, s14, s6
	s_addc_u32 s7, s15, s7
	s_lshl_b64 s[4:5], s[4:5], 3
	s_add_u32 s4, s6, s4
	s_addc_u32 s5, s7, s5
	s_add_i32 s6, s17, s17
	v_add_u32_e32 v4, s6, v0
	v_ashrrev_i32_e32 v5, 31, v4
	v_lshlrev_b64 v[2:3], 3, v[4:5]
	v_add_u32_e32 v6, s17, v4
	v_mov_b32_e32 v1, s5
	v_add_co_u32_e32 v2, vcc, s4, v2
	v_ashrrev_i32_e32 v7, 31, v6
	v_addc_co_u32_e32 v3, vcc, v1, v3, vcc
	v_lshlrev_b64 v[4:5], 3, v[6:7]
	v_add_u32_e32 v8, s17, v6
	v_add_co_u32_e32 v4, vcc, s4, v4
	v_ashrrev_i32_e32 v9, 31, v8
	v_addc_co_u32_e32 v5, vcc, v1, v5, vcc
	v_lshlrev_b64 v[6:7], 3, v[8:9]
	v_add_u32_e32 v10, s17, v8
	;; [unrolled: 5-line block ×32, first 2 shown]
	v_add_co_u32_e32 v66, vcc, s4, v66
	v_ashrrev_i32_e32 v71, 31, v70
	v_addc_co_u32_e32 v67, vcc, v1, v67, vcc
	v_lshlrev_b64 v[68:69], 3, v[70:71]
	v_add_co_u32_e32 v68, vcc, s4, v68
	v_addc_co_u32_e32 v69, vcc, v1, v69, vcc
	v_lshlrev_b32_e32 v1, 3, v0
	v_add_u32_e32 v76, s17, v70
	v_mov_b32_e32 v70, s5
	v_add_co_u32_e32 v72, vcc, s4, v1
	s_ashr_i32 s7, s17, 31
	s_mov_b32 s6, s17
	v_addc_co_u32_e32 v73, vcc, 0, v70, vcc
	s_lshl_b64 s[6:7], s[6:7], 3
	v_ashrrev_i32_e32 v77, 31, v76
	v_mov_b32_e32 v70, s7
	v_add_co_u32_e32 v74, vcc, s6, v72
	v_addc_co_u32_e32 v75, vcc, v73, v70, vcc
	v_lshlrev_b64 v[70:71], 3, v[76:77]
	v_mov_b32_e32 v78, s5
	v_add_co_u32_e32 v70, vcc, s4, v70
	v_addc_co_u32_e32 v71, vcc, v78, v71, vcc
	v_add_u32_e32 v78, s17, v76
	v_ashrrev_i32_e32 v79, 31, v78
	v_lshlrev_b64 v[76:77], 3, v[78:79]
	v_mov_b32_e32 v80, s5
	v_add_co_u32_e32 v76, vcc, s4, v76
	v_addc_co_u32_e32 v77, vcc, v80, v77, vcc
	v_add_u32_e32 v80, s17, v78
	v_ashrrev_i32_e32 v81, 31, v80
	;; [unrolled: 6-line block ×3, first 2 shown]
	global_load_dwordx2 v[84:85], v1, s[4:5]
	global_load_dwordx2 v[86:87], v[74:75], off
	v_lshlrev_b64 v[80:81], 3, v[82:83]
	v_mov_b32_e32 v144, s5
	v_add_co_u32_e32 v80, vcc, s4, v80
	global_load_dwordx2 v[88:89], v[2:3], off
	global_load_dwordx2 v[90:91], v[4:5], off
	global_load_dwordx2 v[92:93], v[6:7], off
	global_load_dwordx2 v[94:95], v[8:9], off
	global_load_dwordx2 v[96:97], v[10:11], off
	global_load_dwordx2 v[98:99], v[12:13], off
	global_load_dwordx2 v[100:101], v[14:15], off
	global_load_dwordx2 v[102:103], v[16:17], off
	global_load_dwordx2 v[104:105], v[18:19], off
	global_load_dwordx2 v[106:107], v[20:21], off
	global_load_dwordx2 v[108:109], v[22:23], off
	global_load_dwordx2 v[110:111], v[24:25], off
	global_load_dwordx2 v[112:113], v[26:27], off
	global_load_dwordx2 v[114:115], v[28:29], off
	global_load_dwordx2 v[116:117], v[30:31], off
	global_load_dwordx2 v[118:119], v[32:33], off
	global_load_dwordx2 v[120:121], v[34:35], off
	global_load_dwordx2 v[122:123], v[36:37], off
	global_load_dwordx2 v[124:125], v[38:39], off
	global_load_dwordx2 v[126:127], v[40:41], off
	global_load_dwordx2 v[128:129], v[42:43], off
	global_load_dwordx2 v[130:131], v[44:45], off
	global_load_dwordx2 v[132:133], v[46:47], off
	global_load_dwordx2 v[134:135], v[48:49], off
	global_load_dwordx2 v[136:137], v[50:51], off
	global_load_dwordx2 v[138:139], v[52:53], off
	global_load_dwordx2 v[140:141], v[54:55], off
	global_load_dwordx2 v[142:143], v[56:57], off
	v_addc_co_u32_e32 v81, vcc, v144, v81, vcc
	global_load_dwordx2 v[144:145], v[58:59], off
	global_load_dwordx2 v[146:147], v[60:61], off
	;; [unrolled: 1-line block ×8, first 2 shown]
	v_add_u32_e32 v82, s17, v82
	v_ashrrev_i32_e32 v83, 31, v82
	v_lshlrev_b64 v[82:83], 3, v[82:83]
	v_mov_b32_e32 v160, s5
	v_add_co_u32_e32 v82, vcc, s4, v82
	v_addc_co_u32_e32 v83, vcc, v160, v83, vcc
	global_load_dwordx2 v[160:161], v[78:79], off
	global_load_dwordx2 v[162:163], v[80:81], off
	s_cmpk_lg_i32 s13, 0x84
	s_cselect_b64 s[8:9], -1, 0
	s_cmpk_eq_i32 s13, 0x84
	s_waitcnt vmcnt(39)
	buffer_store_dword v85, off, s[0:3], 0 offset:4
	buffer_store_dword v84, off, s[0:3], 0
	global_load_dwordx2 v[84:85], v[82:83], off
	s_waitcnt vmcnt(41)
	buffer_store_dword v87, off, s[0:3], 0 offset:12
	buffer_store_dword v86, off, s[0:3], 0 offset:8
	s_waitcnt vmcnt(42)
	buffer_store_dword v89, off, s[0:3], 0 offset:20
	buffer_store_dword v88, off, s[0:3], 0 offset:16
	;; [unrolled: 3-line block ×23, first 2 shown]
	buffer_store_dword v132, off, s[0:3], 0 offset:192
	buffer_store_dword v133, off, s[0:3], 0 offset:196
	s_waitcnt vmcnt(62)
	buffer_store_dword v135, off, s[0:3], 0 offset:204
	buffer_store_dword v134, off, s[0:3], 0 offset:200
	;; [unrolled: 1-line block ×8, first 2 shown]
	s_waitcnt vmcnt(62)
	buffer_store_dword v142, off, s[0:3], 0 offset:232
	buffer_store_dword v143, off, s[0:3], 0 offset:236
	;; [unrolled: 1-line block ×16, first 2 shown]
	s_waitcnt vmcnt(62)
	buffer_store_dword v159, off, s[0:3], 0 offset:300
	buffer_store_dword v158, off, s[0:3], 0 offset:296
	buffer_store_dword v161, off, s[0:3], 0 offset:308
	buffer_store_dword v160, off, s[0:3], 0 offset:304
	buffer_store_dword v162, off, s[0:3], 0 offset:312
	buffer_store_dword v163, off, s[0:3], 0 offset:316
	buffer_store_dword v84, off, s[0:3], 0 offset:320
	buffer_store_dword v85, off, s[0:3], 0 offset:324
	v_mov_b32_e32 v84, 0
	v_mov_b32_e32 v125, 0
	;; [unrolled: 1-line block ×3, first 2 shown]
	s_cbranch_scc1 .LBB40_3
; %bb.2:
	v_lshl_add_u32 v94, v0, 3, v125
	buffer_load_dword v84, v94, s[0:3], 0 offen
	buffer_load_dword v85, v94, s[0:3], 0 offen offset:4
	s_waitcnt vmcnt(0)
	v_div_scale_f64 v[86:87], s[4:5], v[84:85], v[84:85], 1.0
	v_rcp_f64_e32 v[88:89], v[86:87]
	v_div_scale_f64 v[90:91], vcc, 1.0, v[84:85], 1.0
	v_fma_f64 v[92:93], -v[86:87], v[88:89], 1.0
	v_fmac_f64_e32 v[88:89], v[88:89], v[92:93]
	v_fma_f64 v[92:93], -v[86:87], v[88:89], 1.0
	v_fmac_f64_e32 v[88:89], v[88:89], v[92:93]
	v_mul_f64 v[92:93], v[90:91], v[88:89]
	v_fma_f64 v[86:87], -v[86:87], v[92:93], v[90:91]
	v_div_fmas_f64 v[86:87], v[86:87], v[88:89], v[92:93]
	v_div_fixup_f64 v[84:85], v[86:87], v[84:85], 1.0
	buffer_store_dword v84, v94, s[0:3], 0 offen
	buffer_store_dword v85, v94, s[0:3], 0 offen offset:4
	v_xor_b32_e32 v85, 0x80000000, v85
.LBB40_3:
	s_cmpk_eq_i32 s12, 0x79
	v_add_u32_e32 v86, 0x150, v1
	v_add_u32_e32 v87, 0, v1
	s_mov_b64 s[4:5], -1
	ds_write_b64 v1, v[84:85]
	s_cbranch_scc1 .LBB40_397
; %bb.4:
	buffer_load_dword v84, off, s[0:3], 0 offset:312
	buffer_load_dword v85, off, s[0:3], 0 offset:316
	v_cmp_eq_u32_e64 s[4:5], 40, v0
	s_waitcnt vmcnt(0)
	ds_write_b64 v86, v[84:85]
	s_waitcnt lgkmcnt(0)
	; wave barrier
	s_waitcnt lgkmcnt(0)
	s_and_saveexec_b64 s[6:7], s[4:5]
	s_cbranch_execz .LBB40_10
; %bb.5:
	s_and_b64 vcc, exec, s[8:9]
	s_cbranch_vccz .LBB40_7
; %bb.6:
	buffer_load_dword v84, v87, s[0:3], 0 offen
	buffer_load_dword v85, v87, s[0:3], 0 offen offset:4
	ds_read_b64 v[88:89], v86
	s_waitcnt vmcnt(0) lgkmcnt(0)
	v_mul_f64 v[84:85], v[84:85], v[88:89]
	s_cbranch_execz .LBB40_8
	s_branch .LBB40_9
.LBB40_7:
                                        ; implicit-def: $vgpr84_vgpr85
.LBB40_8:
	ds_read_b64 v[84:85], v86
.LBB40_9:
	v_mov_b32_e32 v88, 0
	ds_read_b64 v[88:89], v88 offset:312
	s_waitcnt lgkmcnt(0)
	v_mul_f64 v[84:85], v[84:85], v[88:89]
	buffer_store_dword v85, off, s[0:3], 0 offset:316
	buffer_store_dword v84, off, s[0:3], 0 offset:312
.LBB40_10:
	s_or_b64 exec, exec, s[6:7]
	buffer_load_dword v84, off, s[0:3], 0 offset:304
	buffer_load_dword v85, off, s[0:3], 0 offset:308
	v_or_b32_e32 v88, 8, v125
	v_add_u32_e32 v89, 16, v125
	v_add_u32_e32 v90, 24, v125
	;; [unrolled: 1-line block ×37, first 2 shown]
	v_cmp_lt_u32_e64 s[6:7], 38, v0
	s_waitcnt vmcnt(0)
	ds_write_b64 v86, v[84:85]
	s_waitcnt lgkmcnt(0)
	; wave barrier
	s_waitcnt lgkmcnt(0)
	s_and_saveexec_b64 s[10:11], s[6:7]
	s_cbranch_execz .LBB40_16
; %bb.11:
	s_andn2_b64 vcc, exec, s[8:9]
	s_cbranch_vccnz .LBB40_13
; %bb.12:
	buffer_load_dword v84, v87, s[0:3], 0 offen
	buffer_load_dword v85, v87, s[0:3], 0 offen offset:4
	ds_read_b64 v[126:127], v86
	s_waitcnt vmcnt(0) lgkmcnt(0)
	v_mul_f64 v[84:85], v[84:85], v[126:127]
	s_cbranch_execz .LBB40_14
	s_branch .LBB40_15
.LBB40_13:
                                        ; implicit-def: $vgpr84_vgpr85
.LBB40_14:
	ds_read_b64 v[84:85], v86
.LBB40_15:
	buffer_load_dword v130, off, s[0:3], 0 offset:312
	buffer_load_dword v131, off, s[0:3], 0 offset:316
	v_mov_b32_e32 v126, 0
	ds_read2_b64 v[126:129], v126 offset0:38 offset1:81
	s_waitcnt vmcnt(0) lgkmcnt(0)
	v_fma_f64 v[128:129], v[130:131], v[128:129], v[84:85]
	v_cndmask_b32_e64 v85, v85, v129, s[4:5]
	v_cndmask_b32_e64 v84, v84, v128, s[4:5]
	v_mul_f64 v[84:85], v[84:85], v[126:127]
	buffer_store_dword v85, off, s[0:3], 0 offset:308
	buffer_store_dword v84, off, s[0:3], 0 offset:304
.LBB40_16:
	s_or_b64 exec, exec, s[10:11]
	buffer_load_dword v84, off, s[0:3], 0 offset:296
	buffer_load_dword v85, off, s[0:3], 0 offset:300
	v_cmp_lt_u32_e64 s[4:5], 37, v0
	s_waitcnt vmcnt(0)
	ds_write_b64 v86, v[84:85]
	s_waitcnt lgkmcnt(0)
	; wave barrier
	s_waitcnt lgkmcnt(0)
	s_and_saveexec_b64 s[10:11], s[4:5]
	s_cbranch_execz .LBB40_26
; %bb.17:
	s_andn2_b64 vcc, exec, s[8:9]
	s_cbranch_vccnz .LBB40_19
; %bb.18:
	buffer_load_dword v84, v87, s[0:3], 0 offen
	buffer_load_dword v85, v87, s[0:3], 0 offen offset:4
	ds_read_b64 v[126:127], v86
	s_waitcnt vmcnt(0) lgkmcnt(0)
	v_mul_f64 v[84:85], v[84:85], v[126:127]
	s_cbranch_execz .LBB40_20
	s_branch .LBB40_21
.LBB40_19:
                                        ; implicit-def: $vgpr84_vgpr85
.LBB40_20:
	ds_read_b64 v[84:85], v86
.LBB40_21:
	s_and_saveexec_b64 s[12:13], s[6:7]
	s_cbranch_execz .LBB40_25
; %bb.22:
	v_subrev_u32_e32 v126, 38, v0
	s_movk_i32 s14, 0x280
	s_mov_b64 s[6:7], 0
.LBB40_23:                              ; =>This Inner Loop Header: Depth=1
	buffer_load_dword v128, v125, s[0:3], 0 offen
	buffer_load_dword v129, v125, s[0:3], 0 offen offset:4
	v_mov_b32_e32 v127, s14
	ds_read_b64 v[130:131], v127
	v_add_u32_e32 v126, -1, v126
	s_add_i32 s14, s14, 8
	v_cmp_eq_u32_e32 vcc, 0, v126
	v_add_u32_e32 v125, 8, v125
	s_or_b64 s[6:7], vcc, s[6:7]
	s_waitcnt vmcnt(0) lgkmcnt(0)
	v_fmac_f64_e32 v[84:85], v[128:129], v[130:131]
	s_andn2_b64 exec, exec, s[6:7]
	s_cbranch_execnz .LBB40_23
; %bb.24:
	s_or_b64 exec, exec, s[6:7]
.LBB40_25:
	s_or_b64 exec, exec, s[12:13]
	v_mov_b32_e32 v125, 0
	ds_read_b64 v[126:127], v125 offset:296
	s_waitcnt lgkmcnt(0)
	v_mul_f64 v[84:85], v[84:85], v[126:127]
	buffer_store_dword v85, off, s[0:3], 0 offset:300
	buffer_store_dword v84, off, s[0:3], 0 offset:296
.LBB40_26:
	s_or_b64 exec, exec, s[10:11]
	buffer_load_dword v84, off, s[0:3], 0 offset:288
	buffer_load_dword v85, off, s[0:3], 0 offset:292
	v_cmp_lt_u32_e64 s[6:7], 36, v0
	s_waitcnt vmcnt(0)
	ds_write_b64 v86, v[84:85]
	s_waitcnt lgkmcnt(0)
	; wave barrier
	s_waitcnt lgkmcnt(0)
	s_and_saveexec_b64 s[10:11], s[6:7]
	s_cbranch_execz .LBB40_36
; %bb.27:
	s_andn2_b64 vcc, exec, s[8:9]
	s_cbranch_vccnz .LBB40_29
; %bb.28:
	buffer_load_dword v84, v87, s[0:3], 0 offen
	buffer_load_dword v85, v87, s[0:3], 0 offen offset:4
	ds_read_b64 v[126:127], v86
	s_waitcnt vmcnt(0) lgkmcnt(0)
	v_mul_f64 v[84:85], v[84:85], v[126:127]
	s_cbranch_execz .LBB40_30
	s_branch .LBB40_31
.LBB40_29:
                                        ; implicit-def: $vgpr84_vgpr85
.LBB40_30:
	ds_read_b64 v[84:85], v86
.LBB40_31:
	s_and_saveexec_b64 s[12:13], s[4:5]
	s_cbranch_execz .LBB40_35
; %bb.32:
	v_subrev_u32_e32 v125, 37, v0
	s_movk_i32 s14, 0x278
	s_mov_b64 s[4:5], 0
.LBB40_33:                              ; =>This Inner Loop Header: Depth=1
	buffer_load_dword v126, v124, s[0:3], 0 offen
	buffer_load_dword v127, v124, s[0:3], 0 offen offset:4
	v_mov_b32_e32 v128, s14
	ds_read_b64 v[128:129], v128
	v_add_u32_e32 v125, -1, v125
	s_add_i32 s14, s14, 8
	v_cmp_eq_u32_e32 vcc, 0, v125
	v_add_u32_e32 v124, 8, v124
	s_or_b64 s[4:5], vcc, s[4:5]
	s_waitcnt vmcnt(0) lgkmcnt(0)
	v_fmac_f64_e32 v[84:85], v[126:127], v[128:129]
	s_andn2_b64 exec, exec, s[4:5]
	s_cbranch_execnz .LBB40_33
; %bb.34:
	s_or_b64 exec, exec, s[4:5]
.LBB40_35:
	s_or_b64 exec, exec, s[12:13]
	v_mov_b32_e32 v124, 0
	ds_read_b64 v[124:125], v124 offset:288
	s_waitcnt lgkmcnt(0)
	v_mul_f64 v[84:85], v[84:85], v[124:125]
	buffer_store_dword v85, off, s[0:3], 0 offset:292
	buffer_store_dword v84, off, s[0:3], 0 offset:288
.LBB40_36:
	;; [unrolled: 58-line block ×8, first 2 shown]
	s_or_b64 exec, exec, s[10:11]
	buffer_load_dword v84, off, s[0:3], 0 offset:232
	buffer_load_dword v85, off, s[0:3], 0 offset:236
	v_cmp_lt_u32_e64 s[4:5], 29, v0
	s_waitcnt vmcnt(0)
	ds_write_b64 v86, v[84:85]
	s_waitcnt lgkmcnt(0)
	; wave barrier
	s_waitcnt lgkmcnt(0)
	s_and_saveexec_b64 s[10:11], s[4:5]
	s_cbranch_execz .LBB40_106
; %bb.97:
	s_andn2_b64 vcc, exec, s[8:9]
	s_cbranch_vccnz .LBB40_99
; %bb.98:
	buffer_load_dword v84, v87, s[0:3], 0 offen
	buffer_load_dword v85, v87, s[0:3], 0 offen offset:4
	ds_read_b64 v[118:119], v86
	s_waitcnt vmcnt(0) lgkmcnt(0)
	v_mul_f64 v[84:85], v[84:85], v[118:119]
	s_cbranch_execz .LBB40_100
	s_branch .LBB40_101
.LBB40_99:
                                        ; implicit-def: $vgpr84_vgpr85
.LBB40_100:
	ds_read_b64 v[84:85], v86
.LBB40_101:
	s_and_saveexec_b64 s[12:13], s[6:7]
	s_cbranch_execz .LBB40_105
; %bb.102:
	v_subrev_u32_e32 v118, 30, v0
	s_movk_i32 s14, 0x240
	s_mov_b64 s[6:7], 0
.LBB40_103:                             ; =>This Inner Loop Header: Depth=1
	buffer_load_dword v120, v117, s[0:3], 0 offen
	buffer_load_dword v121, v117, s[0:3], 0 offen offset:4
	v_mov_b32_e32 v119, s14
	ds_read_b64 v[122:123], v119
	v_add_u32_e32 v118, -1, v118
	s_add_i32 s14, s14, 8
	v_cmp_eq_u32_e32 vcc, 0, v118
	v_add_u32_e32 v117, 8, v117
	s_or_b64 s[6:7], vcc, s[6:7]
	s_waitcnt vmcnt(0) lgkmcnt(0)
	v_fmac_f64_e32 v[84:85], v[120:121], v[122:123]
	s_andn2_b64 exec, exec, s[6:7]
	s_cbranch_execnz .LBB40_103
; %bb.104:
	s_or_b64 exec, exec, s[6:7]
.LBB40_105:
	s_or_b64 exec, exec, s[12:13]
	v_mov_b32_e32 v117, 0
	ds_read_b64 v[118:119], v117 offset:232
	s_waitcnt lgkmcnt(0)
	v_mul_f64 v[84:85], v[84:85], v[118:119]
	buffer_store_dword v85, off, s[0:3], 0 offset:236
	buffer_store_dword v84, off, s[0:3], 0 offset:232
.LBB40_106:
	s_or_b64 exec, exec, s[10:11]
	buffer_load_dword v84, off, s[0:3], 0 offset:224
	buffer_load_dword v85, off, s[0:3], 0 offset:228
	v_cmp_lt_u32_e64 s[6:7], 28, v0
	s_waitcnt vmcnt(0)
	ds_write_b64 v86, v[84:85]
	s_waitcnt lgkmcnt(0)
	; wave barrier
	s_waitcnt lgkmcnt(0)
	s_and_saveexec_b64 s[10:11], s[6:7]
	s_cbranch_execz .LBB40_116
; %bb.107:
	s_andn2_b64 vcc, exec, s[8:9]
	s_cbranch_vccnz .LBB40_109
; %bb.108:
	buffer_load_dword v84, v87, s[0:3], 0 offen
	buffer_load_dword v85, v87, s[0:3], 0 offen offset:4
	ds_read_b64 v[118:119], v86
	s_waitcnt vmcnt(0) lgkmcnt(0)
	v_mul_f64 v[84:85], v[84:85], v[118:119]
	s_cbranch_execz .LBB40_110
	s_branch .LBB40_111
.LBB40_109:
                                        ; implicit-def: $vgpr84_vgpr85
.LBB40_110:
	ds_read_b64 v[84:85], v86
.LBB40_111:
	s_and_saveexec_b64 s[12:13], s[4:5]
	s_cbranch_execz .LBB40_115
; %bb.112:
	v_subrev_u32_e32 v117, 29, v0
	s_movk_i32 s14, 0x238
	s_mov_b64 s[4:5], 0
.LBB40_113:                             ; =>This Inner Loop Header: Depth=1
	buffer_load_dword v118, v116, s[0:3], 0 offen
	buffer_load_dword v119, v116, s[0:3], 0 offen offset:4
	v_mov_b32_e32 v120, s14
	ds_read_b64 v[120:121], v120
	v_add_u32_e32 v117, -1, v117
	s_add_i32 s14, s14, 8
	v_cmp_eq_u32_e32 vcc, 0, v117
	v_add_u32_e32 v116, 8, v116
	s_or_b64 s[4:5], vcc, s[4:5]
	s_waitcnt vmcnt(0) lgkmcnt(0)
	v_fmac_f64_e32 v[84:85], v[118:119], v[120:121]
	s_andn2_b64 exec, exec, s[4:5]
	s_cbranch_execnz .LBB40_113
; %bb.114:
	s_or_b64 exec, exec, s[4:5]
.LBB40_115:
	s_or_b64 exec, exec, s[12:13]
	v_mov_b32_e32 v116, 0
	ds_read_b64 v[116:117], v116 offset:224
	s_waitcnt lgkmcnt(0)
	v_mul_f64 v[84:85], v[84:85], v[116:117]
	buffer_store_dword v85, off, s[0:3], 0 offset:228
	buffer_store_dword v84, off, s[0:3], 0 offset:224
.LBB40_116:
	;; [unrolled: 58-line block ×14, first 2 shown]
	s_or_b64 exec, exec, s[10:11]
	buffer_load_dword v84, off, s[0:3], 0 offset:120
	buffer_load_dword v85, off, s[0:3], 0 offset:124
	v_cmp_lt_u32_e64 s[4:5], 15, v0
	s_waitcnt vmcnt(0)
	ds_write_b64 v86, v[84:85]
	s_waitcnt lgkmcnt(0)
	; wave barrier
	s_waitcnt lgkmcnt(0)
	s_and_saveexec_b64 s[10:11], s[4:5]
	s_cbranch_execz .LBB40_246
; %bb.237:
	s_andn2_b64 vcc, exec, s[8:9]
	s_cbranch_vccnz .LBB40_239
; %bb.238:
	buffer_load_dword v84, v87, s[0:3], 0 offen
	buffer_load_dword v85, v87, s[0:3], 0 offen offset:4
	ds_read_b64 v[104:105], v86
	s_waitcnt vmcnt(0) lgkmcnt(0)
	v_mul_f64 v[84:85], v[84:85], v[104:105]
	s_cbranch_execz .LBB40_240
	s_branch .LBB40_241
.LBB40_239:
                                        ; implicit-def: $vgpr84_vgpr85
.LBB40_240:
	ds_read_b64 v[84:85], v86
.LBB40_241:
	s_and_saveexec_b64 s[12:13], s[6:7]
	s_cbranch_execz .LBB40_245
; %bb.242:
	v_add_u32_e32 v104, -16, v0
	s_movk_i32 s14, 0x1d0
	s_mov_b64 s[6:7], 0
.LBB40_243:                             ; =>This Inner Loop Header: Depth=1
	buffer_load_dword v106, v103, s[0:3], 0 offen
	buffer_load_dword v107, v103, s[0:3], 0 offen offset:4
	v_mov_b32_e32 v105, s14
	ds_read_b64 v[108:109], v105
	v_add_u32_e32 v104, -1, v104
	s_add_i32 s14, s14, 8
	v_cmp_eq_u32_e32 vcc, 0, v104
	v_add_u32_e32 v103, 8, v103
	s_or_b64 s[6:7], vcc, s[6:7]
	s_waitcnt vmcnt(0) lgkmcnt(0)
	v_fmac_f64_e32 v[84:85], v[106:107], v[108:109]
	s_andn2_b64 exec, exec, s[6:7]
	s_cbranch_execnz .LBB40_243
; %bb.244:
	s_or_b64 exec, exec, s[6:7]
.LBB40_245:
	s_or_b64 exec, exec, s[12:13]
	v_mov_b32_e32 v103, 0
	ds_read_b64 v[104:105], v103 offset:120
	s_waitcnt lgkmcnt(0)
	v_mul_f64 v[84:85], v[84:85], v[104:105]
	buffer_store_dword v85, off, s[0:3], 0 offset:124
	buffer_store_dword v84, off, s[0:3], 0 offset:120
.LBB40_246:
	s_or_b64 exec, exec, s[10:11]
	buffer_load_dword v84, off, s[0:3], 0 offset:112
	buffer_load_dword v85, off, s[0:3], 0 offset:116
	v_cmp_lt_u32_e64 s[6:7], 14, v0
	s_waitcnt vmcnt(0)
	ds_write_b64 v86, v[84:85]
	s_waitcnt lgkmcnt(0)
	; wave barrier
	s_waitcnt lgkmcnt(0)
	s_and_saveexec_b64 s[10:11], s[6:7]
	s_cbranch_execz .LBB40_256
; %bb.247:
	s_andn2_b64 vcc, exec, s[8:9]
	s_cbranch_vccnz .LBB40_249
; %bb.248:
	buffer_load_dword v84, v87, s[0:3], 0 offen
	buffer_load_dword v85, v87, s[0:3], 0 offen offset:4
	ds_read_b64 v[104:105], v86
	s_waitcnt vmcnt(0) lgkmcnt(0)
	v_mul_f64 v[84:85], v[84:85], v[104:105]
	s_cbranch_execz .LBB40_250
	s_branch .LBB40_251
.LBB40_249:
                                        ; implicit-def: $vgpr84_vgpr85
.LBB40_250:
	ds_read_b64 v[84:85], v86
.LBB40_251:
	s_and_saveexec_b64 s[12:13], s[4:5]
	s_cbranch_execz .LBB40_255
; %bb.252:
	v_add_u32_e32 v103, -15, v0
	s_movk_i32 s14, 0x1c8
	s_mov_b64 s[4:5], 0
.LBB40_253:                             ; =>This Inner Loop Header: Depth=1
	buffer_load_dword v104, v102, s[0:3], 0 offen
	buffer_load_dword v105, v102, s[0:3], 0 offen offset:4
	v_mov_b32_e32 v106, s14
	ds_read_b64 v[106:107], v106
	v_add_u32_e32 v103, -1, v103
	s_add_i32 s14, s14, 8
	v_cmp_eq_u32_e32 vcc, 0, v103
	v_add_u32_e32 v102, 8, v102
	s_or_b64 s[4:5], vcc, s[4:5]
	s_waitcnt vmcnt(0) lgkmcnt(0)
	v_fmac_f64_e32 v[84:85], v[104:105], v[106:107]
	s_andn2_b64 exec, exec, s[4:5]
	s_cbranch_execnz .LBB40_253
; %bb.254:
	s_or_b64 exec, exec, s[4:5]
.LBB40_255:
	s_or_b64 exec, exec, s[12:13]
	v_mov_b32_e32 v102, 0
	ds_read_b64 v[102:103], v102 offset:112
	s_waitcnt lgkmcnt(0)
	v_mul_f64 v[84:85], v[84:85], v[102:103]
	buffer_store_dword v85, off, s[0:3], 0 offset:116
	buffer_store_dword v84, off, s[0:3], 0 offset:112
.LBB40_256:
	;; [unrolled: 58-line block ×15, first 2 shown]
	s_or_b64 exec, exec, s[10:11]
	buffer_load_dword v84, off, s[0:3], 0
	buffer_load_dword v85, off, s[0:3], 0 offset:4
	v_cmp_ne_u32_e32 vcc, 0, v0
	s_waitcnt vmcnt(0)
	ds_write_b64 v86, v[84:85]
	s_waitcnt lgkmcnt(0)
	; wave barrier
	s_waitcnt lgkmcnt(0)
	s_and_saveexec_b64 s[6:7], vcc
	s_cbranch_execz .LBB40_396
; %bb.387:
	s_andn2_b64 vcc, exec, s[8:9]
	s_cbranch_vccnz .LBB40_389
; %bb.388:
	buffer_load_dword v84, v87, s[0:3], 0 offen
	buffer_load_dword v85, v87, s[0:3], 0 offen offset:4
	ds_read_b64 v[90:91], v86
	s_waitcnt vmcnt(0) lgkmcnt(0)
	v_mul_f64 v[84:85], v[84:85], v[90:91]
	s_cbranch_execz .LBB40_390
	s_branch .LBB40_391
.LBB40_389:
                                        ; implicit-def: $vgpr84_vgpr85
.LBB40_390:
	ds_read_b64 v[84:85], v86
.LBB40_391:
	s_and_saveexec_b64 s[10:11], s[4:5]
	s_cbranch_execz .LBB40_395
; %bb.392:
	v_add_u32_e32 v89, -1, v0
	s_movk_i32 s12, 0x158
	s_mov_b64 s[4:5], 0
.LBB40_393:                             ; =>This Inner Loop Header: Depth=1
	buffer_load_dword v90, v88, s[0:3], 0 offen
	buffer_load_dword v91, v88, s[0:3], 0 offen offset:4
	v_mov_b32_e32 v92, s12
	ds_read_b64 v[92:93], v92
	v_add_u32_e32 v89, -1, v89
	s_add_i32 s12, s12, 8
	v_cmp_eq_u32_e32 vcc, 0, v89
	v_add_u32_e32 v88, 8, v88
	s_or_b64 s[4:5], vcc, s[4:5]
	s_waitcnt vmcnt(0) lgkmcnt(0)
	v_fmac_f64_e32 v[84:85], v[90:91], v[92:93]
	s_andn2_b64 exec, exec, s[4:5]
	s_cbranch_execnz .LBB40_393
; %bb.394:
	s_or_b64 exec, exec, s[4:5]
.LBB40_395:
	s_or_b64 exec, exec, s[10:11]
	v_mov_b32_e32 v88, 0
	ds_read_b64 v[88:89], v88
	s_waitcnt lgkmcnt(0)
	v_mul_f64 v[84:85], v[84:85], v[88:89]
	buffer_store_dword v85, off, s[0:3], 0 offset:4
	buffer_store_dword v84, off, s[0:3], 0
.LBB40_396:
	s_or_b64 exec, exec, s[6:7]
	s_mov_b64 s[4:5], 0
.LBB40_397:
	s_and_b64 vcc, exec, s[4:5]
	s_cbranch_vccz .LBB40_791
; %bb.398:
	buffer_load_dword v84, off, s[0:3], 0 offset:8
	buffer_load_dword v85, off, s[0:3], 0 offset:12
	v_cmp_eq_u32_e64 s[6:7], 0, v0
	s_waitcnt vmcnt(0)
	ds_write_b64 v86, v[84:85]
	s_waitcnt lgkmcnt(0)
	; wave barrier
	s_waitcnt lgkmcnt(0)
	s_and_saveexec_b64 s[4:5], s[6:7]
	s_cbranch_execz .LBB40_404
; %bb.399:
	s_and_b64 vcc, exec, s[8:9]
	s_cbranch_vccz .LBB40_401
; %bb.400:
	buffer_load_dword v84, v87, s[0:3], 0 offen
	buffer_load_dword v85, v87, s[0:3], 0 offen offset:4
	ds_read_b64 v[88:89], v86
	s_waitcnt vmcnt(0) lgkmcnt(0)
	v_mul_f64 v[84:85], v[84:85], v[88:89]
	s_cbranch_execz .LBB40_402
	s_branch .LBB40_403
.LBB40_401:
                                        ; implicit-def: $vgpr84_vgpr85
.LBB40_402:
	ds_read_b64 v[84:85], v86
.LBB40_403:
	v_mov_b32_e32 v88, 0
	ds_read_b64 v[88:89], v88 offset:8
	s_waitcnt lgkmcnt(0)
	v_mul_f64 v[84:85], v[84:85], v[88:89]
	buffer_store_dword v85, off, s[0:3], 0 offset:12
	buffer_store_dword v84, off, s[0:3], 0 offset:8
.LBB40_404:
	s_or_b64 exec, exec, s[4:5]
	buffer_load_dword v84, off, s[0:3], 0 offset:16
	buffer_load_dword v85, off, s[0:3], 0 offset:20
	v_cndmask_b32_e64 v88, 0, 1, s[8:9]
	v_cmp_gt_u32_e32 vcc, 2, v0
	v_cmp_ne_u32_e64 s[4:5], 1, v88
	s_waitcnt vmcnt(0)
	ds_write_b64 v86, v[84:85]
	s_waitcnt lgkmcnt(0)
	; wave barrier
	s_waitcnt lgkmcnt(0)
	s_and_saveexec_b64 s[8:9], vcc
	s_cbranch_execz .LBB40_412
; %bb.405:
	s_and_b64 vcc, exec, s[4:5]
	s_cbranch_vccnz .LBB40_407
; %bb.406:
	buffer_load_dword v84, v87, s[0:3], 0 offen
	buffer_load_dword v85, v87, s[0:3], 0 offen offset:4
	ds_read_b64 v[88:89], v86
	s_waitcnt vmcnt(0) lgkmcnt(0)
	v_mul_f64 v[84:85], v[84:85], v[88:89]
	s_cbranch_execz .LBB40_408
	s_branch .LBB40_409
.LBB40_407:
                                        ; implicit-def: $vgpr84_vgpr85
.LBB40_408:
	ds_read_b64 v[84:85], v86
.LBB40_409:
	s_and_saveexec_b64 s[10:11], s[6:7]
	s_cbranch_execz .LBB40_411
; %bb.410:
	buffer_load_dword v88, v87, s[0:3], 0 offen offset:8
	buffer_load_dword v89, v87, s[0:3], 0 offen offset:12
	ds_read_b64 v[90:91], v86 offset:8
	s_waitcnt vmcnt(0) lgkmcnt(0)
	v_fmac_f64_e32 v[84:85], v[88:89], v[90:91]
.LBB40_411:
	s_or_b64 exec, exec, s[10:11]
	v_mov_b32_e32 v88, 0
	ds_read_b64 v[88:89], v88 offset:16
	s_waitcnt lgkmcnt(0)
	v_mul_f64 v[84:85], v[84:85], v[88:89]
	buffer_store_dword v85, off, s[0:3], 0 offset:20
	buffer_store_dword v84, off, s[0:3], 0 offset:16
.LBB40_412:
	s_or_b64 exec, exec, s[8:9]
	buffer_load_dword v84, off, s[0:3], 0 offset:24
	buffer_load_dword v85, off, s[0:3], 0 offset:28
	v_cmp_gt_u32_e32 vcc, 3, v0
	s_waitcnt vmcnt(0)
	ds_write_b64 v86, v[84:85]
	s_waitcnt lgkmcnt(0)
	; wave barrier
	s_waitcnt lgkmcnt(0)
	s_and_saveexec_b64 s[8:9], vcc
	s_cbranch_execz .LBB40_420
; %bb.413:
	s_and_b64 vcc, exec, s[4:5]
	s_cbranch_vccnz .LBB40_415
; %bb.414:
	buffer_load_dword v84, v87, s[0:3], 0 offen
	buffer_load_dword v85, v87, s[0:3], 0 offen offset:4
	ds_read_b64 v[88:89], v86
	s_waitcnt vmcnt(0) lgkmcnt(0)
	v_mul_f64 v[84:85], v[84:85], v[88:89]
	s_cbranch_execz .LBB40_416
	s_branch .LBB40_417
.LBB40_415:
                                        ; implicit-def: $vgpr84_vgpr85
.LBB40_416:
	ds_read_b64 v[84:85], v86
.LBB40_417:
	v_cmp_ne_u32_e32 vcc, 2, v0
	s_and_saveexec_b64 s[10:11], vcc
	s_cbranch_execz .LBB40_419
; %bb.418:
	buffer_load_dword v89, v87, s[0:3], 0 offen offset:12
	buffer_load_dword v90, off, s[0:3], 0 offset:16
	buffer_load_dword v88, v87, s[0:3], 0 offen offset:8
	buffer_load_dword v91, off, s[0:3], 0 offset:20
	v_mov_b32_e32 v94, 0
	ds_read_b64 v[92:93], v86 offset:8
	ds_read_b64 v[94:95], v94 offset:352
	s_waitcnt vmcnt(1) lgkmcnt(1)
	v_fmac_f64_e32 v[84:85], v[88:89], v[92:93]
	s_waitcnt vmcnt(0) lgkmcnt(0)
	v_fma_f64 v[88:89], v[90:91], v[94:95], v[84:85]
	v_cndmask_b32_e64 v85, v85, v89, s[6:7]
	v_cndmask_b32_e64 v84, v84, v88, s[6:7]
.LBB40_419:
	s_or_b64 exec, exec, s[10:11]
	v_mov_b32_e32 v88, 0
	ds_read_b64 v[88:89], v88 offset:24
	s_waitcnt lgkmcnt(0)
	v_mul_f64 v[84:85], v[84:85], v[88:89]
	buffer_store_dword v85, off, s[0:3], 0 offset:28
	buffer_store_dword v84, off, s[0:3], 0 offset:24
.LBB40_420:
	s_or_b64 exec, exec, s[8:9]
	buffer_load_dword v84, off, s[0:3], 0 offset:32
	buffer_load_dword v85, off, s[0:3], 0 offset:36
	v_cmp_gt_u32_e32 vcc, 4, v0
	s_waitcnt vmcnt(0)
	ds_write_b64 v86, v[84:85]
	s_waitcnt lgkmcnt(0)
	; wave barrier
	s_waitcnt lgkmcnt(0)
	s_and_saveexec_b64 s[6:7], vcc
	s_cbranch_execz .LBB40_430
; %bb.421:
	s_and_b64 vcc, exec, s[4:5]
	s_cbranch_vccnz .LBB40_423
; %bb.422:
	buffer_load_dword v84, v87, s[0:3], 0 offen
	buffer_load_dword v85, v87, s[0:3], 0 offen offset:4
	ds_read_b64 v[88:89], v86
	s_waitcnt vmcnt(0) lgkmcnt(0)
	v_mul_f64 v[84:85], v[84:85], v[88:89]
	s_cbranch_execz .LBB40_424
	s_branch .LBB40_425
.LBB40_423:
                                        ; implicit-def: $vgpr84_vgpr85
.LBB40_424:
	ds_read_b64 v[84:85], v86
.LBB40_425:
	v_cmp_ne_u32_e32 vcc, 3, v0
	s_and_saveexec_b64 s[8:9], vcc
	s_cbranch_execz .LBB40_429
; %bb.426:
	v_mov_b32_e32 v89, 0
	v_add_u32_e32 v88, 0x158, v1
	v_add3_u32 v89, v1, v89, 8
	s_mov_b64 s[10:11], 0
	v_mov_b32_e32 v90, v0
.LBB40_427:                             ; =>This Inner Loop Header: Depth=1
	buffer_load_dword v92, v89, s[0:3], 0 offen
	buffer_load_dword v93, v89, s[0:3], 0 offen offset:4
	ds_read_b64 v[94:95], v88
	v_add_u32_e32 v90, 1, v90
	v_cmp_lt_u32_e32 vcc, 2, v90
	v_add_u32_e32 v88, 8, v88
	v_add_u32_e32 v89, 8, v89
	s_or_b64 s[10:11], vcc, s[10:11]
	s_waitcnt vmcnt(0) lgkmcnt(0)
	v_fmac_f64_e32 v[84:85], v[92:93], v[94:95]
	s_andn2_b64 exec, exec, s[10:11]
	s_cbranch_execnz .LBB40_427
; %bb.428:
	s_or_b64 exec, exec, s[10:11]
.LBB40_429:
	s_or_b64 exec, exec, s[8:9]
	v_mov_b32_e32 v88, 0
	ds_read_b64 v[88:89], v88 offset:32
	s_waitcnt lgkmcnt(0)
	v_mul_f64 v[84:85], v[84:85], v[88:89]
	buffer_store_dword v85, off, s[0:3], 0 offset:36
	buffer_store_dword v84, off, s[0:3], 0 offset:32
.LBB40_430:
	s_or_b64 exec, exec, s[6:7]
	buffer_load_dword v84, off, s[0:3], 0 offset:40
	buffer_load_dword v85, off, s[0:3], 0 offset:44
	v_cmp_gt_u32_e32 vcc, 5, v0
	s_waitcnt vmcnt(0)
	ds_write_b64 v86, v[84:85]
	s_waitcnt lgkmcnt(0)
	; wave barrier
	s_waitcnt lgkmcnt(0)
	s_and_saveexec_b64 s[6:7], vcc
	s_cbranch_execz .LBB40_440
; %bb.431:
	s_and_b64 vcc, exec, s[4:5]
	s_cbranch_vccnz .LBB40_433
; %bb.432:
	buffer_load_dword v84, v87, s[0:3], 0 offen
	buffer_load_dword v85, v87, s[0:3], 0 offen offset:4
	ds_read_b64 v[88:89], v86
	s_waitcnt vmcnt(0) lgkmcnt(0)
	v_mul_f64 v[84:85], v[84:85], v[88:89]
	s_cbranch_execz .LBB40_434
	s_branch .LBB40_435
.LBB40_433:
                                        ; implicit-def: $vgpr84_vgpr85
.LBB40_434:
	ds_read_b64 v[84:85], v86
.LBB40_435:
	v_cmp_ne_u32_e32 vcc, 4, v0
	s_and_saveexec_b64 s[8:9], vcc
	s_cbranch_execz .LBB40_439
; %bb.436:
	v_mov_b32_e32 v89, 0
	v_add_u32_e32 v88, 0x158, v1
	v_add3_u32 v89, v1, v89, 8
	s_mov_b64 s[10:11], 0
	v_mov_b32_e32 v90, v0
.LBB40_437:                             ; =>This Inner Loop Header: Depth=1
	buffer_load_dword v92, v89, s[0:3], 0 offen
	buffer_load_dword v93, v89, s[0:3], 0 offen offset:4
	ds_read_b64 v[94:95], v88
	v_add_u32_e32 v90, 1, v90
	v_cmp_lt_u32_e32 vcc, 3, v90
	v_add_u32_e32 v88, 8, v88
	v_add_u32_e32 v89, 8, v89
	s_or_b64 s[10:11], vcc, s[10:11]
	s_waitcnt vmcnt(0) lgkmcnt(0)
	v_fmac_f64_e32 v[84:85], v[92:93], v[94:95]
	s_andn2_b64 exec, exec, s[10:11]
	s_cbranch_execnz .LBB40_437
; %bb.438:
	s_or_b64 exec, exec, s[10:11]
.LBB40_439:
	s_or_b64 exec, exec, s[8:9]
	v_mov_b32_e32 v88, 0
	ds_read_b64 v[88:89], v88 offset:40
	s_waitcnt lgkmcnt(0)
	v_mul_f64 v[84:85], v[84:85], v[88:89]
	buffer_store_dword v85, off, s[0:3], 0 offset:44
	buffer_store_dword v84, off, s[0:3], 0 offset:40
.LBB40_440:
	;; [unrolled: 60-line block ×35, first 2 shown]
	s_or_b64 exec, exec, s[6:7]
	buffer_load_dword v84, off, s[0:3], 0 offset:312
	buffer_load_dword v85, off, s[0:3], 0 offset:316
	v_cmp_gt_u32_e64 s[6:7], 39, v0
	s_waitcnt vmcnt(0)
	ds_write_b64 v86, v[84:85]
	s_waitcnt lgkmcnt(0)
	; wave barrier
	s_waitcnt lgkmcnt(0)
	s_and_saveexec_b64 s[8:9], s[6:7]
	s_cbranch_execz .LBB40_780
; %bb.771:
	s_and_b64 vcc, exec, s[4:5]
	s_cbranch_vccnz .LBB40_773
; %bb.772:
	buffer_load_dword v84, v87, s[0:3], 0 offen
	buffer_load_dword v85, v87, s[0:3], 0 offen offset:4
	ds_read_b64 v[88:89], v86
	s_waitcnt vmcnt(0) lgkmcnt(0)
	v_mul_f64 v[84:85], v[84:85], v[88:89]
	s_cbranch_execz .LBB40_774
	s_branch .LBB40_775
.LBB40_773:
                                        ; implicit-def: $vgpr84_vgpr85
.LBB40_774:
	ds_read_b64 v[84:85], v86
.LBB40_775:
	v_cmp_ne_u32_e32 vcc, 38, v0
	s_and_saveexec_b64 s[10:11], vcc
	s_cbranch_execz .LBB40_779
; %bb.776:
	v_mov_b32_e32 v89, 0
	v_add_u32_e32 v88, 0x158, v1
	v_add3_u32 v89, v1, v89, 8
	s_mov_b64 s[12:13], 0
	v_mov_b32_e32 v90, v0
.LBB40_777:                             ; =>This Inner Loop Header: Depth=1
	buffer_load_dword v92, v89, s[0:3], 0 offen
	buffer_load_dword v93, v89, s[0:3], 0 offen offset:4
	ds_read_b64 v[94:95], v88
	v_add_u32_e32 v90, 1, v90
	v_cmp_lt_u32_e32 vcc, 37, v90
	v_add_u32_e32 v88, 8, v88
	v_add_u32_e32 v89, 8, v89
	s_or_b64 s[12:13], vcc, s[12:13]
	s_waitcnt vmcnt(0) lgkmcnt(0)
	v_fmac_f64_e32 v[84:85], v[92:93], v[94:95]
	s_andn2_b64 exec, exec, s[12:13]
	s_cbranch_execnz .LBB40_777
; %bb.778:
	s_or_b64 exec, exec, s[12:13]
.LBB40_779:
	s_or_b64 exec, exec, s[10:11]
	v_mov_b32_e32 v88, 0
	ds_read_b64 v[88:89], v88 offset:312
	s_waitcnt lgkmcnt(0)
	v_mul_f64 v[84:85], v[84:85], v[88:89]
	buffer_store_dword v85, off, s[0:3], 0 offset:316
	buffer_store_dword v84, off, s[0:3], 0 offset:312
.LBB40_780:
	s_or_b64 exec, exec, s[8:9]
	buffer_load_dword v84, off, s[0:3], 0 offset:320
	buffer_load_dword v85, off, s[0:3], 0 offset:324
	v_cmp_ne_u32_e32 vcc, 40, v0
	s_waitcnt vmcnt(0)
	ds_write_b64 v86, v[84:85]
	s_waitcnt lgkmcnt(0)
	; wave barrier
	s_waitcnt lgkmcnt(0)
	s_and_saveexec_b64 s[8:9], vcc
	s_cbranch_execz .LBB40_790
; %bb.781:
	s_and_b64 vcc, exec, s[4:5]
	s_cbranch_vccnz .LBB40_783
; %bb.782:
	buffer_load_dword v84, v87, s[0:3], 0 offen
	buffer_load_dword v85, v87, s[0:3], 0 offen offset:4
	ds_read_b64 v[88:89], v86
	s_waitcnt vmcnt(0) lgkmcnt(0)
	v_mul_f64 v[84:85], v[84:85], v[88:89]
	s_cbranch_execz .LBB40_784
	s_branch .LBB40_785
.LBB40_783:
                                        ; implicit-def: $vgpr84_vgpr85
.LBB40_784:
	ds_read_b64 v[84:85], v86
.LBB40_785:
	s_and_saveexec_b64 s[4:5], s[6:7]
	s_cbranch_execz .LBB40_789
; %bb.786:
	v_mov_b32_e32 v87, 0
	v_add_u32_e32 v86, 0x158, v1
	v_add3_u32 v1, v1, v87, 8
	s_mov_b64 s[6:7], 0
.LBB40_787:                             ; =>This Inner Loop Header: Depth=1
	buffer_load_dword v88, v1, s[0:3], 0 offen
	buffer_load_dword v89, v1, s[0:3], 0 offen offset:4
	ds_read_b64 v[90:91], v86
	v_add_u32_e32 v0, 1, v0
	v_cmp_lt_u32_e32 vcc, 38, v0
	v_add_u32_e32 v86, 8, v86
	v_add_u32_e32 v1, 8, v1
	s_or_b64 s[6:7], vcc, s[6:7]
	s_waitcnt vmcnt(0) lgkmcnt(0)
	v_fmac_f64_e32 v[84:85], v[88:89], v[90:91]
	s_andn2_b64 exec, exec, s[6:7]
	s_cbranch_execnz .LBB40_787
; %bb.788:
	s_or_b64 exec, exec, s[6:7]
.LBB40_789:
	s_or_b64 exec, exec, s[4:5]
	v_mov_b32_e32 v0, 0
	ds_read_b64 v[0:1], v0 offset:320
	s_waitcnt lgkmcnt(0)
	v_mul_f64 v[0:1], v[84:85], v[0:1]
	buffer_store_dword v1, off, s[0:3], 0 offset:324
	buffer_store_dword v0, off, s[0:3], 0 offset:320
.LBB40_790:
	s_or_b64 exec, exec, s[8:9]
.LBB40_791:
	buffer_load_dword v0, off, s[0:3], 0
	buffer_load_dword v1, off, s[0:3], 0 offset:4
	buffer_load_dword v84, off, s[0:3], 0 offset:8
	;; [unrolled: 1-line block ×81, first 2 shown]
	s_waitcnt vmcnt(62)
	global_store_dwordx2 v[72:73], v[0:1], off
	global_store_dwordx2 v[74:75], v[84:85], off
	;; [unrolled: 1-line block ×8, first 2 shown]
	s_waitcnt vmcnt(62)
	global_store_dwordx2 v[14:15], v[104:105], off
	global_store_dwordx2 v[16:17], v[98:99], off
	;; [unrolled: 1-line block ×6, first 2 shown]
	s_waitcnt vmcnt(62)
	global_store_dwordx2 v[26:27], v[110:111], off
	global_store_dwordx2 v[28:29], v[112:113], off
	;; [unrolled: 1-line block ×3, first 2 shown]
	s_waitcnt vmcnt(62)
	global_store_dwordx2 v[32:33], v[116:117], off
	s_waitcnt vmcnt(62)
	global_store_dwordx2 v[34:35], v[118:119], off
	;; [unrolled: 2-line block ×24, first 2 shown]
.LBB40_792:
	s_endpgm
	.section	.rodata,"a",@progbits
	.p2align	6, 0x0
	.amdhsa_kernel _ZN9rocsolver6v33100L18trti2_kernel_smallILi41EdPdEEv13rocblas_fill_17rocblas_diagonal_T1_iil
		.amdhsa_group_segment_fixed_size 664
		.amdhsa_private_segment_fixed_size 336
		.amdhsa_kernarg_size 32
		.amdhsa_user_sgpr_count 8
		.amdhsa_user_sgpr_private_segment_buffer 1
		.amdhsa_user_sgpr_dispatch_ptr 0
		.amdhsa_user_sgpr_queue_ptr 0
		.amdhsa_user_sgpr_kernarg_segment_ptr 1
		.amdhsa_user_sgpr_dispatch_id 0
		.amdhsa_user_sgpr_flat_scratch_init 1
		.amdhsa_user_sgpr_kernarg_preload_length 0
		.amdhsa_user_sgpr_kernarg_preload_offset 0
		.amdhsa_user_sgpr_private_segment_size 0
		.amdhsa_uses_dynamic_stack 0
		.amdhsa_system_sgpr_private_segment_wavefront_offset 1
		.amdhsa_system_sgpr_workgroup_id_x 1
		.amdhsa_system_sgpr_workgroup_id_y 0
		.amdhsa_system_sgpr_workgroup_id_z 0
		.amdhsa_system_sgpr_workgroup_info 0
		.amdhsa_system_vgpr_workitem_id 0
		.amdhsa_next_free_vgpr 164
		.amdhsa_next_free_sgpr 20
		.amdhsa_accum_offset 164
		.amdhsa_reserve_vcc 1
		.amdhsa_reserve_flat_scratch 0
		.amdhsa_float_round_mode_32 0
		.amdhsa_float_round_mode_16_64 0
		.amdhsa_float_denorm_mode_32 3
		.amdhsa_float_denorm_mode_16_64 3
		.amdhsa_dx10_clamp 1
		.amdhsa_ieee_mode 1
		.amdhsa_fp16_overflow 0
		.amdhsa_tg_split 0
		.amdhsa_exception_fp_ieee_invalid_op 0
		.amdhsa_exception_fp_denorm_src 0
		.amdhsa_exception_fp_ieee_div_zero 0
		.amdhsa_exception_fp_ieee_overflow 0
		.amdhsa_exception_fp_ieee_underflow 0
		.amdhsa_exception_fp_ieee_inexact 0
		.amdhsa_exception_int_div_zero 0
	.end_amdhsa_kernel
	.section	.text._ZN9rocsolver6v33100L18trti2_kernel_smallILi41EdPdEEv13rocblas_fill_17rocblas_diagonal_T1_iil,"axG",@progbits,_ZN9rocsolver6v33100L18trti2_kernel_smallILi41EdPdEEv13rocblas_fill_17rocblas_diagonal_T1_iil,comdat
.Lfunc_end40:
	.size	_ZN9rocsolver6v33100L18trti2_kernel_smallILi41EdPdEEv13rocblas_fill_17rocblas_diagonal_T1_iil, .Lfunc_end40-_ZN9rocsolver6v33100L18trti2_kernel_smallILi41EdPdEEv13rocblas_fill_17rocblas_diagonal_T1_iil
                                        ; -- End function
	.section	.AMDGPU.csdata,"",@progbits
; Kernel info:
; codeLenInByte = 23772
; NumSgprs: 24
; NumVgprs: 164
; NumAgprs: 0
; TotalNumVgprs: 164
; ScratchSize: 336
; MemoryBound: 0
; FloatMode: 240
; IeeeMode: 1
; LDSByteSize: 664 bytes/workgroup (compile time only)
; SGPRBlocks: 2
; VGPRBlocks: 20
; NumSGPRsForWavesPerEU: 24
; NumVGPRsForWavesPerEU: 164
; AccumOffset: 164
; Occupancy: 3
; WaveLimiterHint : 0
; COMPUTE_PGM_RSRC2:SCRATCH_EN: 1
; COMPUTE_PGM_RSRC2:USER_SGPR: 8
; COMPUTE_PGM_RSRC2:TRAP_HANDLER: 0
; COMPUTE_PGM_RSRC2:TGID_X_EN: 1
; COMPUTE_PGM_RSRC2:TGID_Y_EN: 0
; COMPUTE_PGM_RSRC2:TGID_Z_EN: 0
; COMPUTE_PGM_RSRC2:TIDIG_COMP_CNT: 0
; COMPUTE_PGM_RSRC3_GFX90A:ACCUM_OFFSET: 40
; COMPUTE_PGM_RSRC3_GFX90A:TG_SPLIT: 0
	.section	.text._ZN9rocsolver6v33100L18trti2_kernel_smallILi42EdPdEEv13rocblas_fill_17rocblas_diagonal_T1_iil,"axG",@progbits,_ZN9rocsolver6v33100L18trti2_kernel_smallILi42EdPdEEv13rocblas_fill_17rocblas_diagonal_T1_iil,comdat
	.globl	_ZN9rocsolver6v33100L18trti2_kernel_smallILi42EdPdEEv13rocblas_fill_17rocblas_diagonal_T1_iil ; -- Begin function _ZN9rocsolver6v33100L18trti2_kernel_smallILi42EdPdEEv13rocblas_fill_17rocblas_diagonal_T1_iil
	.p2align	8
	.type	_ZN9rocsolver6v33100L18trti2_kernel_smallILi42EdPdEEv13rocblas_fill_17rocblas_diagonal_T1_iil,@function
_ZN9rocsolver6v33100L18trti2_kernel_smallILi42EdPdEEv13rocblas_fill_17rocblas_diagonal_T1_iil: ; @_ZN9rocsolver6v33100L18trti2_kernel_smallILi42EdPdEEv13rocblas_fill_17rocblas_diagonal_T1_iil
; %bb.0:
	s_add_u32 s0, s0, s9
	s_addc_u32 s1, s1, 0
	v_cmp_gt_u32_e32 vcc, 42, v0
	s_and_saveexec_b64 s[6:7], vcc
	s_cbranch_execz .LBB41_812
; %bb.1:
	s_load_dwordx8 s[12:19], s[4:5], 0x0
	s_ashr_i32 s6, s8, 31
	s_waitcnt lgkmcnt(0)
	s_mul_i32 s7, s8, s19
	s_mul_hi_u32 s9, s8, s18
	s_add_i32 s7, s9, s7
	s_mul_i32 s6, s6, s18
	s_add_i32 s7, s7, s6
	s_mul_i32 s6, s8, s18
	s_ashr_i32 s5, s16, 31
	s_lshl_b64 s[6:7], s[6:7], 3
	s_mov_b32 s4, s16
	s_add_u32 s6, s14, s6
	s_addc_u32 s7, s15, s7
	s_lshl_b64 s[4:5], s[4:5], 3
	s_add_u32 s4, s6, s4
	s_addc_u32 s5, s7, s5
	s_add_i32 s6, s17, s17
	v_add_u32_e32 v4, s6, v0
	v_ashrrev_i32_e32 v5, 31, v4
	v_lshlrev_b64 v[2:3], 3, v[4:5]
	v_add_u32_e32 v6, s17, v4
	v_mov_b32_e32 v1, s5
	v_add_co_u32_e32 v2, vcc, s4, v2
	v_ashrrev_i32_e32 v7, 31, v6
	v_addc_co_u32_e32 v3, vcc, v1, v3, vcc
	v_lshlrev_b64 v[4:5], 3, v[6:7]
	v_add_u32_e32 v8, s17, v6
	v_add_co_u32_e32 v4, vcc, s4, v4
	v_ashrrev_i32_e32 v9, 31, v8
	v_addc_co_u32_e32 v5, vcc, v1, v5, vcc
	v_lshlrev_b64 v[6:7], 3, v[8:9]
	v_add_u32_e32 v10, s17, v8
	;; [unrolled: 5-line block ×32, first 2 shown]
	v_add_co_u32_e32 v66, vcc, s4, v66
	v_ashrrev_i32_e32 v71, 31, v70
	v_addc_co_u32_e32 v67, vcc, v1, v67, vcc
	v_lshlrev_b64 v[68:69], 3, v[70:71]
	v_add_co_u32_e32 v68, vcc, s4, v68
	v_add_u32_e32 v72, s17, v70
	v_addc_co_u32_e32 v69, vcc, v1, v69, vcc
	v_ashrrev_i32_e32 v73, 31, v72
	v_lshlrev_b32_e32 v1, 3, v0
	v_lshlrev_b64 v[70:71], 3, v[72:73]
	v_mov_b32_e32 v73, s5
	v_add_co_u32_e32 v76, vcc, s4, v1
	s_ashr_i32 s7, s17, 31
	s_mov_b32 s6, s17
	v_addc_co_u32_e32 v77, vcc, 0, v73, vcc
	s_lshl_b64 s[6:7], s[6:7], 3
	v_mov_b32_e32 v73, s7
	v_add_co_u32_e32 v78, vcc, s6, v76
	v_addc_co_u32_e32 v79, vcc, v77, v73, vcc
	v_mov_b32_e32 v74, s5
	v_add_co_u32_e32 v70, vcc, s4, v70
	v_addc_co_u32_e32 v71, vcc, v74, v71, vcc
	v_add_u32_e32 v74, s17, v72
	v_ashrrev_i32_e32 v75, 31, v74
	v_lshlrev_b64 v[72:73], 3, v[74:75]
	v_mov_b32_e32 v80, s5
	v_add_co_u32_e32 v72, vcc, s4, v72
	global_load_dwordx2 v[86:87], v1, s[4:5]
	global_load_dwordx2 v[90:91], v[2:3], off
	global_load_dwordx2 v[92:93], v[4:5], off
	;; [unrolled: 1-line block ×3, first 2 shown]
	v_addc_co_u32_e32 v73, vcc, v80, v73, vcc
	v_add_u32_e32 v80, s17, v74
	v_ashrrev_i32_e32 v81, 31, v80
	v_lshlrev_b64 v[74:75], 3, v[80:81]
	v_mov_b32_e32 v82, s5
	v_add_co_u32_e32 v74, vcc, s4, v74
	global_load_dwordx2 v[88:89], v[78:79], off
	v_addc_co_u32_e32 v75, vcc, v82, v75, vcc
	v_add_u32_e32 v82, s17, v80
	v_ashrrev_i32_e32 v83, 31, v82
	v_lshlrev_b64 v[80:81], 3, v[82:83]
	v_mov_b32_e32 v84, s5
	v_add_co_u32_e32 v80, vcc, s4, v80
	v_addc_co_u32_e32 v81, vcc, v84, v81, vcc
	v_add_u32_e32 v84, s17, v82
	v_ashrrev_i32_e32 v85, 31, v84
	v_lshlrev_b64 v[82:83], 3, v[84:85]
	v_add_u32_e32 v84, s17, v84
	v_mov_b32_e32 v136, s5
	v_add_co_u32_e32 v82, vcc, s4, v82
	v_ashrrev_i32_e32 v85, 31, v84
	v_addc_co_u32_e32 v83, vcc, v136, v83, vcc
	v_lshlrev_b64 v[84:85], 3, v[84:85]
	v_mov_b32_e32 v152, s5
	v_add_co_u32_e32 v84, vcc, s4, v84
	global_load_dwordx2 v[96:97], v[8:9], off
	global_load_dwordx2 v[98:99], v[10:11], off
	;; [unrolled: 1-line block ×28, first 2 shown]
	v_addc_co_u32_e32 v85, vcc, v152, v85, vcc
	global_load_dwordx2 v[152:153], v[64:65], off
	global_load_dwordx2 v[154:155], v[84:85], off
	;; [unrolled: 1-line block ×6, first 2 shown]
	s_cmpk_lg_i32 s13, 0x84
	s_cselect_b64 s[8:9], -1, 0
	s_cmpk_eq_i32 s13, 0x84
	s_waitcnt vmcnt(38)
	buffer_store_dword v87, off, s[0:3], 0 offset:4
	buffer_store_dword v86, off, s[0:3], 0
	global_load_dwordx2 v[86:87], v[70:71], off
	s_waitcnt vmcnt(40)
	buffer_store_dword v91, off, s[0:3], 0 offset:20
	buffer_store_dword v90, off, s[0:3], 0 offset:16
	global_load_dwordx2 v[90:91], v[82:83], off
	s_waitcnt vmcnt(40)
	buffer_store_dword v89, off, s[0:3], 0 offset:12
	buffer_store_dword v88, off, s[0:3], 0 offset:8
	global_load_dwordx2 v[88:89], v[74:75], off
	s_nop 0
	buffer_store_dword v93, off, s[0:3], 0 offset:28
	buffer_store_dword v92, off, s[0:3], 0 offset:24
	;; [unrolled: 1-line block ×4, first 2 shown]
	s_waitcnt vmcnt(46)
	buffer_store_dword v97, off, s[0:3], 0 offset:44
	buffer_store_dword v96, off, s[0:3], 0 offset:40
	s_waitcnt vmcnt(47)
	buffer_store_dword v99, off, s[0:3], 0 offset:52
	buffer_store_dword v98, off, s[0:3], 0 offset:48
	;; [unrolled: 3-line block ×18, first 2 shown]
	buffer_store_dword v132, off, s[0:3], 0 offset:184
	buffer_store_dword v133, off, s[0:3], 0 offset:188
	s_waitcnt vmcnt(62)
	buffer_store_dword v134, off, s[0:3], 0 offset:192
	buffer_store_dword v135, off, s[0:3], 0 offset:196
	buffer_store_dword v137, off, s[0:3], 0 offset:204
	buffer_store_dword v136, off, s[0:3], 0 offset:200
	buffer_store_dword v139, off, s[0:3], 0 offset:212
	buffer_store_dword v138, off, s[0:3], 0 offset:208
	buffer_store_dword v140, off, s[0:3], 0 offset:216
	buffer_store_dword v141, off, s[0:3], 0 offset:220
	s_waitcnt vmcnt(62)
	buffer_store_dword v142, off, s[0:3], 0 offset:224
	buffer_store_dword v143, off, s[0:3], 0 offset:228
	;; [unrolled: 1-line block ×14, first 2 shown]
	s_waitcnt vmcnt(62)
	buffer_store_dword v158, off, s[0:3], 0 offset:280
	buffer_store_dword v159, off, s[0:3], 0 offset:284
	;; [unrolled: 1-line block ×14, first 2 shown]
	v_mov_b32_e32 v86, 0
	v_mov_b32_e32 v128, 0
	;; [unrolled: 1-line block ×3, first 2 shown]
	s_cbranch_scc1 .LBB41_3
; %bb.2:
	v_lshl_add_u32 v96, v0, 3, v128
	buffer_load_dword v86, v96, s[0:3], 0 offen
	buffer_load_dword v87, v96, s[0:3], 0 offen offset:4
	s_waitcnt vmcnt(0)
	v_div_scale_f64 v[88:89], s[4:5], v[86:87], v[86:87], 1.0
	v_rcp_f64_e32 v[90:91], v[88:89]
	v_div_scale_f64 v[92:93], vcc, 1.0, v[86:87], 1.0
	v_fma_f64 v[94:95], -v[88:89], v[90:91], 1.0
	v_fmac_f64_e32 v[90:91], v[90:91], v[94:95]
	v_fma_f64 v[94:95], -v[88:89], v[90:91], 1.0
	v_fmac_f64_e32 v[90:91], v[90:91], v[94:95]
	v_mul_f64 v[94:95], v[92:93], v[90:91]
	v_fma_f64 v[88:89], -v[88:89], v[94:95], v[92:93]
	v_div_fmas_f64 v[88:89], v[88:89], v[90:91], v[94:95]
	v_div_fixup_f64 v[86:87], v[88:89], v[86:87], 1.0
	buffer_store_dword v86, v96, s[0:3], 0 offen
	buffer_store_dword v87, v96, s[0:3], 0 offen offset:4
	v_xor_b32_e32 v87, 0x80000000, v87
.LBB41_3:
	s_cmpk_eq_i32 s12, 0x79
	v_add_u32_e32 v88, 0x150, v1
	v_add_u32_e32 v89, 0, v1
	s_mov_b64 s[4:5], -1
	ds_write_b64 v1, v[86:87]
	s_cbranch_scc1 .LBB41_407
; %bb.4:
	buffer_load_dword v86, off, s[0:3], 0 offset:320
	buffer_load_dword v87, off, s[0:3], 0 offset:324
	v_cmp_eq_u32_e64 s[4:5], 41, v0
	s_waitcnt vmcnt(0)
	ds_write_b64 v88, v[86:87]
	s_waitcnt lgkmcnt(0)
	; wave barrier
	s_waitcnt lgkmcnt(0)
	s_and_saveexec_b64 s[6:7], s[4:5]
	s_cbranch_execz .LBB41_10
; %bb.5:
	s_and_b64 vcc, exec, s[8:9]
	s_cbranch_vccz .LBB41_7
; %bb.6:
	buffer_load_dword v86, v89, s[0:3], 0 offen
	buffer_load_dword v87, v89, s[0:3], 0 offen offset:4
	ds_read_b64 v[90:91], v88
	s_waitcnt vmcnt(0) lgkmcnt(0)
	v_mul_f64 v[86:87], v[86:87], v[90:91]
	s_cbranch_execz .LBB41_8
	s_branch .LBB41_9
.LBB41_7:
                                        ; implicit-def: $vgpr86_vgpr87
.LBB41_8:
	ds_read_b64 v[86:87], v88
.LBB41_9:
	v_mov_b32_e32 v90, 0
	ds_read_b64 v[90:91], v90 offset:320
	s_waitcnt lgkmcnt(0)
	v_mul_f64 v[86:87], v[86:87], v[90:91]
	buffer_store_dword v87, off, s[0:3], 0 offset:324
	buffer_store_dword v86, off, s[0:3], 0 offset:320
.LBB41_10:
	s_or_b64 exec, exec, s[6:7]
	buffer_load_dword v86, off, s[0:3], 0 offset:312
	buffer_load_dword v87, off, s[0:3], 0 offset:316
	v_or_b32_e32 v90, 8, v128
	v_add_u32_e32 v91, 16, v128
	v_add_u32_e32 v92, 24, v128
	;; [unrolled: 1-line block ×38, first 2 shown]
	v_cmp_lt_u32_e64 s[6:7], 39, v0
	s_waitcnt vmcnt(0)
	ds_write_b64 v88, v[86:87]
	s_waitcnt lgkmcnt(0)
	; wave barrier
	s_waitcnt lgkmcnt(0)
	s_and_saveexec_b64 s[10:11], s[6:7]
	s_cbranch_execz .LBB41_16
; %bb.11:
	s_andn2_b64 vcc, exec, s[8:9]
	s_cbranch_vccnz .LBB41_13
; %bb.12:
	buffer_load_dword v86, v89, s[0:3], 0 offen
	buffer_load_dword v87, v89, s[0:3], 0 offen offset:4
	ds_read_b64 v[130:131], v88
	s_waitcnt vmcnt(0) lgkmcnt(0)
	v_mul_f64 v[86:87], v[86:87], v[130:131]
	s_cbranch_execz .LBB41_14
	s_branch .LBB41_15
.LBB41_13:
                                        ; implicit-def: $vgpr86_vgpr87
.LBB41_14:
	ds_read_b64 v[86:87], v88
.LBB41_15:
	buffer_load_dword v134, off, s[0:3], 0 offset:320
	buffer_load_dword v135, off, s[0:3], 0 offset:324
	v_mov_b32_e32 v129, 0
	ds_read2_b64 v[130:133], v129 offset0:39 offset1:82
	s_waitcnt vmcnt(0) lgkmcnt(0)
	v_fma_f64 v[132:133], v[134:135], v[132:133], v[86:87]
	v_cndmask_b32_e64 v87, v87, v133, s[4:5]
	v_cndmask_b32_e64 v86, v86, v132, s[4:5]
	v_mul_f64 v[86:87], v[86:87], v[130:131]
	buffer_store_dword v87, off, s[0:3], 0 offset:316
	buffer_store_dword v86, off, s[0:3], 0 offset:312
.LBB41_16:
	s_or_b64 exec, exec, s[10:11]
	buffer_load_dword v86, off, s[0:3], 0 offset:304
	buffer_load_dword v87, off, s[0:3], 0 offset:308
	v_cmp_lt_u32_e64 s[4:5], 38, v0
	s_waitcnt vmcnt(0)
	ds_write_b64 v88, v[86:87]
	s_waitcnt lgkmcnt(0)
	; wave barrier
	s_waitcnt lgkmcnt(0)
	s_and_saveexec_b64 s[10:11], s[4:5]
	s_cbranch_execz .LBB41_26
; %bb.17:
	s_andn2_b64 vcc, exec, s[8:9]
	s_cbranch_vccnz .LBB41_19
; %bb.18:
	buffer_load_dword v86, v89, s[0:3], 0 offen
	buffer_load_dword v87, v89, s[0:3], 0 offen offset:4
	ds_read_b64 v[130:131], v88
	s_waitcnt vmcnt(0) lgkmcnt(0)
	v_mul_f64 v[86:87], v[86:87], v[130:131]
	s_cbranch_execz .LBB41_20
	s_branch .LBB41_21
.LBB41_19:
                                        ; implicit-def: $vgpr86_vgpr87
.LBB41_20:
	ds_read_b64 v[86:87], v88
.LBB41_21:
	s_and_saveexec_b64 s[12:13], s[6:7]
	s_cbranch_execz .LBB41_25
; %bb.22:
	v_subrev_u32_e32 v129, 39, v0
	s_movk_i32 s14, 0x288
	s_mov_b64 s[6:7], 0
.LBB41_23:                              ; =>This Inner Loop Header: Depth=1
	buffer_load_dword v130, v128, s[0:3], 0 offen
	buffer_load_dword v131, v128, s[0:3], 0 offen offset:4
	v_mov_b32_e32 v132, s14
	ds_read_b64 v[132:133], v132
	v_add_u32_e32 v129, -1, v129
	s_add_i32 s14, s14, 8
	v_cmp_eq_u32_e32 vcc, 0, v129
	v_add_u32_e32 v128, 8, v128
	s_or_b64 s[6:7], vcc, s[6:7]
	s_waitcnt vmcnt(0) lgkmcnt(0)
	v_fmac_f64_e32 v[86:87], v[130:131], v[132:133]
	s_andn2_b64 exec, exec, s[6:7]
	s_cbranch_execnz .LBB41_23
; %bb.24:
	s_or_b64 exec, exec, s[6:7]
.LBB41_25:
	s_or_b64 exec, exec, s[12:13]
	v_mov_b32_e32 v128, 0
	ds_read_b64 v[128:129], v128 offset:304
	s_waitcnt lgkmcnt(0)
	v_mul_f64 v[86:87], v[86:87], v[128:129]
	buffer_store_dword v87, off, s[0:3], 0 offset:308
	buffer_store_dword v86, off, s[0:3], 0 offset:304
.LBB41_26:
	s_or_b64 exec, exec, s[10:11]
	buffer_load_dword v86, off, s[0:3], 0 offset:296
	buffer_load_dword v87, off, s[0:3], 0 offset:300
	v_cmp_lt_u32_e64 s[6:7], 37, v0
	s_waitcnt vmcnt(0)
	ds_write_b64 v88, v[86:87]
	s_waitcnt lgkmcnt(0)
	; wave barrier
	s_waitcnt lgkmcnt(0)
	s_and_saveexec_b64 s[10:11], s[6:7]
	s_cbranch_execz .LBB41_36
; %bb.27:
	s_andn2_b64 vcc, exec, s[8:9]
	s_cbranch_vccnz .LBB41_29
; %bb.28:
	buffer_load_dword v86, v89, s[0:3], 0 offen
	buffer_load_dword v87, v89, s[0:3], 0 offen offset:4
	ds_read_b64 v[128:129], v88
	s_waitcnt vmcnt(0) lgkmcnt(0)
	v_mul_f64 v[86:87], v[86:87], v[128:129]
	s_cbranch_execz .LBB41_30
	s_branch .LBB41_31
.LBB41_29:
                                        ; implicit-def: $vgpr86_vgpr87
.LBB41_30:
	ds_read_b64 v[86:87], v88
.LBB41_31:
	s_and_saveexec_b64 s[12:13], s[4:5]
	s_cbranch_execz .LBB41_35
; %bb.32:
	v_subrev_u32_e32 v128, 38, v0
	s_movk_i32 s14, 0x280
	s_mov_b64 s[4:5], 0
.LBB41_33:                              ; =>This Inner Loop Header: Depth=1
	buffer_load_dword v130, v127, s[0:3], 0 offen
	buffer_load_dword v131, v127, s[0:3], 0 offen offset:4
	v_mov_b32_e32 v129, s14
	ds_read_b64 v[132:133], v129
	v_add_u32_e32 v128, -1, v128
	s_add_i32 s14, s14, 8
	v_cmp_eq_u32_e32 vcc, 0, v128
	v_add_u32_e32 v127, 8, v127
	s_or_b64 s[4:5], vcc, s[4:5]
	s_waitcnt vmcnt(0) lgkmcnt(0)
	v_fmac_f64_e32 v[86:87], v[130:131], v[132:133]
	s_andn2_b64 exec, exec, s[4:5]
	s_cbranch_execnz .LBB41_33
; %bb.34:
	s_or_b64 exec, exec, s[4:5]
.LBB41_35:
	s_or_b64 exec, exec, s[12:13]
	v_mov_b32_e32 v127, 0
	ds_read_b64 v[128:129], v127 offset:296
	s_waitcnt lgkmcnt(0)
	v_mul_f64 v[86:87], v[86:87], v[128:129]
	buffer_store_dword v87, off, s[0:3], 0 offset:300
	buffer_store_dword v86, off, s[0:3], 0 offset:296
.LBB41_36:
	s_or_b64 exec, exec, s[10:11]
	buffer_load_dword v86, off, s[0:3], 0 offset:288
	buffer_load_dword v87, off, s[0:3], 0 offset:292
	v_cmp_lt_u32_e64 s[4:5], 36, v0
	s_waitcnt vmcnt(0)
	ds_write_b64 v88, v[86:87]
	s_waitcnt lgkmcnt(0)
	; wave barrier
	s_waitcnt lgkmcnt(0)
	s_and_saveexec_b64 s[10:11], s[4:5]
	s_cbranch_execz .LBB41_46
; %bb.37:
	s_andn2_b64 vcc, exec, s[8:9]
	s_cbranch_vccnz .LBB41_39
; %bb.38:
	buffer_load_dword v86, v89, s[0:3], 0 offen
	buffer_load_dword v87, v89, s[0:3], 0 offen offset:4
	ds_read_b64 v[128:129], v88
	s_waitcnt vmcnt(0) lgkmcnt(0)
	v_mul_f64 v[86:87], v[86:87], v[128:129]
	s_cbranch_execz .LBB41_40
	s_branch .LBB41_41
.LBB41_39:
                                        ; implicit-def: $vgpr86_vgpr87
.LBB41_40:
	ds_read_b64 v[86:87], v88
.LBB41_41:
	s_and_saveexec_b64 s[12:13], s[6:7]
	s_cbranch_execz .LBB41_45
; %bb.42:
	v_subrev_u32_e32 v127, 37, v0
	s_movk_i32 s14, 0x278
	s_mov_b64 s[6:7], 0
.LBB41_43:                              ; =>This Inner Loop Header: Depth=1
	buffer_load_dword v128, v126, s[0:3], 0 offen
	buffer_load_dword v129, v126, s[0:3], 0 offen offset:4
	v_mov_b32_e32 v130, s14
	ds_read_b64 v[130:131], v130
	v_add_u32_e32 v127, -1, v127
	s_add_i32 s14, s14, 8
	v_cmp_eq_u32_e32 vcc, 0, v127
	v_add_u32_e32 v126, 8, v126
	s_or_b64 s[6:7], vcc, s[6:7]
	s_waitcnt vmcnt(0) lgkmcnt(0)
	v_fmac_f64_e32 v[86:87], v[128:129], v[130:131]
	s_andn2_b64 exec, exec, s[6:7]
	s_cbranch_execnz .LBB41_43
; %bb.44:
	s_or_b64 exec, exec, s[6:7]
.LBB41_45:
	s_or_b64 exec, exec, s[12:13]
	v_mov_b32_e32 v126, 0
	ds_read_b64 v[126:127], v126 offset:288
	s_waitcnt lgkmcnt(0)
	v_mul_f64 v[86:87], v[86:87], v[126:127]
	buffer_store_dword v87, off, s[0:3], 0 offset:292
	buffer_store_dword v86, off, s[0:3], 0 offset:288
.LBB41_46:
	s_or_b64 exec, exec, s[10:11]
	buffer_load_dword v86, off, s[0:3], 0 offset:280
	buffer_load_dword v87, off, s[0:3], 0 offset:284
	v_cmp_lt_u32_e64 s[6:7], 35, v0
	s_waitcnt vmcnt(0)
	ds_write_b64 v88, v[86:87]
	s_waitcnt lgkmcnt(0)
	; wave barrier
	s_waitcnt lgkmcnt(0)
	s_and_saveexec_b64 s[10:11], s[6:7]
	s_cbranch_execz .LBB41_56
; %bb.47:
	s_andn2_b64 vcc, exec, s[8:9]
	s_cbranch_vccnz .LBB41_49
; %bb.48:
	buffer_load_dword v86, v89, s[0:3], 0 offen
	buffer_load_dword v87, v89, s[0:3], 0 offen offset:4
	ds_read_b64 v[126:127], v88
	s_waitcnt vmcnt(0) lgkmcnt(0)
	v_mul_f64 v[86:87], v[86:87], v[126:127]
	s_cbranch_execz .LBB41_50
	s_branch .LBB41_51
.LBB41_49:
                                        ; implicit-def: $vgpr86_vgpr87
.LBB41_50:
	ds_read_b64 v[86:87], v88
.LBB41_51:
	s_and_saveexec_b64 s[12:13], s[4:5]
	s_cbranch_execz .LBB41_55
; %bb.52:
	v_subrev_u32_e32 v126, 36, v0
	s_movk_i32 s14, 0x270
	s_mov_b64 s[4:5], 0
.LBB41_53:                              ; =>This Inner Loop Header: Depth=1
	buffer_load_dword v128, v125, s[0:3], 0 offen
	buffer_load_dword v129, v125, s[0:3], 0 offen offset:4
	v_mov_b32_e32 v127, s14
	ds_read_b64 v[130:131], v127
	v_add_u32_e32 v126, -1, v126
	s_add_i32 s14, s14, 8
	v_cmp_eq_u32_e32 vcc, 0, v126
	v_add_u32_e32 v125, 8, v125
	s_or_b64 s[4:5], vcc, s[4:5]
	s_waitcnt vmcnt(0) lgkmcnt(0)
	v_fmac_f64_e32 v[86:87], v[128:129], v[130:131]
	s_andn2_b64 exec, exec, s[4:5]
	s_cbranch_execnz .LBB41_53
; %bb.54:
	s_or_b64 exec, exec, s[4:5]
.LBB41_55:
	s_or_b64 exec, exec, s[12:13]
	v_mov_b32_e32 v125, 0
	ds_read_b64 v[126:127], v125 offset:280
	s_waitcnt lgkmcnt(0)
	v_mul_f64 v[86:87], v[86:87], v[126:127]
	buffer_store_dword v87, off, s[0:3], 0 offset:284
	buffer_store_dword v86, off, s[0:3], 0 offset:280
.LBB41_56:
	s_or_b64 exec, exec, s[10:11]
	buffer_load_dword v86, off, s[0:3], 0 offset:272
	buffer_load_dword v87, off, s[0:3], 0 offset:276
	v_cmp_lt_u32_e64 s[4:5], 34, v0
	s_waitcnt vmcnt(0)
	ds_write_b64 v88, v[86:87]
	s_waitcnt lgkmcnt(0)
	; wave barrier
	s_waitcnt lgkmcnt(0)
	s_and_saveexec_b64 s[10:11], s[4:5]
	s_cbranch_execz .LBB41_66
; %bb.57:
	s_andn2_b64 vcc, exec, s[8:9]
	s_cbranch_vccnz .LBB41_59
; %bb.58:
	buffer_load_dword v86, v89, s[0:3], 0 offen
	buffer_load_dword v87, v89, s[0:3], 0 offen offset:4
	ds_read_b64 v[126:127], v88
	s_waitcnt vmcnt(0) lgkmcnt(0)
	v_mul_f64 v[86:87], v[86:87], v[126:127]
	s_cbranch_execz .LBB41_60
	s_branch .LBB41_61
.LBB41_59:
                                        ; implicit-def: $vgpr86_vgpr87
.LBB41_60:
	ds_read_b64 v[86:87], v88
.LBB41_61:
	s_and_saveexec_b64 s[12:13], s[6:7]
	s_cbranch_execz .LBB41_65
; %bb.62:
	v_subrev_u32_e32 v125, 35, v0
	s_movk_i32 s14, 0x268
	s_mov_b64 s[6:7], 0
.LBB41_63:                              ; =>This Inner Loop Header: Depth=1
	buffer_load_dword v126, v124, s[0:3], 0 offen
	buffer_load_dword v127, v124, s[0:3], 0 offen offset:4
	v_mov_b32_e32 v128, s14
	ds_read_b64 v[128:129], v128
	v_add_u32_e32 v125, -1, v125
	s_add_i32 s14, s14, 8
	v_cmp_eq_u32_e32 vcc, 0, v125
	v_add_u32_e32 v124, 8, v124
	s_or_b64 s[6:7], vcc, s[6:7]
	s_waitcnt vmcnt(0) lgkmcnt(0)
	v_fmac_f64_e32 v[86:87], v[126:127], v[128:129]
	s_andn2_b64 exec, exec, s[6:7]
	s_cbranch_execnz .LBB41_63
; %bb.64:
	s_or_b64 exec, exec, s[6:7]
.LBB41_65:
	s_or_b64 exec, exec, s[12:13]
	v_mov_b32_e32 v124, 0
	ds_read_b64 v[124:125], v124 offset:272
	s_waitcnt lgkmcnt(0)
	v_mul_f64 v[86:87], v[86:87], v[124:125]
	buffer_store_dword v87, off, s[0:3], 0 offset:276
	buffer_store_dword v86, off, s[0:3], 0 offset:272
.LBB41_66:
	s_or_b64 exec, exec, s[10:11]
	buffer_load_dword v86, off, s[0:3], 0 offset:264
	buffer_load_dword v87, off, s[0:3], 0 offset:268
	v_cmp_lt_u32_e64 s[6:7], 33, v0
	s_waitcnt vmcnt(0)
	ds_write_b64 v88, v[86:87]
	s_waitcnt lgkmcnt(0)
	; wave barrier
	s_waitcnt lgkmcnt(0)
	s_and_saveexec_b64 s[10:11], s[6:7]
	s_cbranch_execz .LBB41_76
; %bb.67:
	s_andn2_b64 vcc, exec, s[8:9]
	s_cbranch_vccnz .LBB41_69
; %bb.68:
	buffer_load_dword v86, v89, s[0:3], 0 offen
	buffer_load_dword v87, v89, s[0:3], 0 offen offset:4
	ds_read_b64 v[124:125], v88
	s_waitcnt vmcnt(0) lgkmcnt(0)
	v_mul_f64 v[86:87], v[86:87], v[124:125]
	s_cbranch_execz .LBB41_70
	s_branch .LBB41_71
.LBB41_69:
                                        ; implicit-def: $vgpr86_vgpr87
.LBB41_70:
	ds_read_b64 v[86:87], v88
.LBB41_71:
	s_and_saveexec_b64 s[12:13], s[4:5]
	s_cbranch_execz .LBB41_75
; %bb.72:
	v_subrev_u32_e32 v124, 34, v0
	s_movk_i32 s14, 0x260
	s_mov_b64 s[4:5], 0
.LBB41_73:                              ; =>This Inner Loop Header: Depth=1
	buffer_load_dword v126, v123, s[0:3], 0 offen
	buffer_load_dword v127, v123, s[0:3], 0 offen offset:4
	v_mov_b32_e32 v125, s14
	ds_read_b64 v[128:129], v125
	v_add_u32_e32 v124, -1, v124
	s_add_i32 s14, s14, 8
	v_cmp_eq_u32_e32 vcc, 0, v124
	v_add_u32_e32 v123, 8, v123
	s_or_b64 s[4:5], vcc, s[4:5]
	s_waitcnt vmcnt(0) lgkmcnt(0)
	v_fmac_f64_e32 v[86:87], v[126:127], v[128:129]
	s_andn2_b64 exec, exec, s[4:5]
	s_cbranch_execnz .LBB41_73
; %bb.74:
	s_or_b64 exec, exec, s[4:5]
.LBB41_75:
	s_or_b64 exec, exec, s[12:13]
	v_mov_b32_e32 v123, 0
	ds_read_b64 v[124:125], v123 offset:264
	s_waitcnt lgkmcnt(0)
	v_mul_f64 v[86:87], v[86:87], v[124:125]
	buffer_store_dword v87, off, s[0:3], 0 offset:268
	buffer_store_dword v86, off, s[0:3], 0 offset:264
.LBB41_76:
	s_or_b64 exec, exec, s[10:11]
	buffer_load_dword v86, off, s[0:3], 0 offset:256
	buffer_load_dword v87, off, s[0:3], 0 offset:260
	v_cmp_lt_u32_e64 s[4:5], 32, v0
	s_waitcnt vmcnt(0)
	ds_write_b64 v88, v[86:87]
	s_waitcnt lgkmcnt(0)
	; wave barrier
	s_waitcnt lgkmcnt(0)
	s_and_saveexec_b64 s[10:11], s[4:5]
	s_cbranch_execz .LBB41_86
; %bb.77:
	s_andn2_b64 vcc, exec, s[8:9]
	s_cbranch_vccnz .LBB41_79
; %bb.78:
	buffer_load_dword v86, v89, s[0:3], 0 offen
	buffer_load_dword v87, v89, s[0:3], 0 offen offset:4
	ds_read_b64 v[124:125], v88
	s_waitcnt vmcnt(0) lgkmcnt(0)
	v_mul_f64 v[86:87], v[86:87], v[124:125]
	s_cbranch_execz .LBB41_80
	s_branch .LBB41_81
.LBB41_79:
                                        ; implicit-def: $vgpr86_vgpr87
.LBB41_80:
	ds_read_b64 v[86:87], v88
.LBB41_81:
	s_and_saveexec_b64 s[12:13], s[6:7]
	s_cbranch_execz .LBB41_85
; %bb.82:
	v_subrev_u32_e32 v123, 33, v0
	s_movk_i32 s14, 0x258
	s_mov_b64 s[6:7], 0
.LBB41_83:                              ; =>This Inner Loop Header: Depth=1
	buffer_load_dword v124, v122, s[0:3], 0 offen
	buffer_load_dword v125, v122, s[0:3], 0 offen offset:4
	v_mov_b32_e32 v126, s14
	ds_read_b64 v[126:127], v126
	v_add_u32_e32 v123, -1, v123
	s_add_i32 s14, s14, 8
	v_cmp_eq_u32_e32 vcc, 0, v123
	v_add_u32_e32 v122, 8, v122
	s_or_b64 s[6:7], vcc, s[6:7]
	s_waitcnt vmcnt(0) lgkmcnt(0)
	v_fmac_f64_e32 v[86:87], v[124:125], v[126:127]
	s_andn2_b64 exec, exec, s[6:7]
	s_cbranch_execnz .LBB41_83
; %bb.84:
	s_or_b64 exec, exec, s[6:7]
.LBB41_85:
	s_or_b64 exec, exec, s[12:13]
	v_mov_b32_e32 v122, 0
	ds_read_b64 v[122:123], v122 offset:256
	s_waitcnt lgkmcnt(0)
	v_mul_f64 v[86:87], v[86:87], v[122:123]
	buffer_store_dword v87, off, s[0:3], 0 offset:260
	buffer_store_dword v86, off, s[0:3], 0 offset:256
.LBB41_86:
	s_or_b64 exec, exec, s[10:11]
	buffer_load_dword v86, off, s[0:3], 0 offset:248
	buffer_load_dword v87, off, s[0:3], 0 offset:252
	v_cmp_lt_u32_e64 s[6:7], 31, v0
	s_waitcnt vmcnt(0)
	ds_write_b64 v88, v[86:87]
	s_waitcnt lgkmcnt(0)
	; wave barrier
	s_waitcnt lgkmcnt(0)
	s_and_saveexec_b64 s[10:11], s[6:7]
	s_cbranch_execz .LBB41_96
; %bb.87:
	s_andn2_b64 vcc, exec, s[8:9]
	s_cbranch_vccnz .LBB41_89
; %bb.88:
	buffer_load_dword v86, v89, s[0:3], 0 offen
	buffer_load_dword v87, v89, s[0:3], 0 offen offset:4
	ds_read_b64 v[122:123], v88
	s_waitcnt vmcnt(0) lgkmcnt(0)
	v_mul_f64 v[86:87], v[86:87], v[122:123]
	s_cbranch_execz .LBB41_90
	s_branch .LBB41_91
.LBB41_89:
                                        ; implicit-def: $vgpr86_vgpr87
.LBB41_90:
	ds_read_b64 v[86:87], v88
.LBB41_91:
	s_and_saveexec_b64 s[12:13], s[4:5]
	s_cbranch_execz .LBB41_95
; %bb.92:
	v_subrev_u32_e32 v122, 32, v0
	s_movk_i32 s14, 0x250
	s_mov_b64 s[4:5], 0
.LBB41_93:                              ; =>This Inner Loop Header: Depth=1
	buffer_load_dword v124, v121, s[0:3], 0 offen
	buffer_load_dword v125, v121, s[0:3], 0 offen offset:4
	v_mov_b32_e32 v123, s14
	ds_read_b64 v[126:127], v123
	v_add_u32_e32 v122, -1, v122
	s_add_i32 s14, s14, 8
	v_cmp_eq_u32_e32 vcc, 0, v122
	v_add_u32_e32 v121, 8, v121
	s_or_b64 s[4:5], vcc, s[4:5]
	s_waitcnt vmcnt(0) lgkmcnt(0)
	v_fmac_f64_e32 v[86:87], v[124:125], v[126:127]
	s_andn2_b64 exec, exec, s[4:5]
	s_cbranch_execnz .LBB41_93
; %bb.94:
	s_or_b64 exec, exec, s[4:5]
.LBB41_95:
	s_or_b64 exec, exec, s[12:13]
	v_mov_b32_e32 v121, 0
	ds_read_b64 v[122:123], v121 offset:248
	s_waitcnt lgkmcnt(0)
	v_mul_f64 v[86:87], v[86:87], v[122:123]
	buffer_store_dword v87, off, s[0:3], 0 offset:252
	buffer_store_dword v86, off, s[0:3], 0 offset:248
.LBB41_96:
	s_or_b64 exec, exec, s[10:11]
	buffer_load_dword v86, off, s[0:3], 0 offset:240
	buffer_load_dword v87, off, s[0:3], 0 offset:244
	v_cmp_lt_u32_e64 s[4:5], 30, v0
	s_waitcnt vmcnt(0)
	ds_write_b64 v88, v[86:87]
	s_waitcnt lgkmcnt(0)
	; wave barrier
	s_waitcnt lgkmcnt(0)
	s_and_saveexec_b64 s[10:11], s[4:5]
	s_cbranch_execz .LBB41_106
; %bb.97:
	s_andn2_b64 vcc, exec, s[8:9]
	s_cbranch_vccnz .LBB41_99
; %bb.98:
	buffer_load_dword v86, v89, s[0:3], 0 offen
	buffer_load_dword v87, v89, s[0:3], 0 offen offset:4
	ds_read_b64 v[122:123], v88
	s_waitcnt vmcnt(0) lgkmcnt(0)
	v_mul_f64 v[86:87], v[86:87], v[122:123]
	s_cbranch_execz .LBB41_100
	s_branch .LBB41_101
.LBB41_99:
                                        ; implicit-def: $vgpr86_vgpr87
.LBB41_100:
	ds_read_b64 v[86:87], v88
.LBB41_101:
	s_and_saveexec_b64 s[12:13], s[6:7]
	s_cbranch_execz .LBB41_105
; %bb.102:
	v_subrev_u32_e32 v121, 31, v0
	s_movk_i32 s14, 0x248
	s_mov_b64 s[6:7], 0
.LBB41_103:                             ; =>This Inner Loop Header: Depth=1
	buffer_load_dword v122, v120, s[0:3], 0 offen
	buffer_load_dword v123, v120, s[0:3], 0 offen offset:4
	v_mov_b32_e32 v124, s14
	ds_read_b64 v[124:125], v124
	v_add_u32_e32 v121, -1, v121
	s_add_i32 s14, s14, 8
	v_cmp_eq_u32_e32 vcc, 0, v121
	v_add_u32_e32 v120, 8, v120
	s_or_b64 s[6:7], vcc, s[6:7]
	s_waitcnt vmcnt(0) lgkmcnt(0)
	v_fmac_f64_e32 v[86:87], v[122:123], v[124:125]
	s_andn2_b64 exec, exec, s[6:7]
	s_cbranch_execnz .LBB41_103
; %bb.104:
	s_or_b64 exec, exec, s[6:7]
.LBB41_105:
	s_or_b64 exec, exec, s[12:13]
	v_mov_b32_e32 v120, 0
	ds_read_b64 v[120:121], v120 offset:240
	s_waitcnt lgkmcnt(0)
	v_mul_f64 v[86:87], v[86:87], v[120:121]
	buffer_store_dword v87, off, s[0:3], 0 offset:244
	buffer_store_dword v86, off, s[0:3], 0 offset:240
.LBB41_106:
	s_or_b64 exec, exec, s[10:11]
	buffer_load_dword v86, off, s[0:3], 0 offset:232
	buffer_load_dword v87, off, s[0:3], 0 offset:236
	v_cmp_lt_u32_e64 s[6:7], 29, v0
	s_waitcnt vmcnt(0)
	ds_write_b64 v88, v[86:87]
	s_waitcnt lgkmcnt(0)
	; wave barrier
	s_waitcnt lgkmcnt(0)
	s_and_saveexec_b64 s[10:11], s[6:7]
	s_cbranch_execz .LBB41_116
; %bb.107:
	s_andn2_b64 vcc, exec, s[8:9]
	s_cbranch_vccnz .LBB41_109
; %bb.108:
	buffer_load_dword v86, v89, s[0:3], 0 offen
	buffer_load_dword v87, v89, s[0:3], 0 offen offset:4
	ds_read_b64 v[120:121], v88
	s_waitcnt vmcnt(0) lgkmcnt(0)
	v_mul_f64 v[86:87], v[86:87], v[120:121]
	s_cbranch_execz .LBB41_110
	s_branch .LBB41_111
.LBB41_109:
                                        ; implicit-def: $vgpr86_vgpr87
.LBB41_110:
	ds_read_b64 v[86:87], v88
.LBB41_111:
	s_and_saveexec_b64 s[12:13], s[4:5]
	s_cbranch_execz .LBB41_115
; %bb.112:
	v_subrev_u32_e32 v120, 30, v0
	s_movk_i32 s14, 0x240
	s_mov_b64 s[4:5], 0
.LBB41_113:                             ; =>This Inner Loop Header: Depth=1
	buffer_load_dword v122, v119, s[0:3], 0 offen
	buffer_load_dword v123, v119, s[0:3], 0 offen offset:4
	v_mov_b32_e32 v121, s14
	ds_read_b64 v[124:125], v121
	v_add_u32_e32 v120, -1, v120
	s_add_i32 s14, s14, 8
	v_cmp_eq_u32_e32 vcc, 0, v120
	v_add_u32_e32 v119, 8, v119
	s_or_b64 s[4:5], vcc, s[4:5]
	s_waitcnt vmcnt(0) lgkmcnt(0)
	v_fmac_f64_e32 v[86:87], v[122:123], v[124:125]
	s_andn2_b64 exec, exec, s[4:5]
	s_cbranch_execnz .LBB41_113
; %bb.114:
	s_or_b64 exec, exec, s[4:5]
.LBB41_115:
	s_or_b64 exec, exec, s[12:13]
	v_mov_b32_e32 v119, 0
	ds_read_b64 v[120:121], v119 offset:232
	s_waitcnt lgkmcnt(0)
	v_mul_f64 v[86:87], v[86:87], v[120:121]
	buffer_store_dword v87, off, s[0:3], 0 offset:236
	buffer_store_dword v86, off, s[0:3], 0 offset:232
.LBB41_116:
	;; [unrolled: 58-line block ×15, first 2 shown]
	s_or_b64 exec, exec, s[10:11]
	buffer_load_dword v86, off, s[0:3], 0 offset:120
	buffer_load_dword v87, off, s[0:3], 0 offset:124
	v_cmp_lt_u32_e64 s[6:7], 15, v0
	s_waitcnt vmcnt(0)
	ds_write_b64 v88, v[86:87]
	s_waitcnt lgkmcnt(0)
	; wave barrier
	s_waitcnt lgkmcnt(0)
	s_and_saveexec_b64 s[10:11], s[6:7]
	s_cbranch_execz .LBB41_256
; %bb.247:
	s_andn2_b64 vcc, exec, s[8:9]
	s_cbranch_vccnz .LBB41_249
; %bb.248:
	buffer_load_dword v86, v89, s[0:3], 0 offen
	buffer_load_dword v87, v89, s[0:3], 0 offen offset:4
	ds_read_b64 v[106:107], v88
	s_waitcnt vmcnt(0) lgkmcnt(0)
	v_mul_f64 v[86:87], v[86:87], v[106:107]
	s_cbranch_execz .LBB41_250
	s_branch .LBB41_251
.LBB41_249:
                                        ; implicit-def: $vgpr86_vgpr87
.LBB41_250:
	ds_read_b64 v[86:87], v88
.LBB41_251:
	s_and_saveexec_b64 s[12:13], s[4:5]
	s_cbranch_execz .LBB41_255
; %bb.252:
	v_add_u32_e32 v106, -16, v0
	s_movk_i32 s14, 0x1d0
	s_mov_b64 s[4:5], 0
.LBB41_253:                             ; =>This Inner Loop Header: Depth=1
	buffer_load_dword v108, v105, s[0:3], 0 offen
	buffer_load_dword v109, v105, s[0:3], 0 offen offset:4
	v_mov_b32_e32 v107, s14
	ds_read_b64 v[110:111], v107
	v_add_u32_e32 v106, -1, v106
	s_add_i32 s14, s14, 8
	v_cmp_eq_u32_e32 vcc, 0, v106
	v_add_u32_e32 v105, 8, v105
	s_or_b64 s[4:5], vcc, s[4:5]
	s_waitcnt vmcnt(0) lgkmcnt(0)
	v_fmac_f64_e32 v[86:87], v[108:109], v[110:111]
	s_andn2_b64 exec, exec, s[4:5]
	s_cbranch_execnz .LBB41_253
; %bb.254:
	s_or_b64 exec, exec, s[4:5]
.LBB41_255:
	s_or_b64 exec, exec, s[12:13]
	v_mov_b32_e32 v105, 0
	ds_read_b64 v[106:107], v105 offset:120
	s_waitcnt lgkmcnt(0)
	v_mul_f64 v[86:87], v[86:87], v[106:107]
	buffer_store_dword v87, off, s[0:3], 0 offset:124
	buffer_store_dword v86, off, s[0:3], 0 offset:120
.LBB41_256:
	s_or_b64 exec, exec, s[10:11]
	buffer_load_dword v86, off, s[0:3], 0 offset:112
	buffer_load_dword v87, off, s[0:3], 0 offset:116
	v_cmp_lt_u32_e64 s[4:5], 14, v0
	s_waitcnt vmcnt(0)
	ds_write_b64 v88, v[86:87]
	s_waitcnt lgkmcnt(0)
	; wave barrier
	s_waitcnt lgkmcnt(0)
	s_and_saveexec_b64 s[10:11], s[4:5]
	s_cbranch_execz .LBB41_266
; %bb.257:
	s_andn2_b64 vcc, exec, s[8:9]
	s_cbranch_vccnz .LBB41_259
; %bb.258:
	buffer_load_dword v86, v89, s[0:3], 0 offen
	buffer_load_dword v87, v89, s[0:3], 0 offen offset:4
	ds_read_b64 v[106:107], v88
	s_waitcnt vmcnt(0) lgkmcnt(0)
	v_mul_f64 v[86:87], v[86:87], v[106:107]
	s_cbranch_execz .LBB41_260
	s_branch .LBB41_261
.LBB41_259:
                                        ; implicit-def: $vgpr86_vgpr87
.LBB41_260:
	ds_read_b64 v[86:87], v88
.LBB41_261:
	s_and_saveexec_b64 s[12:13], s[6:7]
	s_cbranch_execz .LBB41_265
; %bb.262:
	v_add_u32_e32 v105, -15, v0
	s_movk_i32 s14, 0x1c8
	s_mov_b64 s[6:7], 0
.LBB41_263:                             ; =>This Inner Loop Header: Depth=1
	buffer_load_dword v106, v104, s[0:3], 0 offen
	buffer_load_dword v107, v104, s[0:3], 0 offen offset:4
	v_mov_b32_e32 v108, s14
	ds_read_b64 v[108:109], v108
	v_add_u32_e32 v105, -1, v105
	s_add_i32 s14, s14, 8
	v_cmp_eq_u32_e32 vcc, 0, v105
	v_add_u32_e32 v104, 8, v104
	s_or_b64 s[6:7], vcc, s[6:7]
	s_waitcnt vmcnt(0) lgkmcnt(0)
	v_fmac_f64_e32 v[86:87], v[106:107], v[108:109]
	s_andn2_b64 exec, exec, s[6:7]
	s_cbranch_execnz .LBB41_263
; %bb.264:
	s_or_b64 exec, exec, s[6:7]
.LBB41_265:
	s_or_b64 exec, exec, s[12:13]
	v_mov_b32_e32 v104, 0
	ds_read_b64 v[104:105], v104 offset:112
	s_waitcnt lgkmcnt(0)
	v_mul_f64 v[86:87], v[86:87], v[104:105]
	buffer_store_dword v87, off, s[0:3], 0 offset:116
	buffer_store_dword v86, off, s[0:3], 0 offset:112
.LBB41_266:
	;; [unrolled: 58-line block ×15, first 2 shown]
	s_or_b64 exec, exec, s[10:11]
	buffer_load_dword v86, off, s[0:3], 0
	buffer_load_dword v87, off, s[0:3], 0 offset:4
	v_cmp_ne_u32_e32 vcc, 0, v0
	s_waitcnt vmcnt(0)
	ds_write_b64 v88, v[86:87]
	s_waitcnt lgkmcnt(0)
	; wave barrier
	s_waitcnt lgkmcnt(0)
	s_and_saveexec_b64 s[4:5], vcc
	s_cbranch_execz .LBB41_406
; %bb.397:
	s_andn2_b64 vcc, exec, s[8:9]
	s_cbranch_vccnz .LBB41_399
; %bb.398:
	buffer_load_dword v86, v89, s[0:3], 0 offen
	buffer_load_dword v87, v89, s[0:3], 0 offen offset:4
	ds_read_b64 v[92:93], v88
	s_waitcnt vmcnt(0) lgkmcnt(0)
	v_mul_f64 v[86:87], v[86:87], v[92:93]
	s_cbranch_execz .LBB41_400
	s_branch .LBB41_401
.LBB41_399:
                                        ; implicit-def: $vgpr86_vgpr87
.LBB41_400:
	ds_read_b64 v[86:87], v88
.LBB41_401:
	s_and_saveexec_b64 s[10:11], s[6:7]
	s_cbranch_execz .LBB41_405
; %bb.402:
	v_add_u32_e32 v91, -1, v0
	s_movk_i32 s12, 0x158
	s_mov_b64 s[6:7], 0
.LBB41_403:                             ; =>This Inner Loop Header: Depth=1
	buffer_load_dword v92, v90, s[0:3], 0 offen
	buffer_load_dword v93, v90, s[0:3], 0 offen offset:4
	v_mov_b32_e32 v94, s12
	ds_read_b64 v[94:95], v94
	v_add_u32_e32 v91, -1, v91
	s_add_i32 s12, s12, 8
	v_cmp_eq_u32_e32 vcc, 0, v91
	v_add_u32_e32 v90, 8, v90
	s_or_b64 s[6:7], vcc, s[6:7]
	s_waitcnt vmcnt(0) lgkmcnt(0)
	v_fmac_f64_e32 v[86:87], v[92:93], v[94:95]
	s_andn2_b64 exec, exec, s[6:7]
	s_cbranch_execnz .LBB41_403
; %bb.404:
	s_or_b64 exec, exec, s[6:7]
.LBB41_405:
	s_or_b64 exec, exec, s[10:11]
	v_mov_b32_e32 v90, 0
	ds_read_b64 v[90:91], v90
	s_waitcnt lgkmcnt(0)
	v_mul_f64 v[86:87], v[86:87], v[90:91]
	buffer_store_dword v87, off, s[0:3], 0 offset:4
	buffer_store_dword v86, off, s[0:3], 0
.LBB41_406:
	s_or_b64 exec, exec, s[4:5]
	s_mov_b64 s[4:5], 0
.LBB41_407:
	s_and_b64 vcc, exec, s[4:5]
	s_cbranch_vccz .LBB41_811
; %bb.408:
	buffer_load_dword v86, off, s[0:3], 0 offset:8
	buffer_load_dword v87, off, s[0:3], 0 offset:12
	v_cmp_eq_u32_e64 s[6:7], 0, v0
	s_waitcnt vmcnt(0)
	ds_write_b64 v88, v[86:87]
	s_waitcnt lgkmcnt(0)
	; wave barrier
	s_waitcnt lgkmcnt(0)
	s_and_saveexec_b64 s[4:5], s[6:7]
	s_cbranch_execz .LBB41_414
; %bb.409:
	s_and_b64 vcc, exec, s[8:9]
	s_cbranch_vccz .LBB41_411
; %bb.410:
	buffer_load_dword v86, v89, s[0:3], 0 offen
	buffer_load_dword v87, v89, s[0:3], 0 offen offset:4
	ds_read_b64 v[90:91], v88
	s_waitcnt vmcnt(0) lgkmcnt(0)
	v_mul_f64 v[86:87], v[86:87], v[90:91]
	s_cbranch_execz .LBB41_412
	s_branch .LBB41_413
.LBB41_411:
                                        ; implicit-def: $vgpr86_vgpr87
.LBB41_412:
	ds_read_b64 v[86:87], v88
.LBB41_413:
	v_mov_b32_e32 v90, 0
	ds_read_b64 v[90:91], v90 offset:8
	s_waitcnt lgkmcnt(0)
	v_mul_f64 v[86:87], v[86:87], v[90:91]
	buffer_store_dword v87, off, s[0:3], 0 offset:12
	buffer_store_dword v86, off, s[0:3], 0 offset:8
.LBB41_414:
	s_or_b64 exec, exec, s[4:5]
	buffer_load_dword v86, off, s[0:3], 0 offset:16
	buffer_load_dword v87, off, s[0:3], 0 offset:20
	v_cndmask_b32_e64 v90, 0, 1, s[8:9]
	v_cmp_gt_u32_e32 vcc, 2, v0
	v_cmp_ne_u32_e64 s[4:5], 1, v90
	s_waitcnt vmcnt(0)
	ds_write_b64 v88, v[86:87]
	s_waitcnt lgkmcnt(0)
	; wave barrier
	s_waitcnt lgkmcnt(0)
	s_and_saveexec_b64 s[8:9], vcc
	s_cbranch_execz .LBB41_422
; %bb.415:
	s_and_b64 vcc, exec, s[4:5]
	s_cbranch_vccnz .LBB41_417
; %bb.416:
	buffer_load_dword v86, v89, s[0:3], 0 offen
	buffer_load_dword v87, v89, s[0:3], 0 offen offset:4
	ds_read_b64 v[90:91], v88
	s_waitcnt vmcnt(0) lgkmcnt(0)
	v_mul_f64 v[86:87], v[86:87], v[90:91]
	s_cbranch_execz .LBB41_418
	s_branch .LBB41_419
.LBB41_417:
                                        ; implicit-def: $vgpr86_vgpr87
.LBB41_418:
	ds_read_b64 v[86:87], v88
.LBB41_419:
	s_and_saveexec_b64 s[10:11], s[6:7]
	s_cbranch_execz .LBB41_421
; %bb.420:
	buffer_load_dword v90, v89, s[0:3], 0 offen offset:8
	buffer_load_dword v91, v89, s[0:3], 0 offen offset:12
	ds_read_b64 v[92:93], v88 offset:8
	s_waitcnt vmcnt(0) lgkmcnt(0)
	v_fmac_f64_e32 v[86:87], v[90:91], v[92:93]
.LBB41_421:
	s_or_b64 exec, exec, s[10:11]
	v_mov_b32_e32 v90, 0
	ds_read_b64 v[90:91], v90 offset:16
	s_waitcnt lgkmcnt(0)
	v_mul_f64 v[86:87], v[86:87], v[90:91]
	buffer_store_dword v87, off, s[0:3], 0 offset:20
	buffer_store_dword v86, off, s[0:3], 0 offset:16
.LBB41_422:
	s_or_b64 exec, exec, s[8:9]
	buffer_load_dword v86, off, s[0:3], 0 offset:24
	buffer_load_dword v87, off, s[0:3], 0 offset:28
	v_cmp_gt_u32_e32 vcc, 3, v0
	s_waitcnt vmcnt(0)
	ds_write_b64 v88, v[86:87]
	s_waitcnt lgkmcnt(0)
	; wave barrier
	s_waitcnt lgkmcnt(0)
	s_and_saveexec_b64 s[8:9], vcc
	s_cbranch_execz .LBB41_430
; %bb.423:
	s_and_b64 vcc, exec, s[4:5]
	s_cbranch_vccnz .LBB41_425
; %bb.424:
	buffer_load_dword v86, v89, s[0:3], 0 offen
	buffer_load_dword v87, v89, s[0:3], 0 offen offset:4
	ds_read_b64 v[90:91], v88
	s_waitcnt vmcnt(0) lgkmcnt(0)
	v_mul_f64 v[86:87], v[86:87], v[90:91]
	s_cbranch_execz .LBB41_426
	s_branch .LBB41_427
.LBB41_425:
                                        ; implicit-def: $vgpr86_vgpr87
.LBB41_426:
	ds_read_b64 v[86:87], v88
.LBB41_427:
	v_cmp_ne_u32_e32 vcc, 2, v0
	s_and_saveexec_b64 s[10:11], vcc
	s_cbranch_execz .LBB41_429
; %bb.428:
	buffer_load_dword v91, v89, s[0:3], 0 offen offset:12
	buffer_load_dword v92, off, s[0:3], 0 offset:16
	buffer_load_dword v90, v89, s[0:3], 0 offen offset:8
	buffer_load_dword v93, off, s[0:3], 0 offset:20
	v_mov_b32_e32 v96, 0
	ds_read_b64 v[94:95], v88 offset:8
	ds_read_b64 v[96:97], v96 offset:352
	s_waitcnt vmcnt(1) lgkmcnt(1)
	v_fmac_f64_e32 v[86:87], v[90:91], v[94:95]
	s_waitcnt vmcnt(0) lgkmcnt(0)
	v_fma_f64 v[90:91], v[92:93], v[96:97], v[86:87]
	v_cndmask_b32_e64 v87, v87, v91, s[6:7]
	v_cndmask_b32_e64 v86, v86, v90, s[6:7]
.LBB41_429:
	s_or_b64 exec, exec, s[10:11]
	v_mov_b32_e32 v90, 0
	ds_read_b64 v[90:91], v90 offset:24
	s_waitcnt lgkmcnt(0)
	v_mul_f64 v[86:87], v[86:87], v[90:91]
	buffer_store_dword v87, off, s[0:3], 0 offset:28
	buffer_store_dword v86, off, s[0:3], 0 offset:24
.LBB41_430:
	s_or_b64 exec, exec, s[8:9]
	buffer_load_dword v86, off, s[0:3], 0 offset:32
	buffer_load_dword v87, off, s[0:3], 0 offset:36
	v_cmp_gt_u32_e32 vcc, 4, v0
	s_waitcnt vmcnt(0)
	ds_write_b64 v88, v[86:87]
	s_waitcnt lgkmcnt(0)
	; wave barrier
	s_waitcnt lgkmcnt(0)
	s_and_saveexec_b64 s[6:7], vcc
	s_cbranch_execz .LBB41_440
; %bb.431:
	s_and_b64 vcc, exec, s[4:5]
	s_cbranch_vccnz .LBB41_433
; %bb.432:
	buffer_load_dword v86, v89, s[0:3], 0 offen
	buffer_load_dword v87, v89, s[0:3], 0 offen offset:4
	ds_read_b64 v[90:91], v88
	s_waitcnt vmcnt(0) lgkmcnt(0)
	v_mul_f64 v[86:87], v[86:87], v[90:91]
	s_cbranch_execz .LBB41_434
	s_branch .LBB41_435
.LBB41_433:
                                        ; implicit-def: $vgpr86_vgpr87
.LBB41_434:
	ds_read_b64 v[86:87], v88
.LBB41_435:
	v_cmp_ne_u32_e32 vcc, 3, v0
	s_and_saveexec_b64 s[8:9], vcc
	s_cbranch_execz .LBB41_439
; %bb.436:
	v_mov_b32_e32 v91, 0
	v_add_u32_e32 v90, 0x158, v1
	v_add3_u32 v91, v1, v91, 8
	s_mov_b64 s[10:11], 0
	v_mov_b32_e32 v92, v0
.LBB41_437:                             ; =>This Inner Loop Header: Depth=1
	buffer_load_dword v94, v91, s[0:3], 0 offen
	buffer_load_dword v95, v91, s[0:3], 0 offen offset:4
	ds_read_b64 v[96:97], v90
	v_add_u32_e32 v92, 1, v92
	v_cmp_lt_u32_e32 vcc, 2, v92
	v_add_u32_e32 v90, 8, v90
	v_add_u32_e32 v91, 8, v91
	s_or_b64 s[10:11], vcc, s[10:11]
	s_waitcnt vmcnt(0) lgkmcnt(0)
	v_fmac_f64_e32 v[86:87], v[94:95], v[96:97]
	s_andn2_b64 exec, exec, s[10:11]
	s_cbranch_execnz .LBB41_437
; %bb.438:
	s_or_b64 exec, exec, s[10:11]
.LBB41_439:
	s_or_b64 exec, exec, s[8:9]
	v_mov_b32_e32 v90, 0
	ds_read_b64 v[90:91], v90 offset:32
	s_waitcnt lgkmcnt(0)
	v_mul_f64 v[86:87], v[86:87], v[90:91]
	buffer_store_dword v87, off, s[0:3], 0 offset:36
	buffer_store_dword v86, off, s[0:3], 0 offset:32
.LBB41_440:
	s_or_b64 exec, exec, s[6:7]
	buffer_load_dword v86, off, s[0:3], 0 offset:40
	buffer_load_dword v87, off, s[0:3], 0 offset:44
	v_cmp_gt_u32_e32 vcc, 5, v0
	s_waitcnt vmcnt(0)
	ds_write_b64 v88, v[86:87]
	s_waitcnt lgkmcnt(0)
	; wave barrier
	s_waitcnt lgkmcnt(0)
	s_and_saveexec_b64 s[6:7], vcc
	s_cbranch_execz .LBB41_450
; %bb.441:
	s_and_b64 vcc, exec, s[4:5]
	s_cbranch_vccnz .LBB41_443
; %bb.442:
	buffer_load_dword v86, v89, s[0:3], 0 offen
	buffer_load_dword v87, v89, s[0:3], 0 offen offset:4
	ds_read_b64 v[90:91], v88
	s_waitcnt vmcnt(0) lgkmcnt(0)
	v_mul_f64 v[86:87], v[86:87], v[90:91]
	s_cbranch_execz .LBB41_444
	s_branch .LBB41_445
.LBB41_443:
                                        ; implicit-def: $vgpr86_vgpr87
.LBB41_444:
	ds_read_b64 v[86:87], v88
.LBB41_445:
	v_cmp_ne_u32_e32 vcc, 4, v0
	s_and_saveexec_b64 s[8:9], vcc
	s_cbranch_execz .LBB41_449
; %bb.446:
	v_mov_b32_e32 v91, 0
	v_add_u32_e32 v90, 0x158, v1
	v_add3_u32 v91, v1, v91, 8
	s_mov_b64 s[10:11], 0
	v_mov_b32_e32 v92, v0
.LBB41_447:                             ; =>This Inner Loop Header: Depth=1
	buffer_load_dword v94, v91, s[0:3], 0 offen
	buffer_load_dword v95, v91, s[0:3], 0 offen offset:4
	ds_read_b64 v[96:97], v90
	v_add_u32_e32 v92, 1, v92
	v_cmp_lt_u32_e32 vcc, 3, v92
	v_add_u32_e32 v90, 8, v90
	v_add_u32_e32 v91, 8, v91
	s_or_b64 s[10:11], vcc, s[10:11]
	s_waitcnt vmcnt(0) lgkmcnt(0)
	v_fmac_f64_e32 v[86:87], v[94:95], v[96:97]
	s_andn2_b64 exec, exec, s[10:11]
	s_cbranch_execnz .LBB41_447
; %bb.448:
	s_or_b64 exec, exec, s[10:11]
.LBB41_449:
	s_or_b64 exec, exec, s[8:9]
	v_mov_b32_e32 v90, 0
	ds_read_b64 v[90:91], v90 offset:40
	s_waitcnt lgkmcnt(0)
	v_mul_f64 v[86:87], v[86:87], v[90:91]
	buffer_store_dword v87, off, s[0:3], 0 offset:44
	buffer_store_dword v86, off, s[0:3], 0 offset:40
.LBB41_450:
	;; [unrolled: 60-line block ×36, first 2 shown]
	s_or_b64 exec, exec, s[6:7]
	buffer_load_dword v86, off, s[0:3], 0 offset:320
	buffer_load_dword v87, off, s[0:3], 0 offset:324
	v_cmp_gt_u32_e64 s[6:7], 40, v0
	s_waitcnt vmcnt(0)
	ds_write_b64 v88, v[86:87]
	s_waitcnt lgkmcnt(0)
	; wave barrier
	s_waitcnt lgkmcnt(0)
	s_and_saveexec_b64 s[8:9], s[6:7]
	s_cbranch_execz .LBB41_800
; %bb.791:
	s_and_b64 vcc, exec, s[4:5]
	s_cbranch_vccnz .LBB41_793
; %bb.792:
	buffer_load_dword v86, v89, s[0:3], 0 offen
	buffer_load_dword v87, v89, s[0:3], 0 offen offset:4
	ds_read_b64 v[90:91], v88
	s_waitcnt vmcnt(0) lgkmcnt(0)
	v_mul_f64 v[86:87], v[86:87], v[90:91]
	s_cbranch_execz .LBB41_794
	s_branch .LBB41_795
.LBB41_793:
                                        ; implicit-def: $vgpr86_vgpr87
.LBB41_794:
	ds_read_b64 v[86:87], v88
.LBB41_795:
	v_cmp_ne_u32_e32 vcc, 39, v0
	s_and_saveexec_b64 s[10:11], vcc
	s_cbranch_execz .LBB41_799
; %bb.796:
	v_mov_b32_e32 v91, 0
	v_add_u32_e32 v90, 0x158, v1
	v_add3_u32 v91, v1, v91, 8
	s_mov_b64 s[12:13], 0
	v_mov_b32_e32 v92, v0
.LBB41_797:                             ; =>This Inner Loop Header: Depth=1
	buffer_load_dword v94, v91, s[0:3], 0 offen
	buffer_load_dword v95, v91, s[0:3], 0 offen offset:4
	ds_read_b64 v[96:97], v90
	v_add_u32_e32 v92, 1, v92
	v_cmp_lt_u32_e32 vcc, 38, v92
	v_add_u32_e32 v90, 8, v90
	v_add_u32_e32 v91, 8, v91
	s_or_b64 s[12:13], vcc, s[12:13]
	s_waitcnt vmcnt(0) lgkmcnt(0)
	v_fmac_f64_e32 v[86:87], v[94:95], v[96:97]
	s_andn2_b64 exec, exec, s[12:13]
	s_cbranch_execnz .LBB41_797
; %bb.798:
	s_or_b64 exec, exec, s[12:13]
.LBB41_799:
	s_or_b64 exec, exec, s[10:11]
	v_mov_b32_e32 v90, 0
	ds_read_b64 v[90:91], v90 offset:320
	s_waitcnt lgkmcnt(0)
	v_mul_f64 v[86:87], v[86:87], v[90:91]
	buffer_store_dword v87, off, s[0:3], 0 offset:324
	buffer_store_dword v86, off, s[0:3], 0 offset:320
.LBB41_800:
	s_or_b64 exec, exec, s[8:9]
	buffer_load_dword v86, off, s[0:3], 0 offset:328
	buffer_load_dword v87, off, s[0:3], 0 offset:332
	v_cmp_ne_u32_e32 vcc, 41, v0
	s_waitcnt vmcnt(0)
	ds_write_b64 v88, v[86:87]
	s_waitcnt lgkmcnt(0)
	; wave barrier
	s_waitcnt lgkmcnt(0)
	s_and_saveexec_b64 s[8:9], vcc
	s_cbranch_execz .LBB41_810
; %bb.801:
	s_and_b64 vcc, exec, s[4:5]
	s_cbranch_vccnz .LBB41_803
; %bb.802:
	buffer_load_dword v86, v89, s[0:3], 0 offen
	buffer_load_dword v87, v89, s[0:3], 0 offen offset:4
	ds_read_b64 v[90:91], v88
	s_waitcnt vmcnt(0) lgkmcnt(0)
	v_mul_f64 v[86:87], v[86:87], v[90:91]
	s_cbranch_execz .LBB41_804
	s_branch .LBB41_805
.LBB41_803:
                                        ; implicit-def: $vgpr86_vgpr87
.LBB41_804:
	ds_read_b64 v[86:87], v88
.LBB41_805:
	s_and_saveexec_b64 s[4:5], s[6:7]
	s_cbranch_execz .LBB41_809
; %bb.806:
	v_mov_b32_e32 v89, 0
	v_add_u32_e32 v88, 0x158, v1
	v_add3_u32 v1, v1, v89, 8
	s_mov_b64 s[6:7], 0
.LBB41_807:                             ; =>This Inner Loop Header: Depth=1
	buffer_load_dword v90, v1, s[0:3], 0 offen
	buffer_load_dword v91, v1, s[0:3], 0 offen offset:4
	ds_read_b64 v[92:93], v88
	v_add_u32_e32 v0, 1, v0
	v_cmp_lt_u32_e32 vcc, 39, v0
	v_add_u32_e32 v88, 8, v88
	v_add_u32_e32 v1, 8, v1
	s_or_b64 s[6:7], vcc, s[6:7]
	s_waitcnt vmcnt(0) lgkmcnt(0)
	v_fmac_f64_e32 v[86:87], v[90:91], v[92:93]
	s_andn2_b64 exec, exec, s[6:7]
	s_cbranch_execnz .LBB41_807
; %bb.808:
	s_or_b64 exec, exec, s[6:7]
.LBB41_809:
	s_or_b64 exec, exec, s[4:5]
	v_mov_b32_e32 v0, 0
	ds_read_b64 v[0:1], v0 offset:328
	s_waitcnt lgkmcnt(0)
	v_mul_f64 v[0:1], v[86:87], v[0:1]
	buffer_store_dword v1, off, s[0:3], 0 offset:332
	buffer_store_dword v0, off, s[0:3], 0 offset:328
.LBB41_810:
	s_or_b64 exec, exec, s[8:9]
.LBB41_811:
	buffer_load_dword v0, off, s[0:3], 0
	buffer_load_dword v1, off, s[0:3], 0 offset:4
	buffer_load_dword v86, off, s[0:3], 0 offset:8
	;; [unrolled: 1-line block ×83, first 2 shown]
	s_waitcnt vmcnt(62)
	global_store_dwordx2 v[76:77], v[0:1], off
	global_store_dwordx2 v[78:79], v[86:87], off
	;; [unrolled: 1-line block ×8, first 2 shown]
	s_waitcnt vmcnt(62)
	global_store_dwordx2 v[14:15], v[106:107], off
	global_store_dwordx2 v[16:17], v[100:101], off
	;; [unrolled: 1-line block ×7, first 2 shown]
	s_waitcnt vmcnt(62)
	global_store_dwordx2 v[28:29], v[114:115], off
	global_store_dwordx2 v[30:31], v[116:117], off
	;; [unrolled: 1-line block ×3, first 2 shown]
	s_waitcnt vmcnt(62)
	global_store_dwordx2 v[34:35], v[120:121], off
	global_store_dwordx2 v[36:37], v[122:123], off
	s_waitcnt vmcnt(62)
	global_store_dwordx2 v[38:39], v[124:125], off
	s_waitcnt vmcnt(61)
	;; [unrolled: 2-line block ×22, first 2 shown]
	global_store_dwordx2 v[84:85], v[166:167], off
.LBB41_812:
	s_endpgm
	.section	.rodata,"a",@progbits
	.p2align	6, 0x0
	.amdhsa_kernel _ZN9rocsolver6v33100L18trti2_kernel_smallILi42EdPdEEv13rocblas_fill_17rocblas_diagonal_T1_iil
		.amdhsa_group_segment_fixed_size 672
		.amdhsa_private_segment_fixed_size 352
		.amdhsa_kernarg_size 32
		.amdhsa_user_sgpr_count 8
		.amdhsa_user_sgpr_private_segment_buffer 1
		.amdhsa_user_sgpr_dispatch_ptr 0
		.amdhsa_user_sgpr_queue_ptr 0
		.amdhsa_user_sgpr_kernarg_segment_ptr 1
		.amdhsa_user_sgpr_dispatch_id 0
		.amdhsa_user_sgpr_flat_scratch_init 1
		.amdhsa_user_sgpr_kernarg_preload_length 0
		.amdhsa_user_sgpr_kernarg_preload_offset 0
		.amdhsa_user_sgpr_private_segment_size 0
		.amdhsa_uses_dynamic_stack 0
		.amdhsa_system_sgpr_private_segment_wavefront_offset 1
		.amdhsa_system_sgpr_workgroup_id_x 1
		.amdhsa_system_sgpr_workgroup_id_y 0
		.amdhsa_system_sgpr_workgroup_id_z 0
		.amdhsa_system_sgpr_workgroup_info 0
		.amdhsa_system_vgpr_workitem_id 0
		.amdhsa_next_free_vgpr 168
		.amdhsa_next_free_sgpr 20
		.amdhsa_accum_offset 168
		.amdhsa_reserve_vcc 1
		.amdhsa_reserve_flat_scratch 0
		.amdhsa_float_round_mode_32 0
		.amdhsa_float_round_mode_16_64 0
		.amdhsa_float_denorm_mode_32 3
		.amdhsa_float_denorm_mode_16_64 3
		.amdhsa_dx10_clamp 1
		.amdhsa_ieee_mode 1
		.amdhsa_fp16_overflow 0
		.amdhsa_tg_split 0
		.amdhsa_exception_fp_ieee_invalid_op 0
		.amdhsa_exception_fp_denorm_src 0
		.amdhsa_exception_fp_ieee_div_zero 0
		.amdhsa_exception_fp_ieee_overflow 0
		.amdhsa_exception_fp_ieee_underflow 0
		.amdhsa_exception_fp_ieee_inexact 0
		.amdhsa_exception_int_div_zero 0
	.end_amdhsa_kernel
	.section	.text._ZN9rocsolver6v33100L18trti2_kernel_smallILi42EdPdEEv13rocblas_fill_17rocblas_diagonal_T1_iil,"axG",@progbits,_ZN9rocsolver6v33100L18trti2_kernel_smallILi42EdPdEEv13rocblas_fill_17rocblas_diagonal_T1_iil,comdat
.Lfunc_end41:
	.size	_ZN9rocsolver6v33100L18trti2_kernel_smallILi42EdPdEEv13rocblas_fill_17rocblas_diagonal_T1_iil, .Lfunc_end41-_ZN9rocsolver6v33100L18trti2_kernel_smallILi42EdPdEEv13rocblas_fill_17rocblas_diagonal_T1_iil
                                        ; -- End function
	.section	.AMDGPU.csdata,"",@progbits
; Kernel info:
; codeLenInByte = 24352
; NumSgprs: 24
; NumVgprs: 168
; NumAgprs: 0
; TotalNumVgprs: 168
; ScratchSize: 352
; MemoryBound: 0
; FloatMode: 240
; IeeeMode: 1
; LDSByteSize: 672 bytes/workgroup (compile time only)
; SGPRBlocks: 2
; VGPRBlocks: 20
; NumSGPRsForWavesPerEU: 24
; NumVGPRsForWavesPerEU: 168
; AccumOffset: 168
; Occupancy: 3
; WaveLimiterHint : 0
; COMPUTE_PGM_RSRC2:SCRATCH_EN: 1
; COMPUTE_PGM_RSRC2:USER_SGPR: 8
; COMPUTE_PGM_RSRC2:TRAP_HANDLER: 0
; COMPUTE_PGM_RSRC2:TGID_X_EN: 1
; COMPUTE_PGM_RSRC2:TGID_Y_EN: 0
; COMPUTE_PGM_RSRC2:TGID_Z_EN: 0
; COMPUTE_PGM_RSRC2:TIDIG_COMP_CNT: 0
; COMPUTE_PGM_RSRC3_GFX90A:ACCUM_OFFSET: 41
; COMPUTE_PGM_RSRC3_GFX90A:TG_SPLIT: 0
	.section	.text._ZN9rocsolver6v33100L18trti2_kernel_smallILi43EdPdEEv13rocblas_fill_17rocblas_diagonal_T1_iil,"axG",@progbits,_ZN9rocsolver6v33100L18trti2_kernel_smallILi43EdPdEEv13rocblas_fill_17rocblas_diagonal_T1_iil,comdat
	.globl	_ZN9rocsolver6v33100L18trti2_kernel_smallILi43EdPdEEv13rocblas_fill_17rocblas_diagonal_T1_iil ; -- Begin function _ZN9rocsolver6v33100L18trti2_kernel_smallILi43EdPdEEv13rocblas_fill_17rocblas_diagonal_T1_iil
	.p2align	8
	.type	_ZN9rocsolver6v33100L18trti2_kernel_smallILi43EdPdEEv13rocblas_fill_17rocblas_diagonal_T1_iil,@function
_ZN9rocsolver6v33100L18trti2_kernel_smallILi43EdPdEEv13rocblas_fill_17rocblas_diagonal_T1_iil: ; @_ZN9rocsolver6v33100L18trti2_kernel_smallILi43EdPdEEv13rocblas_fill_17rocblas_diagonal_T1_iil
; %bb.0:
	s_add_u32 s0, s0, s9
	s_addc_u32 s1, s1, 0
	v_cmp_gt_u32_e32 vcc, 43, v0
	s_and_saveexec_b64 s[6:7], vcc
	s_cbranch_execz .LBB42_832
; %bb.1:
	s_load_dwordx8 s[12:19], s[4:5], 0x0
	s_ashr_i32 s6, s8, 31
	v_lshlrev_b32_e32 v1, 3, v0
	v_mov_b32_e32 v130, 0
	s_waitcnt lgkmcnt(0)
	s_mul_i32 s7, s8, s19
	s_mul_hi_u32 s9, s8, s18
	s_add_i32 s7, s9, s7
	s_mul_i32 s6, s6, s18
	s_add_i32 s7, s7, s6
	s_mul_i32 s6, s8, s18
	s_ashr_i32 s5, s16, 31
	s_lshl_b64 s[6:7], s[6:7], 3
	s_mov_b32 s4, s16
	s_add_u32 s6, s14, s6
	s_addc_u32 s7, s15, s7
	s_lshl_b64 s[4:5], s[4:5], 3
	s_add_u32 s4, s6, s4
	s_addc_u32 s5, s7, s5
	v_mov_b32_e32 v3, s5
	v_add_co_u32_e32 v2, vcc, s4, v1
	s_ashr_i32 s7, s17, 31
	s_mov_b32 s6, s17
	v_addc_co_u32_e32 v3, vcc, 0, v3, vcc
	s_lshl_b64 s[6:7], s[6:7], 3
	v_add_co_u32_e32 v4, vcc, s6, v2
	s_add_i32 s6, s17, s17
	v_add_u32_e32 v8, s6, v0
	global_load_dwordx2 v[12:13], v1, s[4:5]
	v_mov_b32_e32 v5, s7
	v_ashrrev_i32_e32 v9, 31, v8
	v_addc_co_u32_e32 v5, vcc, v3, v5, vcc
	v_lshlrev_b64 v[6:7], 3, v[8:9]
	v_mov_b32_e32 v9, s5
	v_add_co_u32_e32 v6, vcc, s4, v6
	v_add_u32_e32 v10, s17, v8
	v_addc_co_u32_e32 v7, vcc, v9, v7, vcc
	global_load_dwordx2 v[16:17], v[4:5], off
	global_load_dwordx2 v[14:15], v[6:7], off
	v_ashrrev_i32_e32 v11, 31, v10
	v_lshlrev_b64 v[8:9], 3, v[10:11]
	v_mov_b32_e32 v11, s5
	v_add_co_u32_e32 v8, vcc, s4, v8
	v_addc_co_u32_e32 v9, vcc, v11, v9, vcc
	global_load_dwordx2 v[18:19], v[8:9], off
	v_add_u32_e32 v20, s17, v10
	v_add_u32_e32 v22, s17, v20
	;; [unrolled: 1-line block ×39, first 2 shown]
	v_ashrrev_i32_e32 v11, 31, v10
	v_lshlrev_b64 v[10:11], 3, v[10:11]
	v_mov_b32_e32 v21, s5
	v_add_co_u32_e32 v10, vcc, s4, v10
	v_addc_co_u32_e32 v11, vcc, v21, v11, vcc
	global_load_dwordx2 v[90:91], v[10:11], off
	v_ashrrev_i32_e32 v21, 31, v20
	s_waitcnt vmcnt(4)
	buffer_store_dword v13, off, s[0:3], 0 offset:4
	buffer_store_dword v12, off, s[0:3], 0
	v_lshlrev_b64 v[12:13], 3, v[20:21]
	v_mov_b32_e32 v20, s5
	v_add_co_u32_e32 v78, vcc, s4, v12
	v_ashrrev_i32_e32 v23, 31, v22
	v_addc_co_u32_e32 v79, vcc, v20, v13, vcc
	v_lshlrev_b64 v[12:13], 3, v[22:23]
	global_load_dwordx2 v[120:121], v[78:79], off
	s_waitcnt vmcnt(6)
	buffer_store_dword v17, off, s[0:3], 0 offset:12
	buffer_store_dword v16, off, s[0:3], 0 offset:8
	s_waitcnt vmcnt(7)
	buffer_store_dword v15, off, s[0:3], 0 offset:20
	buffer_store_dword v14, off, s[0:3], 0 offset:16
	;; [unrolled: 3-line block ×3, first 2 shown]
	v_mov_b32_e32 v14, s5
	v_add_co_u32_e32 v80, vcc, s4, v12
	v_ashrrev_i32_e32 v25, 31, v24
	v_addc_co_u32_e32 v81, vcc, v14, v13, vcc
	v_lshlrev_b64 v[12:13], 3, v[24:25]
	v_add_co_u32_e32 v82, vcc, s4, v12
	v_ashrrev_i32_e32 v27, 31, v26
	v_addc_co_u32_e32 v83, vcc, v14, v13, vcc
	v_lshlrev_b64 v[12:13], 3, v[26:27]
	;; [unrolled: 4-line block ×8, first 2 shown]
	v_mov_b32_e32 v16, s5
	v_add_co_u32_e32 v58, vcc, s4, v14
	v_ashrrev_i32_e32 v41, 31, v40
	v_addc_co_u32_e32 v59, vcc, v16, v15, vcc
	v_lshlrev_b64 v[14:15], 3, v[40:41]
	v_add_co_u32_e32 v40, vcc, s4, v14
	v_ashrrev_i32_e32 v43, 31, v42
	v_addc_co_u32_e32 v41, vcc, v16, v15, vcc
	v_lshlrev_b64 v[14:15], 3, v[42:43]
	;; [unrolled: 4-line block ×4, first 2 shown]
	v_mov_b32_e32 v18, s5
	v_add_co_u32_e32 v60, vcc, s4, v16
	v_ashrrev_i32_e32 v49, 31, v48
	v_addc_co_u32_e32 v61, vcc, v18, v17, vcc
	v_lshlrev_b64 v[16:17], 3, v[48:49]
	v_add_co_u32_e32 v42, vcc, s4, v16
	v_ashrrev_i32_e32 v51, 31, v50
	v_addc_co_u32_e32 v43, vcc, v18, v17, vcc
	v_lshlrev_b64 v[16:17], 3, v[50:51]
	;; [unrolled: 4-line block ×8, first 2 shown]
	v_mov_b32_e32 v22, s5
	v_add_co_u32_e32 v64, vcc, s4, v20
	v_ashrrev_i32_e32 v73, 31, v72
	v_addc_co_u32_e32 v65, vcc, v22, v21, vcc
	v_lshlrev_b64 v[20:21], 3, v[72:73]
	v_add_co_u32_e32 v46, vcc, s4, v20
	v_ashrrev_i32_e32 v89, 31, v88
	v_addc_co_u32_e32 v47, vcc, v22, v21, vcc
	v_lshlrev_b64 v[20:21], 3, v[88:89]
	;; [unrolled: 4-line block ×4, first 2 shown]
	v_mov_b32_e32 v24, s5
	v_add_co_u32_e32 v66, vcc, s4, v22
	v_ashrrev_i32_e32 v97, 31, v96
	v_addc_co_u32_e32 v67, vcc, v24, v23, vcc
	v_lshlrev_b64 v[22:23], 3, v[96:97]
	v_add_co_u32_e32 v48, vcc, s4, v22
	v_ashrrev_i32_e32 v99, 31, v98
	v_addc_co_u32_e32 v49, vcc, v24, v23, vcc
	v_lshlrev_b64 v[22:23], 3, v[98:99]
	;; [unrolled: 4-line block ×4, first 2 shown]
	v_mov_b32_e32 v36, s5
	v_add_co_u32_e32 v68, vcc, s4, v24
	v_ashrrev_i32_e32 v105, 31, v104
	v_addc_co_u32_e32 v69, vcc, v36, v25, vcc
	v_lshlrev_b64 v[24:25], 3, v[104:105]
	v_add_co_u32_e32 v50, vcc, s4, v24
	v_ashrrev_i32_e32 v107, 31, v106
	v_addc_co_u32_e32 v51, vcc, v36, v25, vcc
	v_lshlrev_b64 v[24:25], 3, v[106:107]
	v_mov_b32_e32 v37, s5
	v_add_co_u32_e32 v36, vcc, s4, v24
	v_ashrrev_i32_e32 v109, 31, v108
	v_addc_co_u32_e32 v37, vcc, v37, v25, vcc
	v_lshlrev_b64 v[24:25], 3, v[108:109]
	v_mov_b32_e32 v38, s5
	;; [unrolled: 5-line block ×4, first 2 shown]
	v_add_co_u32_e32 v52, vcc, s4, v38
	global_load_dwordx2 v[122:123], v[80:81], off
	global_load_dwordx2 v[124:125], v[82:83], off
	;; [unrolled: 1-line block ×32, first 2 shown]
	v_addc_co_u32_e32 v53, vcc, v53, v39, vcc
	global_load_dwordx2 v[110:111], v[70:71], off
	global_load_dwordx2 v[112:113], v[52:53], off
	v_ashrrev_i32_e32 v115, 31, v114
	v_lshlrev_b64 v[38:39], 3, v[114:115]
	v_mov_b32_e32 v54, s5
	v_add_co_u32_e32 v72, vcc, s4, v38
	v_ashrrev_i32_e32 v117, 31, v116
	v_addc_co_u32_e32 v73, vcc, v54, v39, vcc
	v_lshlrev_b64 v[38:39], 3, v[116:117]
	v_mov_b32_e32 v55, s5
	v_add_co_u32_e32 v54, vcc, s4, v38
	v_ashrrev_i32_e32 v119, 31, v118
	v_addc_co_u32_e32 v55, vcc, v55, v39, vcc
	v_lshlrev_b64 v[38:39], 3, v[118:119]
	v_mov_b32_e32 v114, s5
	v_add_co_u32_e32 v38, vcc, s4, v38
	v_addc_co_u32_e32 v39, vcc, v114, v39, vcc
	global_load_dwordx2 v[114:115], v[72:73], off
	global_load_dwordx2 v[116:117], v[54:55], off
	;; [unrolled: 1-line block ×3, first 2 shown]
	s_cmpk_lg_i32 s13, 0x84
	s_waitcnt vmcnt(43)
	buffer_store_dword v121, off, s[0:3], 0 offset:36
	buffer_store_dword v120, off, s[0:3], 0 offset:32
	s_waitcnt vmcnt(38)
	buffer_store_dword v123, off, s[0:3], 0 offset:44
	buffer_store_dword v122, off, s[0:3], 0 offset:40
	s_waitcnt vmcnt(39)
	buffer_store_dword v125, off, s[0:3], 0 offset:52
	buffer_store_dword v124, off, s[0:3], 0 offset:48
	s_waitcnt vmcnt(40)
	buffer_store_dword v127, off, s[0:3], 0 offset:60
	buffer_store_dword v126, off, s[0:3], 0 offset:56
	s_waitcnt vmcnt(41)
	buffer_store_dword v129, off, s[0:3], 0 offset:68
	buffer_store_dword v128, off, s[0:3], 0 offset:64
	s_waitcnt vmcnt(42)
	buffer_store_dword v132, off, s[0:3], 0 offset:72
	buffer_store_dword v133, off, s[0:3], 0 offset:76
	s_waitcnt vmcnt(43)
	buffer_store_dword v134, off, s[0:3], 0 offset:80
	buffer_store_dword v135, off, s[0:3], 0 offset:84
	s_waitcnt vmcnt(44)
	buffer_store_dword v136, off, s[0:3], 0 offset:88
	buffer_store_dword v137, off, s[0:3], 0 offset:92
	s_waitcnt vmcnt(45)
	buffer_store_dword v138, off, s[0:3], 0 offset:96
	buffer_store_dword v139, off, s[0:3], 0 offset:100
	s_waitcnt vmcnt(46)
	buffer_store_dword v140, off, s[0:3], 0 offset:104
	buffer_store_dword v141, off, s[0:3], 0 offset:108
	s_waitcnt vmcnt(47)
	buffer_store_dword v143, off, s[0:3], 0 offset:116
	buffer_store_dword v142, off, s[0:3], 0 offset:112
	s_waitcnt vmcnt(48)
	buffer_store_dword v144, off, s[0:3], 0 offset:120
	buffer_store_dword v145, off, s[0:3], 0 offset:124
	s_waitcnt vmcnt(49)
	buffer_store_dword v146, off, s[0:3], 0 offset:128
	buffer_store_dword v147, off, s[0:3], 0 offset:132
	s_waitcnt vmcnt(50)
	buffer_store_dword v148, off, s[0:3], 0 offset:136
	buffer_store_dword v149, off, s[0:3], 0 offset:140
	s_waitcnt vmcnt(51)
	buffer_store_dword v150, off, s[0:3], 0 offset:144
	buffer_store_dword v151, off, s[0:3], 0 offset:148
	s_waitcnt vmcnt(52)
	buffer_store_dword v153, off, s[0:3], 0 offset:156
	buffer_store_dword v152, off, s[0:3], 0 offset:152
	s_waitcnt vmcnt(53)
	buffer_store_dword v155, off, s[0:3], 0 offset:164
	buffer_store_dword v154, off, s[0:3], 0 offset:160
	s_waitcnt vmcnt(54)
	buffer_store_dword v156, off, s[0:3], 0 offset:168
	buffer_store_dword v157, off, s[0:3], 0 offset:172
	s_waitcnt vmcnt(55)
	buffer_store_dword v158, off, s[0:3], 0 offset:176
	buffer_store_dword v159, off, s[0:3], 0 offset:180
	s_waitcnt vmcnt(56)
	buffer_store_dword v160, off, s[0:3], 0 offset:184
	buffer_store_dword v161, off, s[0:3], 0 offset:188
	s_waitcnt vmcnt(57)
	buffer_store_dword v162, off, s[0:3], 0 offset:192
	buffer_store_dword v163, off, s[0:3], 0 offset:196
	s_waitcnt vmcnt(58)
	buffer_store_dword v89, off, s[0:3], 0 offset:204
	buffer_store_dword v88, off, s[0:3], 0 offset:200
	s_waitcnt vmcnt(59)
	buffer_store_dword v93, off, s[0:3], 0 offset:212
	buffer_store_dword v92, off, s[0:3], 0 offset:208
	s_waitcnt vmcnt(60)
	buffer_store_dword v164, off, s[0:3], 0 offset:216
	buffer_store_dword v165, off, s[0:3], 0 offset:220
	s_waitcnt vmcnt(61)
	buffer_store_dword v166, off, s[0:3], 0 offset:224
	buffer_store_dword v167, off, s[0:3], 0 offset:228
	s_waitcnt vmcnt(62)
	buffer_store_dword v94, off, s[0:3], 0 offset:232
	buffer_store_dword v95, off, s[0:3], 0 offset:236
	s_waitcnt vmcnt(62)
	buffer_store_dword v96, off, s[0:3], 0 offset:240
	buffer_store_dword v97, off, s[0:3], 0 offset:244
	buffer_store_dword v99, off, s[0:3], 0 offset:252
	buffer_store_dword v98, off, s[0:3], 0 offset:248
	s_waitcnt vmcnt(62)
	buffer_store_dword v101, off, s[0:3], 0 offset:260
	buffer_store_dword v100, off, s[0:3], 0 offset:256
	;; [unrolled: 1-line block ×8, first 2 shown]
	s_waitcnt vmcnt(62)
	buffer_store_dword v108, off, s[0:3], 0 offset:288
	buffer_store_dword v109, off, s[0:3], 0 offset:292
	;; [unrolled: 1-line block ×14, first 2 shown]
	v_mov_b32_e32 v88, 0
	s_cselect_b64 s[8:9], -1, 0
	s_cmpk_eq_i32 s13, 0x84
	v_mov_b32_e32 v89, 0xbff00000
	s_cbranch_scc1 .LBB42_3
; %bb.2:
	v_lshl_add_u32 v98, v0, 3, v130
	buffer_load_dword v88, v98, s[0:3], 0 offen
	buffer_load_dword v89, v98, s[0:3], 0 offen offset:4
	s_waitcnt vmcnt(0)
	v_div_scale_f64 v[90:91], s[4:5], v[88:89], v[88:89], 1.0
	v_rcp_f64_e32 v[92:93], v[90:91]
	v_div_scale_f64 v[94:95], vcc, 1.0, v[88:89], 1.0
	v_fma_f64 v[96:97], -v[90:91], v[92:93], 1.0
	v_fmac_f64_e32 v[92:93], v[92:93], v[96:97]
	v_fma_f64 v[96:97], -v[90:91], v[92:93], 1.0
	v_fmac_f64_e32 v[92:93], v[92:93], v[96:97]
	v_mul_f64 v[96:97], v[94:95], v[92:93]
	v_fma_f64 v[90:91], -v[90:91], v[96:97], v[94:95]
	v_div_fmas_f64 v[90:91], v[90:91], v[92:93], v[96:97]
	v_div_fixup_f64 v[88:89], v[90:91], v[88:89], 1.0
	buffer_store_dword v88, v98, s[0:3], 0 offen
	buffer_store_dword v89, v98, s[0:3], 0 offen offset:4
	v_xor_b32_e32 v89, 0x80000000, v89
.LBB42_3:
	s_cmpk_eq_i32 s12, 0x79
	v_add_u32_e32 v90, 0x160, v1
	v_add_u32_e32 v91, 0, v1
	s_mov_b64 s[4:5], -1
	ds_write_b64 v1, v[88:89]
	s_cbranch_scc1 .LBB42_417
; %bb.4:
	buffer_load_dword v88, off, s[0:3], 0 offset:328
	buffer_load_dword v89, off, s[0:3], 0 offset:332
	v_cmp_eq_u32_e64 s[4:5], 42, v0
	s_waitcnt vmcnt(0)
	ds_write_b64 v90, v[88:89]
	s_waitcnt lgkmcnt(0)
	; wave barrier
	s_waitcnt lgkmcnt(0)
	s_and_saveexec_b64 s[6:7], s[4:5]
	s_cbranch_execz .LBB42_10
; %bb.5:
	s_and_b64 vcc, exec, s[8:9]
	s_cbranch_vccz .LBB42_7
; %bb.6:
	buffer_load_dword v88, v91, s[0:3], 0 offen
	buffer_load_dword v89, v91, s[0:3], 0 offen offset:4
	ds_read_b64 v[92:93], v90
	s_waitcnt vmcnt(0) lgkmcnt(0)
	v_mul_f64 v[88:89], v[88:89], v[92:93]
	s_cbranch_execz .LBB42_8
	s_branch .LBB42_9
.LBB42_7:
                                        ; implicit-def: $vgpr88_vgpr89
.LBB42_8:
	ds_read_b64 v[88:89], v90
.LBB42_9:
	v_mov_b32_e32 v92, 0
	ds_read_b64 v[92:93], v92 offset:328
	s_waitcnt lgkmcnt(0)
	v_mul_f64 v[88:89], v[88:89], v[92:93]
	buffer_store_dword v89, off, s[0:3], 0 offset:332
	buffer_store_dword v88, off, s[0:3], 0 offset:328
.LBB42_10:
	s_or_b64 exec, exec, s[6:7]
	buffer_load_dword v88, off, s[0:3], 0 offset:320
	buffer_load_dword v89, off, s[0:3], 0 offset:324
	v_or_b32_e32 v92, 8, v130
	v_add_u32_e32 v93, 16, v130
	v_add_u32_e32 v94, 24, v130
	;; [unrolled: 1-line block ×39, first 2 shown]
	v_cmp_lt_u32_e64 s[6:7], 40, v0
	s_waitcnt vmcnt(0)
	ds_write_b64 v90, v[88:89]
	s_waitcnt lgkmcnt(0)
	; wave barrier
	s_waitcnt lgkmcnt(0)
	s_and_saveexec_b64 s[10:11], s[6:7]
	s_cbranch_execz .LBB42_16
; %bb.11:
	s_andn2_b64 vcc, exec, s[8:9]
	s_cbranch_vccnz .LBB42_13
; %bb.12:
	buffer_load_dword v88, v91, s[0:3], 0 offen
	buffer_load_dword v89, v91, s[0:3], 0 offen offset:4
	ds_read_b64 v[132:133], v90
	s_waitcnt vmcnt(0) lgkmcnt(0)
	v_mul_f64 v[88:89], v[88:89], v[132:133]
	s_cbranch_execz .LBB42_14
	s_branch .LBB42_15
.LBB42_13:
                                        ; implicit-def: $vgpr88_vgpr89
.LBB42_14:
	ds_read_b64 v[88:89], v90
.LBB42_15:
	buffer_load_dword v136, off, s[0:3], 0 offset:328
	buffer_load_dword v137, off, s[0:3], 0 offset:332
	v_mov_b32_e32 v132, 0
	ds_read2_b64 v[132:135], v132 offset0:40 offset1:85
	s_waitcnt vmcnt(0) lgkmcnt(0)
	v_fma_f64 v[134:135], v[136:137], v[134:135], v[88:89]
	v_cndmask_b32_e64 v89, v89, v135, s[4:5]
	v_cndmask_b32_e64 v88, v88, v134, s[4:5]
	v_mul_f64 v[88:89], v[88:89], v[132:133]
	buffer_store_dword v89, off, s[0:3], 0 offset:324
	buffer_store_dword v88, off, s[0:3], 0 offset:320
.LBB42_16:
	s_or_b64 exec, exec, s[10:11]
	buffer_load_dword v88, off, s[0:3], 0 offset:312
	buffer_load_dword v89, off, s[0:3], 0 offset:316
	v_cmp_lt_u32_e64 s[4:5], 39, v0
	s_waitcnt vmcnt(0)
	ds_write_b64 v90, v[88:89]
	s_waitcnt lgkmcnt(0)
	; wave barrier
	s_waitcnt lgkmcnt(0)
	s_and_saveexec_b64 s[10:11], s[4:5]
	s_cbranch_execz .LBB42_26
; %bb.17:
	s_andn2_b64 vcc, exec, s[8:9]
	s_cbranch_vccnz .LBB42_19
; %bb.18:
	buffer_load_dword v88, v91, s[0:3], 0 offen
	buffer_load_dword v89, v91, s[0:3], 0 offen offset:4
	ds_read_b64 v[132:133], v90
	s_waitcnt vmcnt(0) lgkmcnt(0)
	v_mul_f64 v[88:89], v[88:89], v[132:133]
	s_cbranch_execz .LBB42_20
	s_branch .LBB42_21
.LBB42_19:
                                        ; implicit-def: $vgpr88_vgpr89
.LBB42_20:
	ds_read_b64 v[88:89], v90
.LBB42_21:
	s_and_saveexec_b64 s[12:13], s[6:7]
	s_cbranch_execz .LBB42_25
; %bb.22:
	v_subrev_u32_e32 v132, 40, v0
	s_movk_i32 s14, 0x2a0
	s_mov_b64 s[6:7], 0
.LBB42_23:                              ; =>This Inner Loop Header: Depth=1
	buffer_load_dword v134, v130, s[0:3], 0 offen
	buffer_load_dword v135, v130, s[0:3], 0 offen offset:4
	v_mov_b32_e32 v133, s14
	ds_read_b64 v[136:137], v133
	v_add_u32_e32 v132, -1, v132
	s_add_i32 s14, s14, 8
	v_cmp_eq_u32_e32 vcc, 0, v132
	v_add_u32_e32 v130, 8, v130
	s_or_b64 s[6:7], vcc, s[6:7]
	s_waitcnt vmcnt(0) lgkmcnt(0)
	v_fmac_f64_e32 v[88:89], v[134:135], v[136:137]
	s_andn2_b64 exec, exec, s[6:7]
	s_cbranch_execnz .LBB42_23
; %bb.24:
	s_or_b64 exec, exec, s[6:7]
.LBB42_25:
	s_or_b64 exec, exec, s[12:13]
	v_mov_b32_e32 v130, 0
	ds_read_b64 v[132:133], v130 offset:312
	s_waitcnt lgkmcnt(0)
	v_mul_f64 v[88:89], v[88:89], v[132:133]
	buffer_store_dword v89, off, s[0:3], 0 offset:316
	buffer_store_dword v88, off, s[0:3], 0 offset:312
.LBB42_26:
	s_or_b64 exec, exec, s[10:11]
	buffer_load_dword v88, off, s[0:3], 0 offset:304
	buffer_load_dword v89, off, s[0:3], 0 offset:308
	v_cmp_lt_u32_e64 s[6:7], 38, v0
	s_waitcnt vmcnt(0)
	ds_write_b64 v90, v[88:89]
	s_waitcnt lgkmcnt(0)
	; wave barrier
	s_waitcnt lgkmcnt(0)
	s_and_saveexec_b64 s[10:11], s[6:7]
	s_cbranch_execz .LBB42_36
; %bb.27:
	s_andn2_b64 vcc, exec, s[8:9]
	s_cbranch_vccnz .LBB42_29
; %bb.28:
	buffer_load_dword v88, v91, s[0:3], 0 offen
	buffer_load_dword v89, v91, s[0:3], 0 offen offset:4
	ds_read_b64 v[132:133], v90
	s_waitcnt vmcnt(0) lgkmcnt(0)
	v_mul_f64 v[88:89], v[88:89], v[132:133]
	s_cbranch_execz .LBB42_30
	s_branch .LBB42_31
.LBB42_29:
                                        ; implicit-def: $vgpr88_vgpr89
.LBB42_30:
	ds_read_b64 v[88:89], v90
.LBB42_31:
	s_and_saveexec_b64 s[12:13], s[4:5]
	s_cbranch_execz .LBB42_35
; %bb.32:
	v_subrev_u32_e32 v130, 39, v0
	s_movk_i32 s14, 0x298
	s_mov_b64 s[4:5], 0
.LBB42_33:                              ; =>This Inner Loop Header: Depth=1
	buffer_load_dword v132, v131, s[0:3], 0 offen
	buffer_load_dword v133, v131, s[0:3], 0 offen offset:4
	v_mov_b32_e32 v134, s14
	ds_read_b64 v[134:135], v134
	v_add_u32_e32 v130, -1, v130
	s_add_i32 s14, s14, 8
	v_cmp_eq_u32_e32 vcc, 0, v130
	v_add_u32_e32 v131, 8, v131
	s_or_b64 s[4:5], vcc, s[4:5]
	s_waitcnt vmcnt(0) lgkmcnt(0)
	v_fmac_f64_e32 v[88:89], v[132:133], v[134:135]
	s_andn2_b64 exec, exec, s[4:5]
	s_cbranch_execnz .LBB42_33
; %bb.34:
	s_or_b64 exec, exec, s[4:5]
.LBB42_35:
	s_or_b64 exec, exec, s[12:13]
	v_mov_b32_e32 v130, 0
	ds_read_b64 v[130:131], v130 offset:304
	s_waitcnt lgkmcnt(0)
	v_mul_f64 v[88:89], v[88:89], v[130:131]
	buffer_store_dword v89, off, s[0:3], 0 offset:308
	buffer_store_dword v88, off, s[0:3], 0 offset:304
.LBB42_36:
	;; [unrolled: 58-line block ×8, first 2 shown]
	s_or_b64 exec, exec, s[10:11]
	buffer_load_dword v88, off, s[0:3], 0 offset:248
	buffer_load_dword v89, off, s[0:3], 0 offset:252
	v_cmp_lt_u32_e64 s[4:5], 31, v0
	s_waitcnt vmcnt(0)
	ds_write_b64 v90, v[88:89]
	s_waitcnt lgkmcnt(0)
	; wave barrier
	s_waitcnt lgkmcnt(0)
	s_and_saveexec_b64 s[10:11], s[4:5]
	s_cbranch_execz .LBB42_106
; %bb.97:
	s_andn2_b64 vcc, exec, s[8:9]
	s_cbranch_vccnz .LBB42_99
; %bb.98:
	buffer_load_dword v88, v91, s[0:3], 0 offen
	buffer_load_dword v89, v91, s[0:3], 0 offen offset:4
	ds_read_b64 v[124:125], v90
	s_waitcnt vmcnt(0) lgkmcnt(0)
	v_mul_f64 v[88:89], v[88:89], v[124:125]
	s_cbranch_execz .LBB42_100
	s_branch .LBB42_101
.LBB42_99:
                                        ; implicit-def: $vgpr88_vgpr89
.LBB42_100:
	ds_read_b64 v[88:89], v90
.LBB42_101:
	s_and_saveexec_b64 s[12:13], s[6:7]
	s_cbranch_execz .LBB42_105
; %bb.102:
	v_subrev_u32_e32 v124, 32, v0
	s_movk_i32 s14, 0x260
	s_mov_b64 s[6:7], 0
.LBB42_103:                             ; =>This Inner Loop Header: Depth=1
	buffer_load_dword v126, v123, s[0:3], 0 offen
	buffer_load_dword v127, v123, s[0:3], 0 offen offset:4
	v_mov_b32_e32 v125, s14
	ds_read_b64 v[128:129], v125
	v_add_u32_e32 v124, -1, v124
	s_add_i32 s14, s14, 8
	v_cmp_eq_u32_e32 vcc, 0, v124
	v_add_u32_e32 v123, 8, v123
	s_or_b64 s[6:7], vcc, s[6:7]
	s_waitcnt vmcnt(0) lgkmcnt(0)
	v_fmac_f64_e32 v[88:89], v[126:127], v[128:129]
	s_andn2_b64 exec, exec, s[6:7]
	s_cbranch_execnz .LBB42_103
; %bb.104:
	s_or_b64 exec, exec, s[6:7]
.LBB42_105:
	s_or_b64 exec, exec, s[12:13]
	v_mov_b32_e32 v123, 0
	ds_read_b64 v[124:125], v123 offset:248
	s_waitcnt lgkmcnt(0)
	v_mul_f64 v[88:89], v[88:89], v[124:125]
	buffer_store_dword v89, off, s[0:3], 0 offset:252
	buffer_store_dword v88, off, s[0:3], 0 offset:248
.LBB42_106:
	s_or_b64 exec, exec, s[10:11]
	buffer_load_dword v88, off, s[0:3], 0 offset:240
	buffer_load_dword v89, off, s[0:3], 0 offset:244
	v_cmp_lt_u32_e64 s[6:7], 30, v0
	s_waitcnt vmcnt(0)
	ds_write_b64 v90, v[88:89]
	s_waitcnt lgkmcnt(0)
	; wave barrier
	s_waitcnt lgkmcnt(0)
	s_and_saveexec_b64 s[10:11], s[6:7]
	s_cbranch_execz .LBB42_116
; %bb.107:
	s_andn2_b64 vcc, exec, s[8:9]
	s_cbranch_vccnz .LBB42_109
; %bb.108:
	buffer_load_dword v88, v91, s[0:3], 0 offen
	buffer_load_dword v89, v91, s[0:3], 0 offen offset:4
	ds_read_b64 v[124:125], v90
	s_waitcnt vmcnt(0) lgkmcnt(0)
	v_mul_f64 v[88:89], v[88:89], v[124:125]
	s_cbranch_execz .LBB42_110
	s_branch .LBB42_111
.LBB42_109:
                                        ; implicit-def: $vgpr88_vgpr89
.LBB42_110:
	ds_read_b64 v[88:89], v90
.LBB42_111:
	s_and_saveexec_b64 s[12:13], s[4:5]
	s_cbranch_execz .LBB42_115
; %bb.112:
	v_subrev_u32_e32 v123, 31, v0
	s_movk_i32 s14, 0x258
	s_mov_b64 s[4:5], 0
.LBB42_113:                             ; =>This Inner Loop Header: Depth=1
	buffer_load_dword v124, v122, s[0:3], 0 offen
	buffer_load_dword v125, v122, s[0:3], 0 offen offset:4
	v_mov_b32_e32 v126, s14
	ds_read_b64 v[126:127], v126
	v_add_u32_e32 v123, -1, v123
	s_add_i32 s14, s14, 8
	v_cmp_eq_u32_e32 vcc, 0, v123
	v_add_u32_e32 v122, 8, v122
	s_or_b64 s[4:5], vcc, s[4:5]
	s_waitcnt vmcnt(0) lgkmcnt(0)
	v_fmac_f64_e32 v[88:89], v[124:125], v[126:127]
	s_andn2_b64 exec, exec, s[4:5]
	s_cbranch_execnz .LBB42_113
; %bb.114:
	s_or_b64 exec, exec, s[4:5]
.LBB42_115:
	s_or_b64 exec, exec, s[12:13]
	v_mov_b32_e32 v122, 0
	ds_read_b64 v[122:123], v122 offset:240
	s_waitcnt lgkmcnt(0)
	v_mul_f64 v[88:89], v[88:89], v[122:123]
	buffer_store_dword v89, off, s[0:3], 0 offset:244
	buffer_store_dword v88, off, s[0:3], 0 offset:240
.LBB42_116:
	;; [unrolled: 58-line block ×16, first 2 shown]
	s_or_b64 exec, exec, s[10:11]
	buffer_load_dword v88, off, s[0:3], 0 offset:120
	buffer_load_dword v89, off, s[0:3], 0 offset:124
	v_cmp_lt_u32_e64 s[4:5], 15, v0
	s_waitcnt vmcnt(0)
	ds_write_b64 v90, v[88:89]
	s_waitcnt lgkmcnt(0)
	; wave barrier
	s_waitcnt lgkmcnt(0)
	s_and_saveexec_b64 s[10:11], s[4:5]
	s_cbranch_execz .LBB42_266
; %bb.257:
	s_andn2_b64 vcc, exec, s[8:9]
	s_cbranch_vccnz .LBB42_259
; %bb.258:
	buffer_load_dword v88, v91, s[0:3], 0 offen
	buffer_load_dword v89, v91, s[0:3], 0 offen offset:4
	ds_read_b64 v[108:109], v90
	s_waitcnt vmcnt(0) lgkmcnt(0)
	v_mul_f64 v[88:89], v[88:89], v[108:109]
	s_cbranch_execz .LBB42_260
	s_branch .LBB42_261
.LBB42_259:
                                        ; implicit-def: $vgpr88_vgpr89
.LBB42_260:
	ds_read_b64 v[88:89], v90
.LBB42_261:
	s_and_saveexec_b64 s[12:13], s[6:7]
	s_cbranch_execz .LBB42_265
; %bb.262:
	v_add_u32_e32 v108, -16, v0
	s_movk_i32 s14, 0x1e0
	s_mov_b64 s[6:7], 0
.LBB42_263:                             ; =>This Inner Loop Header: Depth=1
	buffer_load_dword v110, v107, s[0:3], 0 offen
	buffer_load_dword v111, v107, s[0:3], 0 offen offset:4
	v_mov_b32_e32 v109, s14
	ds_read_b64 v[112:113], v109
	v_add_u32_e32 v108, -1, v108
	s_add_i32 s14, s14, 8
	v_cmp_eq_u32_e32 vcc, 0, v108
	v_add_u32_e32 v107, 8, v107
	s_or_b64 s[6:7], vcc, s[6:7]
	s_waitcnt vmcnt(0) lgkmcnt(0)
	v_fmac_f64_e32 v[88:89], v[110:111], v[112:113]
	s_andn2_b64 exec, exec, s[6:7]
	s_cbranch_execnz .LBB42_263
; %bb.264:
	s_or_b64 exec, exec, s[6:7]
.LBB42_265:
	s_or_b64 exec, exec, s[12:13]
	v_mov_b32_e32 v107, 0
	ds_read_b64 v[108:109], v107 offset:120
	s_waitcnt lgkmcnt(0)
	v_mul_f64 v[88:89], v[88:89], v[108:109]
	buffer_store_dword v89, off, s[0:3], 0 offset:124
	buffer_store_dword v88, off, s[0:3], 0 offset:120
.LBB42_266:
	s_or_b64 exec, exec, s[10:11]
	buffer_load_dword v88, off, s[0:3], 0 offset:112
	buffer_load_dword v89, off, s[0:3], 0 offset:116
	v_cmp_lt_u32_e64 s[6:7], 14, v0
	s_waitcnt vmcnt(0)
	ds_write_b64 v90, v[88:89]
	s_waitcnt lgkmcnt(0)
	; wave barrier
	s_waitcnt lgkmcnt(0)
	s_and_saveexec_b64 s[10:11], s[6:7]
	s_cbranch_execz .LBB42_276
; %bb.267:
	s_andn2_b64 vcc, exec, s[8:9]
	s_cbranch_vccnz .LBB42_269
; %bb.268:
	buffer_load_dword v88, v91, s[0:3], 0 offen
	buffer_load_dword v89, v91, s[0:3], 0 offen offset:4
	ds_read_b64 v[108:109], v90
	s_waitcnt vmcnt(0) lgkmcnt(0)
	v_mul_f64 v[88:89], v[88:89], v[108:109]
	s_cbranch_execz .LBB42_270
	s_branch .LBB42_271
.LBB42_269:
                                        ; implicit-def: $vgpr88_vgpr89
.LBB42_270:
	ds_read_b64 v[88:89], v90
.LBB42_271:
	s_and_saveexec_b64 s[12:13], s[4:5]
	s_cbranch_execz .LBB42_275
; %bb.272:
	v_add_u32_e32 v107, -15, v0
	s_movk_i32 s14, 0x1d8
	s_mov_b64 s[4:5], 0
.LBB42_273:                             ; =>This Inner Loop Header: Depth=1
	buffer_load_dword v108, v106, s[0:3], 0 offen
	buffer_load_dword v109, v106, s[0:3], 0 offen offset:4
	v_mov_b32_e32 v110, s14
	ds_read_b64 v[110:111], v110
	v_add_u32_e32 v107, -1, v107
	s_add_i32 s14, s14, 8
	v_cmp_eq_u32_e32 vcc, 0, v107
	v_add_u32_e32 v106, 8, v106
	s_or_b64 s[4:5], vcc, s[4:5]
	s_waitcnt vmcnt(0) lgkmcnt(0)
	v_fmac_f64_e32 v[88:89], v[108:109], v[110:111]
	s_andn2_b64 exec, exec, s[4:5]
	s_cbranch_execnz .LBB42_273
; %bb.274:
	s_or_b64 exec, exec, s[4:5]
.LBB42_275:
	s_or_b64 exec, exec, s[12:13]
	v_mov_b32_e32 v106, 0
	ds_read_b64 v[106:107], v106 offset:112
	s_waitcnt lgkmcnt(0)
	v_mul_f64 v[88:89], v[88:89], v[106:107]
	buffer_store_dword v89, off, s[0:3], 0 offset:116
	buffer_store_dword v88, off, s[0:3], 0 offset:112
.LBB42_276:
	;; [unrolled: 58-line block ×15, first 2 shown]
	s_or_b64 exec, exec, s[10:11]
	buffer_load_dword v88, off, s[0:3], 0
	buffer_load_dword v89, off, s[0:3], 0 offset:4
	v_cmp_ne_u32_e32 vcc, 0, v0
	s_waitcnt vmcnt(0)
	ds_write_b64 v90, v[88:89]
	s_waitcnt lgkmcnt(0)
	; wave barrier
	s_waitcnt lgkmcnt(0)
	s_and_saveexec_b64 s[6:7], vcc
	s_cbranch_execz .LBB42_416
; %bb.407:
	s_andn2_b64 vcc, exec, s[8:9]
	s_cbranch_vccnz .LBB42_409
; %bb.408:
	buffer_load_dword v88, v91, s[0:3], 0 offen
	buffer_load_dword v89, v91, s[0:3], 0 offen offset:4
	ds_read_b64 v[94:95], v90
	s_waitcnt vmcnt(0) lgkmcnt(0)
	v_mul_f64 v[88:89], v[88:89], v[94:95]
	s_cbranch_execz .LBB42_410
	s_branch .LBB42_411
.LBB42_409:
                                        ; implicit-def: $vgpr88_vgpr89
.LBB42_410:
	ds_read_b64 v[88:89], v90
.LBB42_411:
	s_and_saveexec_b64 s[10:11], s[4:5]
	s_cbranch_execz .LBB42_415
; %bb.412:
	v_add_u32_e32 v93, -1, v0
	s_movk_i32 s12, 0x168
	s_mov_b64 s[4:5], 0
.LBB42_413:                             ; =>This Inner Loop Header: Depth=1
	buffer_load_dword v94, v92, s[0:3], 0 offen
	buffer_load_dword v95, v92, s[0:3], 0 offen offset:4
	v_mov_b32_e32 v96, s12
	ds_read_b64 v[96:97], v96
	v_add_u32_e32 v93, -1, v93
	s_add_i32 s12, s12, 8
	v_cmp_eq_u32_e32 vcc, 0, v93
	v_add_u32_e32 v92, 8, v92
	s_or_b64 s[4:5], vcc, s[4:5]
	s_waitcnt vmcnt(0) lgkmcnt(0)
	v_fmac_f64_e32 v[88:89], v[94:95], v[96:97]
	s_andn2_b64 exec, exec, s[4:5]
	s_cbranch_execnz .LBB42_413
; %bb.414:
	s_or_b64 exec, exec, s[4:5]
.LBB42_415:
	s_or_b64 exec, exec, s[10:11]
	v_mov_b32_e32 v92, 0
	ds_read_b64 v[92:93], v92
	s_waitcnt lgkmcnt(0)
	v_mul_f64 v[88:89], v[88:89], v[92:93]
	buffer_store_dword v89, off, s[0:3], 0 offset:4
	buffer_store_dword v88, off, s[0:3], 0
.LBB42_416:
	s_or_b64 exec, exec, s[6:7]
	s_mov_b64 s[4:5], 0
.LBB42_417:
	s_and_b64 vcc, exec, s[4:5]
	s_cbranch_vccz .LBB42_831
; %bb.418:
	buffer_load_dword v88, off, s[0:3], 0 offset:8
	buffer_load_dword v89, off, s[0:3], 0 offset:12
	v_cmp_eq_u32_e64 s[6:7], 0, v0
	s_waitcnt vmcnt(0)
	ds_write_b64 v90, v[88:89]
	s_waitcnt lgkmcnt(0)
	; wave barrier
	s_waitcnt lgkmcnt(0)
	s_and_saveexec_b64 s[4:5], s[6:7]
	s_cbranch_execz .LBB42_424
; %bb.419:
	s_and_b64 vcc, exec, s[8:9]
	s_cbranch_vccz .LBB42_421
; %bb.420:
	buffer_load_dword v88, v91, s[0:3], 0 offen
	buffer_load_dword v89, v91, s[0:3], 0 offen offset:4
	ds_read_b64 v[92:93], v90
	s_waitcnt vmcnt(0) lgkmcnt(0)
	v_mul_f64 v[88:89], v[88:89], v[92:93]
	s_cbranch_execz .LBB42_422
	s_branch .LBB42_423
.LBB42_421:
                                        ; implicit-def: $vgpr88_vgpr89
.LBB42_422:
	ds_read_b64 v[88:89], v90
.LBB42_423:
	v_mov_b32_e32 v92, 0
	ds_read_b64 v[92:93], v92 offset:8
	s_waitcnt lgkmcnt(0)
	v_mul_f64 v[88:89], v[88:89], v[92:93]
	buffer_store_dword v89, off, s[0:3], 0 offset:12
	buffer_store_dword v88, off, s[0:3], 0 offset:8
.LBB42_424:
	s_or_b64 exec, exec, s[4:5]
	buffer_load_dword v88, off, s[0:3], 0 offset:16
	buffer_load_dword v89, off, s[0:3], 0 offset:20
	v_cndmask_b32_e64 v92, 0, 1, s[8:9]
	v_cmp_gt_u32_e32 vcc, 2, v0
	v_cmp_ne_u32_e64 s[4:5], 1, v92
	s_waitcnt vmcnt(0)
	ds_write_b64 v90, v[88:89]
	s_waitcnt lgkmcnt(0)
	; wave barrier
	s_waitcnt lgkmcnt(0)
	s_and_saveexec_b64 s[8:9], vcc
	s_cbranch_execz .LBB42_432
; %bb.425:
	s_and_b64 vcc, exec, s[4:5]
	s_cbranch_vccnz .LBB42_427
; %bb.426:
	buffer_load_dword v88, v91, s[0:3], 0 offen
	buffer_load_dword v89, v91, s[0:3], 0 offen offset:4
	ds_read_b64 v[92:93], v90
	s_waitcnt vmcnt(0) lgkmcnt(0)
	v_mul_f64 v[88:89], v[88:89], v[92:93]
	s_cbranch_execz .LBB42_428
	s_branch .LBB42_429
.LBB42_427:
                                        ; implicit-def: $vgpr88_vgpr89
.LBB42_428:
	ds_read_b64 v[88:89], v90
.LBB42_429:
	s_and_saveexec_b64 s[10:11], s[6:7]
	s_cbranch_execz .LBB42_431
; %bb.430:
	buffer_load_dword v92, v91, s[0:3], 0 offen offset:8
	buffer_load_dword v93, v91, s[0:3], 0 offen offset:12
	ds_read_b64 v[94:95], v90 offset:8
	s_waitcnt vmcnt(0) lgkmcnt(0)
	v_fmac_f64_e32 v[88:89], v[92:93], v[94:95]
.LBB42_431:
	s_or_b64 exec, exec, s[10:11]
	v_mov_b32_e32 v92, 0
	ds_read_b64 v[92:93], v92 offset:16
	s_waitcnt lgkmcnt(0)
	v_mul_f64 v[88:89], v[88:89], v[92:93]
	buffer_store_dword v89, off, s[0:3], 0 offset:20
	buffer_store_dword v88, off, s[0:3], 0 offset:16
.LBB42_432:
	s_or_b64 exec, exec, s[8:9]
	buffer_load_dword v88, off, s[0:3], 0 offset:24
	buffer_load_dword v89, off, s[0:3], 0 offset:28
	v_cmp_gt_u32_e32 vcc, 3, v0
	s_waitcnt vmcnt(0)
	ds_write_b64 v90, v[88:89]
	s_waitcnt lgkmcnt(0)
	; wave barrier
	s_waitcnt lgkmcnt(0)
	s_and_saveexec_b64 s[8:9], vcc
	s_cbranch_execz .LBB42_440
; %bb.433:
	s_and_b64 vcc, exec, s[4:5]
	s_cbranch_vccnz .LBB42_435
; %bb.434:
	buffer_load_dword v88, v91, s[0:3], 0 offen
	buffer_load_dword v89, v91, s[0:3], 0 offen offset:4
	ds_read_b64 v[92:93], v90
	s_waitcnt vmcnt(0) lgkmcnt(0)
	v_mul_f64 v[88:89], v[88:89], v[92:93]
	s_cbranch_execz .LBB42_436
	s_branch .LBB42_437
.LBB42_435:
                                        ; implicit-def: $vgpr88_vgpr89
.LBB42_436:
	ds_read_b64 v[88:89], v90
.LBB42_437:
	v_cmp_ne_u32_e32 vcc, 2, v0
	s_and_saveexec_b64 s[10:11], vcc
	s_cbranch_execz .LBB42_439
; %bb.438:
	buffer_load_dword v93, v91, s[0:3], 0 offen offset:12
	buffer_load_dword v94, off, s[0:3], 0 offset:16
	buffer_load_dword v92, v91, s[0:3], 0 offen offset:8
	buffer_load_dword v95, off, s[0:3], 0 offset:20
	v_mov_b32_e32 v98, 0
	ds_read_b64 v[96:97], v90 offset:8
	ds_read_b64 v[98:99], v98 offset:368
	s_waitcnt vmcnt(1) lgkmcnt(1)
	v_fmac_f64_e32 v[88:89], v[92:93], v[96:97]
	s_waitcnt vmcnt(0) lgkmcnt(0)
	v_fma_f64 v[92:93], v[94:95], v[98:99], v[88:89]
	v_cndmask_b32_e64 v89, v89, v93, s[6:7]
	v_cndmask_b32_e64 v88, v88, v92, s[6:7]
.LBB42_439:
	s_or_b64 exec, exec, s[10:11]
	v_mov_b32_e32 v92, 0
	ds_read_b64 v[92:93], v92 offset:24
	s_waitcnt lgkmcnt(0)
	v_mul_f64 v[88:89], v[88:89], v[92:93]
	buffer_store_dword v89, off, s[0:3], 0 offset:28
	buffer_store_dword v88, off, s[0:3], 0 offset:24
.LBB42_440:
	s_or_b64 exec, exec, s[8:9]
	buffer_load_dword v88, off, s[0:3], 0 offset:32
	buffer_load_dword v89, off, s[0:3], 0 offset:36
	v_cmp_gt_u32_e32 vcc, 4, v0
	s_waitcnt vmcnt(0)
	ds_write_b64 v90, v[88:89]
	s_waitcnt lgkmcnt(0)
	; wave barrier
	s_waitcnt lgkmcnt(0)
	s_and_saveexec_b64 s[6:7], vcc
	s_cbranch_execz .LBB42_450
; %bb.441:
	s_and_b64 vcc, exec, s[4:5]
	s_cbranch_vccnz .LBB42_443
; %bb.442:
	buffer_load_dword v88, v91, s[0:3], 0 offen
	buffer_load_dword v89, v91, s[0:3], 0 offen offset:4
	ds_read_b64 v[92:93], v90
	s_waitcnt vmcnt(0) lgkmcnt(0)
	v_mul_f64 v[88:89], v[88:89], v[92:93]
	s_cbranch_execz .LBB42_444
	s_branch .LBB42_445
.LBB42_443:
                                        ; implicit-def: $vgpr88_vgpr89
.LBB42_444:
	ds_read_b64 v[88:89], v90
.LBB42_445:
	v_cmp_ne_u32_e32 vcc, 3, v0
	s_and_saveexec_b64 s[8:9], vcc
	s_cbranch_execz .LBB42_449
; %bb.446:
	v_mov_b32_e32 v93, 0
	v_add_u32_e32 v92, 0x168, v1
	v_add3_u32 v93, v1, v93, 8
	s_mov_b64 s[10:11], 0
	v_mov_b32_e32 v94, v0
.LBB42_447:                             ; =>This Inner Loop Header: Depth=1
	buffer_load_dword v96, v93, s[0:3], 0 offen
	buffer_load_dword v97, v93, s[0:3], 0 offen offset:4
	ds_read_b64 v[98:99], v92
	v_add_u32_e32 v94, 1, v94
	v_cmp_lt_u32_e32 vcc, 2, v94
	v_add_u32_e32 v92, 8, v92
	v_add_u32_e32 v93, 8, v93
	s_or_b64 s[10:11], vcc, s[10:11]
	s_waitcnt vmcnt(0) lgkmcnt(0)
	v_fmac_f64_e32 v[88:89], v[96:97], v[98:99]
	s_andn2_b64 exec, exec, s[10:11]
	s_cbranch_execnz .LBB42_447
; %bb.448:
	s_or_b64 exec, exec, s[10:11]
.LBB42_449:
	s_or_b64 exec, exec, s[8:9]
	v_mov_b32_e32 v92, 0
	ds_read_b64 v[92:93], v92 offset:32
	s_waitcnt lgkmcnt(0)
	v_mul_f64 v[88:89], v[88:89], v[92:93]
	buffer_store_dword v89, off, s[0:3], 0 offset:36
	buffer_store_dword v88, off, s[0:3], 0 offset:32
.LBB42_450:
	s_or_b64 exec, exec, s[6:7]
	buffer_load_dword v88, off, s[0:3], 0 offset:40
	buffer_load_dword v89, off, s[0:3], 0 offset:44
	v_cmp_gt_u32_e32 vcc, 5, v0
	s_waitcnt vmcnt(0)
	ds_write_b64 v90, v[88:89]
	s_waitcnt lgkmcnt(0)
	; wave barrier
	s_waitcnt lgkmcnt(0)
	s_and_saveexec_b64 s[6:7], vcc
	s_cbranch_execz .LBB42_460
; %bb.451:
	s_and_b64 vcc, exec, s[4:5]
	s_cbranch_vccnz .LBB42_453
; %bb.452:
	buffer_load_dword v88, v91, s[0:3], 0 offen
	buffer_load_dword v89, v91, s[0:3], 0 offen offset:4
	ds_read_b64 v[92:93], v90
	s_waitcnt vmcnt(0) lgkmcnt(0)
	v_mul_f64 v[88:89], v[88:89], v[92:93]
	s_cbranch_execz .LBB42_454
	s_branch .LBB42_455
.LBB42_453:
                                        ; implicit-def: $vgpr88_vgpr89
.LBB42_454:
	ds_read_b64 v[88:89], v90
.LBB42_455:
	v_cmp_ne_u32_e32 vcc, 4, v0
	s_and_saveexec_b64 s[8:9], vcc
	s_cbranch_execz .LBB42_459
; %bb.456:
	v_mov_b32_e32 v93, 0
	v_add_u32_e32 v92, 0x168, v1
	v_add3_u32 v93, v1, v93, 8
	s_mov_b64 s[10:11], 0
	v_mov_b32_e32 v94, v0
.LBB42_457:                             ; =>This Inner Loop Header: Depth=1
	buffer_load_dword v96, v93, s[0:3], 0 offen
	buffer_load_dword v97, v93, s[0:3], 0 offen offset:4
	ds_read_b64 v[98:99], v92
	v_add_u32_e32 v94, 1, v94
	v_cmp_lt_u32_e32 vcc, 3, v94
	v_add_u32_e32 v92, 8, v92
	v_add_u32_e32 v93, 8, v93
	s_or_b64 s[10:11], vcc, s[10:11]
	s_waitcnt vmcnt(0) lgkmcnt(0)
	v_fmac_f64_e32 v[88:89], v[96:97], v[98:99]
	s_andn2_b64 exec, exec, s[10:11]
	s_cbranch_execnz .LBB42_457
; %bb.458:
	s_or_b64 exec, exec, s[10:11]
.LBB42_459:
	s_or_b64 exec, exec, s[8:9]
	v_mov_b32_e32 v92, 0
	ds_read_b64 v[92:93], v92 offset:40
	s_waitcnt lgkmcnt(0)
	v_mul_f64 v[88:89], v[88:89], v[92:93]
	buffer_store_dword v89, off, s[0:3], 0 offset:44
	buffer_store_dword v88, off, s[0:3], 0 offset:40
.LBB42_460:
	;; [unrolled: 60-line block ×37, first 2 shown]
	s_or_b64 exec, exec, s[6:7]
	buffer_load_dword v88, off, s[0:3], 0 offset:328
	buffer_load_dword v89, off, s[0:3], 0 offset:332
	v_cmp_gt_u32_e64 s[6:7], 41, v0
	s_waitcnt vmcnt(0)
	ds_write_b64 v90, v[88:89]
	s_waitcnt lgkmcnt(0)
	; wave barrier
	s_waitcnt lgkmcnt(0)
	s_and_saveexec_b64 s[8:9], s[6:7]
	s_cbranch_execz .LBB42_820
; %bb.811:
	s_and_b64 vcc, exec, s[4:5]
	s_cbranch_vccnz .LBB42_813
; %bb.812:
	buffer_load_dword v88, v91, s[0:3], 0 offen
	buffer_load_dword v89, v91, s[0:3], 0 offen offset:4
	ds_read_b64 v[92:93], v90
	s_waitcnt vmcnt(0) lgkmcnt(0)
	v_mul_f64 v[88:89], v[88:89], v[92:93]
	s_cbranch_execz .LBB42_814
	s_branch .LBB42_815
.LBB42_813:
                                        ; implicit-def: $vgpr88_vgpr89
.LBB42_814:
	ds_read_b64 v[88:89], v90
.LBB42_815:
	v_cmp_ne_u32_e32 vcc, 40, v0
	s_and_saveexec_b64 s[10:11], vcc
	s_cbranch_execz .LBB42_819
; %bb.816:
	v_mov_b32_e32 v93, 0
	v_add_u32_e32 v92, 0x168, v1
	v_add3_u32 v93, v1, v93, 8
	s_mov_b64 s[12:13], 0
	v_mov_b32_e32 v94, v0
.LBB42_817:                             ; =>This Inner Loop Header: Depth=1
	buffer_load_dword v96, v93, s[0:3], 0 offen
	buffer_load_dword v97, v93, s[0:3], 0 offen offset:4
	ds_read_b64 v[98:99], v92
	v_add_u32_e32 v94, 1, v94
	v_cmp_lt_u32_e32 vcc, 39, v94
	v_add_u32_e32 v92, 8, v92
	v_add_u32_e32 v93, 8, v93
	s_or_b64 s[12:13], vcc, s[12:13]
	s_waitcnt vmcnt(0) lgkmcnt(0)
	v_fmac_f64_e32 v[88:89], v[96:97], v[98:99]
	s_andn2_b64 exec, exec, s[12:13]
	s_cbranch_execnz .LBB42_817
; %bb.818:
	s_or_b64 exec, exec, s[12:13]
.LBB42_819:
	s_or_b64 exec, exec, s[10:11]
	v_mov_b32_e32 v92, 0
	ds_read_b64 v[92:93], v92 offset:328
	s_waitcnt lgkmcnt(0)
	v_mul_f64 v[88:89], v[88:89], v[92:93]
	buffer_store_dword v89, off, s[0:3], 0 offset:332
	buffer_store_dword v88, off, s[0:3], 0 offset:328
.LBB42_820:
	s_or_b64 exec, exec, s[8:9]
	buffer_load_dword v88, off, s[0:3], 0 offset:336
	buffer_load_dword v89, off, s[0:3], 0 offset:340
	v_cmp_ne_u32_e32 vcc, 42, v0
	s_waitcnt vmcnt(0)
	ds_write_b64 v90, v[88:89]
	s_waitcnt lgkmcnt(0)
	; wave barrier
	s_waitcnt lgkmcnt(0)
	s_and_saveexec_b64 s[8:9], vcc
	s_cbranch_execz .LBB42_830
; %bb.821:
	s_and_b64 vcc, exec, s[4:5]
	s_cbranch_vccnz .LBB42_823
; %bb.822:
	buffer_load_dword v88, v91, s[0:3], 0 offen
	buffer_load_dword v89, v91, s[0:3], 0 offen offset:4
	ds_read_b64 v[92:93], v90
	s_waitcnt vmcnt(0) lgkmcnt(0)
	v_mul_f64 v[88:89], v[88:89], v[92:93]
	s_cbranch_execz .LBB42_824
	s_branch .LBB42_825
.LBB42_823:
                                        ; implicit-def: $vgpr88_vgpr89
.LBB42_824:
	ds_read_b64 v[88:89], v90
.LBB42_825:
	s_and_saveexec_b64 s[4:5], s[6:7]
	s_cbranch_execz .LBB42_829
; %bb.826:
	v_mov_b32_e32 v91, 0
	v_add_u32_e32 v90, 0x168, v1
	v_add3_u32 v1, v1, v91, 8
	s_mov_b64 s[6:7], 0
.LBB42_827:                             ; =>This Inner Loop Header: Depth=1
	buffer_load_dword v92, v1, s[0:3], 0 offen
	buffer_load_dword v93, v1, s[0:3], 0 offen offset:4
	ds_read_b64 v[94:95], v90
	v_add_u32_e32 v0, 1, v0
	v_cmp_lt_u32_e32 vcc, 40, v0
	v_add_u32_e32 v90, 8, v90
	v_add_u32_e32 v1, 8, v1
	s_or_b64 s[6:7], vcc, s[6:7]
	s_waitcnt vmcnt(0) lgkmcnt(0)
	v_fmac_f64_e32 v[88:89], v[92:93], v[94:95]
	s_andn2_b64 exec, exec, s[6:7]
	s_cbranch_execnz .LBB42_827
; %bb.828:
	s_or_b64 exec, exec, s[6:7]
.LBB42_829:
	s_or_b64 exec, exec, s[4:5]
	v_mov_b32_e32 v0, 0
	ds_read_b64 v[0:1], v0 offset:336
	s_waitcnt lgkmcnt(0)
	v_mul_f64 v[0:1], v[88:89], v[0:1]
	buffer_store_dword v1, off, s[0:3], 0 offset:340
	buffer_store_dword v0, off, s[0:3], 0 offset:336
.LBB42_830:
	s_or_b64 exec, exec, s[8:9]
.LBB42_831:
	buffer_load_dword v0, off, s[0:3], 0
	buffer_load_dword v1, off, s[0:3], 0 offset:4
	buffer_load_dword v88, off, s[0:3], 0 offset:8
	;; [unrolled: 1-line block ×15, first 2 shown]
	s_waitcnt vmcnt(14)
	global_store_dwordx2 v[2:3], v[0:1], off
	s_waitcnt vmcnt(13)
	global_store_dwordx2 v[4:5], v[88:89], off
	;; [unrolled: 2-line block ×8, first 2 shown]
	buffer_load_dword v1, off, s[0:3], 0 offset:68
	buffer_load_dword v0, off, s[0:3], 0 offset:64
	s_waitcnt vmcnt(0)
	global_store_dwordx2 v[86:87], v[0:1], off
	buffer_load_dword v0, off, s[0:3], 0 offset:72
	s_nop 0
	buffer_load_dword v1, off, s[0:3], 0 offset:76
	s_waitcnt vmcnt(0)
	global_store_dwordx2 v[76:77], v[0:1], off
	buffer_load_dword v0, off, s[0:3], 0 offset:80
	s_nop 0
	;; [unrolled: 5-line block ×34, first 2 shown]
	buffer_load_dword v1, off, s[0:3], 0 offset:340
	s_waitcnt vmcnt(0)
	global_store_dwordx2 v[10:11], v[0:1], off
.LBB42_832:
	s_endpgm
	.section	.rodata,"a",@progbits
	.p2align	6, 0x0
	.amdhsa_kernel _ZN9rocsolver6v33100L18trti2_kernel_smallILi43EdPdEEv13rocblas_fill_17rocblas_diagonal_T1_iil
		.amdhsa_group_segment_fixed_size 696
		.amdhsa_private_segment_fixed_size 352
		.amdhsa_kernarg_size 32
		.amdhsa_user_sgpr_count 8
		.amdhsa_user_sgpr_private_segment_buffer 1
		.amdhsa_user_sgpr_dispatch_ptr 0
		.amdhsa_user_sgpr_queue_ptr 0
		.amdhsa_user_sgpr_kernarg_segment_ptr 1
		.amdhsa_user_sgpr_dispatch_id 0
		.amdhsa_user_sgpr_flat_scratch_init 1
		.amdhsa_user_sgpr_kernarg_preload_length 0
		.amdhsa_user_sgpr_kernarg_preload_offset 0
		.amdhsa_user_sgpr_private_segment_size 0
		.amdhsa_uses_dynamic_stack 0
		.amdhsa_system_sgpr_private_segment_wavefront_offset 1
		.amdhsa_system_sgpr_workgroup_id_x 1
		.amdhsa_system_sgpr_workgroup_id_y 0
		.amdhsa_system_sgpr_workgroup_id_z 0
		.amdhsa_system_sgpr_workgroup_info 0
		.amdhsa_system_vgpr_workitem_id 0
		.amdhsa_next_free_vgpr 168
		.amdhsa_next_free_sgpr 20
		.amdhsa_accum_offset 168
		.amdhsa_reserve_vcc 1
		.amdhsa_reserve_flat_scratch 0
		.amdhsa_float_round_mode_32 0
		.amdhsa_float_round_mode_16_64 0
		.amdhsa_float_denorm_mode_32 3
		.amdhsa_float_denorm_mode_16_64 3
		.amdhsa_dx10_clamp 1
		.amdhsa_ieee_mode 1
		.amdhsa_fp16_overflow 0
		.amdhsa_tg_split 0
		.amdhsa_exception_fp_ieee_invalid_op 0
		.amdhsa_exception_fp_denorm_src 0
		.amdhsa_exception_fp_ieee_div_zero 0
		.amdhsa_exception_fp_ieee_overflow 0
		.amdhsa_exception_fp_ieee_underflow 0
		.amdhsa_exception_fp_ieee_inexact 0
		.amdhsa_exception_int_div_zero 0
	.end_amdhsa_kernel
	.section	.text._ZN9rocsolver6v33100L18trti2_kernel_smallILi43EdPdEEv13rocblas_fill_17rocblas_diagonal_T1_iil,"axG",@progbits,_ZN9rocsolver6v33100L18trti2_kernel_smallILi43EdPdEEv13rocblas_fill_17rocblas_diagonal_T1_iil,comdat
.Lfunc_end42:
	.size	_ZN9rocsolver6v33100L18trti2_kernel_smallILi43EdPdEEv13rocblas_fill_17rocblas_diagonal_T1_iil, .Lfunc_end42-_ZN9rocsolver6v33100L18trti2_kernel_smallILi43EdPdEEv13rocblas_fill_17rocblas_diagonal_T1_iil
                                        ; -- End function
	.section	.AMDGPU.csdata,"",@progbits
; Kernel info:
; codeLenInByte = 25216
; NumSgprs: 24
; NumVgprs: 168
; NumAgprs: 0
; TotalNumVgprs: 168
; ScratchSize: 352
; MemoryBound: 0
; FloatMode: 240
; IeeeMode: 1
; LDSByteSize: 696 bytes/workgroup (compile time only)
; SGPRBlocks: 2
; VGPRBlocks: 20
; NumSGPRsForWavesPerEU: 24
; NumVGPRsForWavesPerEU: 168
; AccumOffset: 168
; Occupancy: 3
; WaveLimiterHint : 0
; COMPUTE_PGM_RSRC2:SCRATCH_EN: 1
; COMPUTE_PGM_RSRC2:USER_SGPR: 8
; COMPUTE_PGM_RSRC2:TRAP_HANDLER: 0
; COMPUTE_PGM_RSRC2:TGID_X_EN: 1
; COMPUTE_PGM_RSRC2:TGID_Y_EN: 0
; COMPUTE_PGM_RSRC2:TGID_Z_EN: 0
; COMPUTE_PGM_RSRC2:TIDIG_COMP_CNT: 0
; COMPUTE_PGM_RSRC3_GFX90A:ACCUM_OFFSET: 41
; COMPUTE_PGM_RSRC3_GFX90A:TG_SPLIT: 0
	.section	.text._ZN9rocsolver6v33100L18trti2_kernel_smallILi44EdPdEEv13rocblas_fill_17rocblas_diagonal_T1_iil,"axG",@progbits,_ZN9rocsolver6v33100L18trti2_kernel_smallILi44EdPdEEv13rocblas_fill_17rocblas_diagonal_T1_iil,comdat
	.globl	_ZN9rocsolver6v33100L18trti2_kernel_smallILi44EdPdEEv13rocblas_fill_17rocblas_diagonal_T1_iil ; -- Begin function _ZN9rocsolver6v33100L18trti2_kernel_smallILi44EdPdEEv13rocblas_fill_17rocblas_diagonal_T1_iil
	.p2align	8
	.type	_ZN9rocsolver6v33100L18trti2_kernel_smallILi44EdPdEEv13rocblas_fill_17rocblas_diagonal_T1_iil,@function
_ZN9rocsolver6v33100L18trti2_kernel_smallILi44EdPdEEv13rocblas_fill_17rocblas_diagonal_T1_iil: ; @_ZN9rocsolver6v33100L18trti2_kernel_smallILi44EdPdEEv13rocblas_fill_17rocblas_diagonal_T1_iil
; %bb.0:
	s_add_u32 s0, s0, s9
	s_addc_u32 s1, s1, 0
	v_cmp_gt_u32_e32 vcc, 44, v0
	s_and_saveexec_b64 s[6:7], vcc
	s_cbranch_execz .LBB43_852
; %bb.1:
	s_load_dwordx8 s[12:19], s[4:5], 0x0
	s_ashr_i32 s6, s8, 31
	v_lshlrev_b32_e32 v1, 3, v0
	v_mov_b32_e32 v133, 0
	s_waitcnt lgkmcnt(0)
	s_mul_i32 s7, s8, s19
	s_mul_hi_u32 s9, s8, s18
	s_add_i32 s7, s9, s7
	s_mul_i32 s6, s6, s18
	s_add_i32 s7, s7, s6
	s_mul_i32 s6, s8, s18
	s_ashr_i32 s5, s16, 31
	s_lshl_b64 s[6:7], s[6:7], 3
	s_mov_b32 s4, s16
	s_add_u32 s6, s14, s6
	s_addc_u32 s7, s15, s7
	s_lshl_b64 s[4:5], s[4:5], 3
	s_add_u32 s4, s6, s4
	s_addc_u32 s5, s7, s5
	v_mov_b32_e32 v3, s5
	v_add_co_u32_e32 v2, vcc, s4, v1
	s_ashr_i32 s7, s17, 31
	s_mov_b32 s6, s17
	v_addc_co_u32_e32 v3, vcc, 0, v3, vcc
	s_lshl_b64 s[6:7], s[6:7], 3
	v_add_co_u32_e32 v4, vcc, s6, v2
	s_add_i32 s6, s17, s17
	v_add_u32_e32 v8, s6, v0
	v_mov_b32_e32 v5, s7
	v_ashrrev_i32_e32 v9, 31, v8
	v_addc_co_u32_e32 v5, vcc, v3, v5, vcc
	v_lshlrev_b64 v[6:7], 3, v[8:9]
	v_add_u32_e32 v10, s17, v8
	v_mov_b32_e32 v9, s5
	v_add_co_u32_e32 v6, vcc, s4, v6
	v_ashrrev_i32_e32 v11, 31, v10
	v_addc_co_u32_e32 v7, vcc, v9, v7, vcc
	v_lshlrev_b64 v[8:9], 3, v[10:11]
	v_mov_b32_e32 v11, s5
	v_add_co_u32_e32 v8, vcc, s4, v8
	global_load_dwordx2 v[16:17], v1, s[4:5]
	v_addc_co_u32_e32 v9, vcc, v11, v9, vcc
	global_load_dwordx2 v[22:23], v[4:5], off
	global_load_dwordx2 v[20:21], v[6:7], off
	;; [unrolled: 1-line block ×3, first 2 shown]
	v_add_u32_e32 v12, s17, v10
	v_ashrrev_i32_e32 v13, 31, v12
	v_lshlrev_b64 v[10:11], 3, v[12:13]
	v_mov_b32_e32 v13, s5
	v_add_co_u32_e32 v10, vcc, s4, v10
	v_addc_co_u32_e32 v11, vcc, v13, v11, vcc
	global_load_dwordx2 v[26:27], v[10:11], off
	v_add_u32_e32 v14, s17, v12
	v_ashrrev_i32_e32 v15, 31, v14
	v_lshlrev_b64 v[12:13], 3, v[14:15]
	v_mov_b32_e32 v15, s5
	v_add_co_u32_e32 v12, vcc, s4, v12
	v_addc_co_u32_e32 v13, vcc, v15, v13, vcc
	global_load_dwordx2 v[24:25], v[12:13], off
	v_add_u32_e32 v28, s17, v14
	v_add_u32_e32 v30, s17, v28
	;; [unrolled: 1-line block ×38, first 2 shown]
	v_ashrrev_i32_e32 v15, 31, v14
	v_lshlrev_b64 v[14:15], 3, v[14:15]
	v_mov_b32_e32 v29, s5
	v_add_co_u32_e32 v14, vcc, s4, v14
	v_addc_co_u32_e32 v15, vcc, v29, v15, vcc
	global_load_dwordx2 v[94:95], v[14:15], off
	v_ashrrev_i32_e32 v29, 31, v28
	s_waitcnt vmcnt(6)
	buffer_store_dword v17, off, s[0:3], 0 offset:4
	buffer_store_dword v16, off, s[0:3], 0
	s_waitcnt vmcnt(7)
	buffer_store_dword v23, off, s[0:3], 0 offset:12
	buffer_store_dword v22, off, s[0:3], 0 offset:8
	s_waitcnt vmcnt(8)
	buffer_store_dword v21, off, s[0:3], 0 offset:20
	buffer_store_dword v20, off, s[0:3], 0 offset:16
	;; [unrolled: 3-line block ×4, first 2 shown]
	v_lshlrev_b64 v[16:17], 3, v[28:29]
	v_mov_b32_e32 v18, s5
	v_add_co_u32_e32 v84, vcc, s4, v16
	v_ashrrev_i32_e32 v31, 31, v30
	v_addc_co_u32_e32 v85, vcc, v18, v17, vcc
	v_lshlrev_b64 v[16:17], 3, v[30:31]
	v_add_co_u32_e32 v86, vcc, s4, v16
	v_ashrrev_i32_e32 v33, 31, v32
	v_addc_co_u32_e32 v87, vcc, v18, v17, vcc
	v_lshlrev_b64 v[16:17], 3, v[32:33]
	;; [unrolled: 4-line block ×7, first 2 shown]
	v_mov_b32_e32 v20, s5
	v_add_co_u32_e32 v64, vcc, s4, v18
	v_ashrrev_i32_e32 v45, 31, v44
	v_addc_co_u32_e32 v65, vcc, v20, v19, vcc
	v_lshlrev_b64 v[18:19], 3, v[44:45]
	v_add_co_u32_e32 v46, vcc, s4, v18
	v_ashrrev_i32_e32 v49, 31, v48
	v_addc_co_u32_e32 v47, vcc, v20, v19, vcc
	v_lshlrev_b64 v[18:19], 3, v[48:49]
	;; [unrolled: 4-line block ×4, first 2 shown]
	v_mov_b32_e32 v22, s5
	v_add_co_u32_e32 v66, vcc, s4, v20
	v_ashrrev_i32_e32 v55, 31, v54
	v_addc_co_u32_e32 v67, vcc, v22, v21, vcc
	v_lshlrev_b64 v[20:21], 3, v[54:55]
	v_add_co_u32_e32 v48, vcc, s4, v20
	v_ashrrev_i32_e32 v57, 31, v56
	v_addc_co_u32_e32 v49, vcc, v22, v21, vcc
	v_lshlrev_b64 v[20:21], 3, v[56:57]
	v_add_co_u32_e32 v32, vcc, s4, v20
	v_ashrrev_i32_e32 v59, 31, v58
	v_addc_co_u32_e32 v33, vcc, v22, v21, vcc
	v_lshlrev_b64 v[20:21], 3, v[58:59]
	v_add_co_u32_e32 v20, vcc, s4, v20
	v_ashrrev_i32_e32 v61, 31, v60
	v_addc_co_u32_e32 v21, vcc, v22, v21, vcc
	v_lshlrev_b64 v[22:23], 3, v[60:61]
	global_load_dwordx2 v[124:125], v[84:85], off
	global_load_dwordx2 v[126:127], v[86:87], off
	;; [unrolled: 1-line block ×3, first 2 shown]
	s_waitcnt vmcnt(14)
	buffer_store_dword v25, off, s[0:3], 0 offset:44
	buffer_store_dword v24, off, s[0:3], 0 offset:40
	v_mov_b32_e32 v24, s5
	v_add_co_u32_e32 v68, vcc, s4, v22
	v_ashrrev_i32_e32 v71, 31, v70
	v_addc_co_u32_e32 v69, vcc, v24, v23, vcc
	v_lshlrev_b64 v[22:23], 3, v[70:71]
	v_add_co_u32_e32 v50, vcc, s4, v22
	v_ashrrev_i32_e32 v73, 31, v72
	v_addc_co_u32_e32 v51, vcc, v24, v23, vcc
	v_lshlrev_b64 v[22:23], 3, v[72:73]
	v_add_co_u32_e32 v34, vcc, s4, v22
	v_ashrrev_i32_e32 v75, 31, v74
	v_addc_co_u32_e32 v35, vcc, v24, v23, vcc
	v_lshlrev_b64 v[22:23], 3, v[74:75]
	v_add_co_u32_e32 v22, vcc, s4, v22
	v_ashrrev_i32_e32 v77, 31, v76
	v_addc_co_u32_e32 v23, vcc, v24, v23, vcc
	v_lshlrev_b64 v[24:25], 3, v[76:77]
	v_mov_b32_e32 v26, s5
	v_add_co_u32_e32 v70, vcc, s4, v24
	v_ashrrev_i32_e32 v79, 31, v78
	v_addc_co_u32_e32 v71, vcc, v26, v25, vcc
	v_lshlrev_b64 v[24:25], 3, v[78:79]
	v_add_co_u32_e32 v52, vcc, s4, v24
	v_ashrrev_i32_e32 v91, 31, v90
	v_addc_co_u32_e32 v53, vcc, v26, v25, vcc
	v_lshlrev_b64 v[24:25], 3, v[90:91]
	v_add_co_u32_e32 v36, vcc, s4, v24
	v_ashrrev_i32_e32 v93, 31, v92
	v_addc_co_u32_e32 v37, vcc, v26, v25, vcc
	v_lshlrev_b64 v[24:25], 3, v[92:93]
	v_add_co_u32_e32 v24, vcc, s4, v24
	v_ashrrev_i32_e32 v97, 31, v96
	v_addc_co_u32_e32 v25, vcc, v26, v25, vcc
	v_lshlrev_b64 v[26:27], 3, v[96:97]
	;; [unrolled: 17-line block ×3, first 2 shown]
	v_mov_b32_e32 v40, s5
	v_add_co_u32_e32 v74, vcc, s4, v28
	v_ashrrev_i32_e32 v107, 31, v106
	v_addc_co_u32_e32 v75, vcc, v40, v29, vcc
	v_lshlrev_b64 v[28:29], 3, v[106:107]
	v_add_co_u32_e32 v56, vcc, s4, v28
	v_ashrrev_i32_e32 v109, 31, v108
	v_addc_co_u32_e32 v57, vcc, v40, v29, vcc
	v_lshlrev_b64 v[28:29], 3, v[108:109]
	v_mov_b32_e32 v41, s5
	v_add_co_u32_e32 v40, vcc, s4, v28
	v_ashrrev_i32_e32 v111, 31, v110
	v_addc_co_u32_e32 v41, vcc, v41, v29, vcc
	v_lshlrev_b64 v[28:29], 3, v[110:111]
	v_mov_b32_e32 v42, s5
	;; [unrolled: 5-line block ×3, first 2 shown]
	v_add_co_u32_e32 v76, vcc, s4, v42
	v_ashrrev_i32_e32 v115, 31, v114
	v_addc_co_u32_e32 v77, vcc, v44, v43, vcc
	v_lshlrev_b64 v[42:43], 3, v[114:115]
	v_add_co_u32_e32 v58, vcc, s4, v42
	v_ashrrev_i32_e32 v117, 31, v116
	v_addc_co_u32_e32 v59, vcc, v44, v43, vcc
	v_lshlrev_b64 v[42:43], 3, v[116:117]
	v_add_co_u32_e32 v42, vcc, s4, v42
	global_load_dwordx2 v[130:131], v[82:83], off
	global_load_dwordx2 v[134:135], v[80:81], off
	;; [unrolled: 1-line block ×28, first 2 shown]
	v_addc_co_u32_e32 v43, vcc, v44, v43, vcc
	global_load_dwordx2 v[112:113], v[76:77], off
	global_load_dwordx2 v[114:115], v[58:59], off
	global_load_dwordx2 v[116:117], v[42:43], off
	v_ashrrev_i32_e32 v119, 31, v118
	v_lshlrev_b64 v[44:45], 3, v[118:119]
	v_mov_b32_e32 v60, s5
	v_add_co_u32_e32 v78, vcc, s4, v44
	v_ashrrev_i32_e32 v121, 31, v120
	v_addc_co_u32_e32 v79, vcc, v60, v45, vcc
	v_lshlrev_b64 v[44:45], 3, v[120:121]
	v_mov_b32_e32 v61, s5
	v_add_co_u32_e32 v60, vcc, s4, v44
	v_ashrrev_i32_e32 v123, 31, v122
	v_addc_co_u32_e32 v61, vcc, v61, v45, vcc
	v_lshlrev_b64 v[44:45], 3, v[122:123]
	v_mov_b32_e32 v118, s5
	v_add_co_u32_e32 v44, vcc, s4, v44
	v_addc_co_u32_e32 v45, vcc, v118, v45, vcc
	global_load_dwordx2 v[118:119], v[78:79], off
	global_load_dwordx2 v[120:121], v[60:61], off
	;; [unrolled: 1-line block ×3, first 2 shown]
	s_cmpk_lg_i32 s13, 0x84
	s_waitcnt vmcnt(38)
	buffer_store_dword v125, off, s[0:3], 0 offset:52
	buffer_store_dword v124, off, s[0:3], 0 offset:48
	s_waitcnt vmcnt(39)
	buffer_store_dword v127, off, s[0:3], 0 offset:60
	buffer_store_dword v126, off, s[0:3], 0 offset:56
	;; [unrolled: 3-line block ×28, first 2 shown]
	buffer_store_dword v106, off, s[0:3], 0 offset:272
	buffer_store_dword v107, off, s[0:3], 0 offset:276
	s_waitcnt vmcnt(62)
	buffer_store_dword v108, off, s[0:3], 0 offset:280
	buffer_store_dword v109, off, s[0:3], 0 offset:284
	;; [unrolled: 1-line block ×8, first 2 shown]
	s_waitcnt vmcnt(62)
	buffer_store_dword v116, off, s[0:3], 0 offset:312
	buffer_store_dword v117, off, s[0:3], 0 offset:316
	buffer_store_dword v118, off, s[0:3], 0 offset:320
	buffer_store_dword v119, off, s[0:3], 0 offset:324
	buffer_store_dword v120, off, s[0:3], 0 offset:328
	buffer_store_dword v121, off, s[0:3], 0 offset:332
	buffer_store_dword v122, off, s[0:3], 0 offset:336
	buffer_store_dword v123, off, s[0:3], 0 offset:340
	buffer_store_dword v95, off, s[0:3], 0 offset:348
	buffer_store_dword v94, off, s[0:3], 0 offset:344
	v_mov_b32_e32 v90, 0
	s_cselect_b64 s[8:9], -1, 0
	s_cmpk_eq_i32 s13, 0x84
	v_mov_b32_e32 v91, 0xbff00000
	s_cbranch_scc1 .LBB43_3
; %bb.2:
	v_lshl_add_u32 v100, v0, 3, v133
	buffer_load_dword v90, v100, s[0:3], 0 offen
	buffer_load_dword v91, v100, s[0:3], 0 offen offset:4
	s_waitcnt vmcnt(0)
	v_div_scale_f64 v[92:93], s[4:5], v[90:91], v[90:91], 1.0
	v_rcp_f64_e32 v[94:95], v[92:93]
	v_div_scale_f64 v[96:97], vcc, 1.0, v[90:91], 1.0
	v_fma_f64 v[98:99], -v[92:93], v[94:95], 1.0
	v_fmac_f64_e32 v[94:95], v[94:95], v[98:99]
	v_fma_f64 v[98:99], -v[92:93], v[94:95], 1.0
	v_fmac_f64_e32 v[94:95], v[94:95], v[98:99]
	v_mul_f64 v[98:99], v[96:97], v[94:95]
	v_fma_f64 v[92:93], -v[92:93], v[98:99], v[96:97]
	v_div_fmas_f64 v[92:93], v[92:93], v[94:95], v[98:99]
	v_div_fixup_f64 v[90:91], v[92:93], v[90:91], 1.0
	buffer_store_dword v90, v100, s[0:3], 0 offen
	buffer_store_dword v91, v100, s[0:3], 0 offen offset:4
	v_xor_b32_e32 v91, 0x80000000, v91
.LBB43_3:
	s_cmpk_eq_i32 s12, 0x79
	v_add_u32_e32 v92, 0x160, v1
	v_add_u32_e32 v93, 0, v1
	s_mov_b64 s[4:5], -1
	ds_write_b64 v1, v[90:91]
	s_cbranch_scc1 .LBB43_427
; %bb.4:
	buffer_load_dword v90, off, s[0:3], 0 offset:336
	buffer_load_dword v91, off, s[0:3], 0 offset:340
	v_cmp_eq_u32_e64 s[4:5], 43, v0
	s_waitcnt vmcnt(0)
	ds_write_b64 v92, v[90:91]
	s_waitcnt lgkmcnt(0)
	; wave barrier
	s_waitcnt lgkmcnt(0)
	s_and_saveexec_b64 s[6:7], s[4:5]
	s_cbranch_execz .LBB43_10
; %bb.5:
	s_and_b64 vcc, exec, s[8:9]
	s_cbranch_vccz .LBB43_7
; %bb.6:
	buffer_load_dword v90, v93, s[0:3], 0 offen
	buffer_load_dword v91, v93, s[0:3], 0 offen offset:4
	ds_read_b64 v[94:95], v92
	s_waitcnt vmcnt(0) lgkmcnt(0)
	v_mul_f64 v[90:91], v[90:91], v[94:95]
	s_cbranch_execz .LBB43_8
	s_branch .LBB43_9
.LBB43_7:
                                        ; implicit-def: $vgpr90_vgpr91
.LBB43_8:
	ds_read_b64 v[90:91], v92
.LBB43_9:
	v_mov_b32_e32 v94, 0
	ds_read_b64 v[94:95], v94 offset:336
	s_waitcnt lgkmcnt(0)
	v_mul_f64 v[90:91], v[90:91], v[94:95]
	buffer_store_dword v91, off, s[0:3], 0 offset:340
	buffer_store_dword v90, off, s[0:3], 0 offset:336
.LBB43_10:
	s_or_b64 exec, exec, s[6:7]
	buffer_load_dword v90, off, s[0:3], 0 offset:328
	buffer_load_dword v91, off, s[0:3], 0 offset:332
	v_or_b32_e32 v94, 8, v133
	v_add_u32_e32 v95, 16, v133
	v_add_u32_e32 v96, 24, v133
	;; [unrolled: 1-line block ×40, first 2 shown]
	v_cmp_lt_u32_e64 s[6:7], 41, v0
	s_waitcnt vmcnt(0)
	ds_write_b64 v92, v[90:91]
	s_waitcnt lgkmcnt(0)
	; wave barrier
	s_waitcnt lgkmcnt(0)
	s_and_saveexec_b64 s[10:11], s[6:7]
	s_cbranch_execz .LBB43_16
; %bb.11:
	s_andn2_b64 vcc, exec, s[8:9]
	s_cbranch_vccnz .LBB43_13
; %bb.12:
	buffer_load_dword v90, v93, s[0:3], 0 offen
	buffer_load_dword v91, v93, s[0:3], 0 offen offset:4
	ds_read_b64 v[136:137], v92
	s_waitcnt vmcnt(0) lgkmcnt(0)
	v_mul_f64 v[90:91], v[90:91], v[136:137]
	s_cbranch_execz .LBB43_14
	s_branch .LBB43_15
.LBB43_13:
                                        ; implicit-def: $vgpr90_vgpr91
.LBB43_14:
	ds_read_b64 v[90:91], v92
.LBB43_15:
	buffer_load_dword v140, off, s[0:3], 0 offset:336
	buffer_load_dword v141, off, s[0:3], 0 offset:340
	v_mov_b32_e32 v135, 0
	ds_read2_b64 v[136:139], v135 offset0:41 offset1:86
	s_waitcnt vmcnt(0) lgkmcnt(0)
	v_fma_f64 v[138:139], v[140:141], v[138:139], v[90:91]
	v_cndmask_b32_e64 v91, v91, v139, s[4:5]
	v_cndmask_b32_e64 v90, v90, v138, s[4:5]
	v_mul_f64 v[90:91], v[90:91], v[136:137]
	buffer_store_dword v91, off, s[0:3], 0 offset:332
	buffer_store_dword v90, off, s[0:3], 0 offset:328
.LBB43_16:
	s_or_b64 exec, exec, s[10:11]
	buffer_load_dword v90, off, s[0:3], 0 offset:320
	buffer_load_dword v91, off, s[0:3], 0 offset:324
	v_cmp_lt_u32_e64 s[4:5], 40, v0
	s_waitcnt vmcnt(0)
	ds_write_b64 v92, v[90:91]
	s_waitcnt lgkmcnt(0)
	; wave barrier
	s_waitcnt lgkmcnt(0)
	s_and_saveexec_b64 s[10:11], s[4:5]
	s_cbranch_execz .LBB43_26
; %bb.17:
	s_andn2_b64 vcc, exec, s[8:9]
	s_cbranch_vccnz .LBB43_19
; %bb.18:
	buffer_load_dword v90, v93, s[0:3], 0 offen
	buffer_load_dword v91, v93, s[0:3], 0 offen offset:4
	ds_read_b64 v[136:137], v92
	s_waitcnt vmcnt(0) lgkmcnt(0)
	v_mul_f64 v[90:91], v[90:91], v[136:137]
	s_cbranch_execz .LBB43_20
	s_branch .LBB43_21
.LBB43_19:
                                        ; implicit-def: $vgpr90_vgpr91
.LBB43_20:
	ds_read_b64 v[90:91], v92
.LBB43_21:
	s_and_saveexec_b64 s[12:13], s[6:7]
	s_cbranch_execz .LBB43_25
; %bb.22:
	v_subrev_u32_e32 v135, 41, v0
	s_movk_i32 s14, 0x2a8
	s_mov_b64 s[6:7], 0
.LBB43_23:                              ; =>This Inner Loop Header: Depth=1
	buffer_load_dword v136, v133, s[0:3], 0 offen
	buffer_load_dword v137, v133, s[0:3], 0 offen offset:4
	v_mov_b32_e32 v138, s14
	ds_read_b64 v[138:139], v138
	v_add_u32_e32 v135, -1, v135
	s_add_i32 s14, s14, 8
	v_cmp_eq_u32_e32 vcc, 0, v135
	v_add_u32_e32 v133, 8, v133
	s_or_b64 s[6:7], vcc, s[6:7]
	s_waitcnt vmcnt(0) lgkmcnt(0)
	v_fmac_f64_e32 v[90:91], v[136:137], v[138:139]
	s_andn2_b64 exec, exec, s[6:7]
	s_cbranch_execnz .LBB43_23
; %bb.24:
	s_or_b64 exec, exec, s[6:7]
.LBB43_25:
	s_or_b64 exec, exec, s[12:13]
	v_mov_b32_e32 v133, 0
	ds_read_b64 v[136:137], v133 offset:320
	s_waitcnt lgkmcnt(0)
	v_mul_f64 v[90:91], v[90:91], v[136:137]
	buffer_store_dword v91, off, s[0:3], 0 offset:324
	buffer_store_dword v90, off, s[0:3], 0 offset:320
.LBB43_26:
	s_or_b64 exec, exec, s[10:11]
	buffer_load_dword v90, off, s[0:3], 0 offset:312
	buffer_load_dword v91, off, s[0:3], 0 offset:316
	v_cmp_lt_u32_e64 s[6:7], 39, v0
	s_waitcnt vmcnt(0)
	ds_write_b64 v92, v[90:91]
	s_waitcnt lgkmcnt(0)
	; wave barrier
	s_waitcnt lgkmcnt(0)
	s_and_saveexec_b64 s[10:11], s[6:7]
	s_cbranch_execz .LBB43_36
; %bb.27:
	s_andn2_b64 vcc, exec, s[8:9]
	s_cbranch_vccnz .LBB43_29
; %bb.28:
	buffer_load_dword v90, v93, s[0:3], 0 offen
	buffer_load_dword v91, v93, s[0:3], 0 offen offset:4
	ds_read_b64 v[136:137], v92
	s_waitcnt vmcnt(0) lgkmcnt(0)
	v_mul_f64 v[90:91], v[90:91], v[136:137]
	s_cbranch_execz .LBB43_30
	s_branch .LBB43_31
.LBB43_29:
                                        ; implicit-def: $vgpr90_vgpr91
.LBB43_30:
	ds_read_b64 v[90:91], v92
.LBB43_31:
	s_and_saveexec_b64 s[12:13], s[4:5]
	s_cbranch_execz .LBB43_35
; %bb.32:
	v_subrev_u32_e32 v133, 40, v0
	s_movk_i32 s14, 0x2a0
	s_mov_b64 s[4:5], 0
.LBB43_33:                              ; =>This Inner Loop Header: Depth=1
	buffer_load_dword v136, v134, s[0:3], 0 offen
	buffer_load_dword v137, v134, s[0:3], 0 offen offset:4
	v_mov_b32_e32 v135, s14
	ds_read_b64 v[138:139], v135
	v_add_u32_e32 v133, -1, v133
	s_add_i32 s14, s14, 8
	v_cmp_eq_u32_e32 vcc, 0, v133
	v_add_u32_e32 v134, 8, v134
	s_or_b64 s[4:5], vcc, s[4:5]
	s_waitcnt vmcnt(0) lgkmcnt(0)
	v_fmac_f64_e32 v[90:91], v[136:137], v[138:139]
	s_andn2_b64 exec, exec, s[4:5]
	s_cbranch_execnz .LBB43_33
; %bb.34:
	s_or_b64 exec, exec, s[4:5]
.LBB43_35:
	s_or_b64 exec, exec, s[12:13]
	v_mov_b32_e32 v133, 0
	ds_read_b64 v[134:135], v133 offset:312
	s_waitcnt lgkmcnt(0)
	v_mul_f64 v[90:91], v[90:91], v[134:135]
	buffer_store_dword v91, off, s[0:3], 0 offset:316
	buffer_store_dword v90, off, s[0:3], 0 offset:312
.LBB43_36:
	s_or_b64 exec, exec, s[10:11]
	buffer_load_dword v90, off, s[0:3], 0 offset:304
	buffer_load_dword v91, off, s[0:3], 0 offset:308
	v_cmp_lt_u32_e64 s[4:5], 38, v0
	s_waitcnt vmcnt(0)
	ds_write_b64 v92, v[90:91]
	s_waitcnt lgkmcnt(0)
	; wave barrier
	s_waitcnt lgkmcnt(0)
	s_and_saveexec_b64 s[10:11], s[4:5]
	s_cbranch_execz .LBB43_46
; %bb.37:
	s_andn2_b64 vcc, exec, s[8:9]
	s_cbranch_vccnz .LBB43_39
; %bb.38:
	buffer_load_dword v90, v93, s[0:3], 0 offen
	buffer_load_dword v91, v93, s[0:3], 0 offen offset:4
	ds_read_b64 v[134:135], v92
	s_waitcnt vmcnt(0) lgkmcnt(0)
	v_mul_f64 v[90:91], v[90:91], v[134:135]
	s_cbranch_execz .LBB43_40
	s_branch .LBB43_41
.LBB43_39:
                                        ; implicit-def: $vgpr90_vgpr91
.LBB43_40:
	ds_read_b64 v[90:91], v92
.LBB43_41:
	s_and_saveexec_b64 s[12:13], s[6:7]
	s_cbranch_execz .LBB43_45
; %bb.42:
	v_subrev_u32_e32 v133, 39, v0
	s_movk_i32 s14, 0x298
	s_mov_b64 s[6:7], 0
.LBB43_43:                              ; =>This Inner Loop Header: Depth=1
	buffer_load_dword v134, v132, s[0:3], 0 offen
	buffer_load_dword v135, v132, s[0:3], 0 offen offset:4
	v_mov_b32_e32 v136, s14
	ds_read_b64 v[136:137], v136
	v_add_u32_e32 v133, -1, v133
	s_add_i32 s14, s14, 8
	v_cmp_eq_u32_e32 vcc, 0, v133
	v_add_u32_e32 v132, 8, v132
	s_or_b64 s[6:7], vcc, s[6:7]
	s_waitcnt vmcnt(0) lgkmcnt(0)
	v_fmac_f64_e32 v[90:91], v[134:135], v[136:137]
	s_andn2_b64 exec, exec, s[6:7]
	s_cbranch_execnz .LBB43_43
; %bb.44:
	s_or_b64 exec, exec, s[6:7]
.LBB43_45:
	s_or_b64 exec, exec, s[12:13]
	v_mov_b32_e32 v132, 0
	ds_read_b64 v[132:133], v132 offset:304
	s_waitcnt lgkmcnt(0)
	v_mul_f64 v[90:91], v[90:91], v[132:133]
	buffer_store_dword v91, off, s[0:3], 0 offset:308
	buffer_store_dword v90, off, s[0:3], 0 offset:304
.LBB43_46:
	s_or_b64 exec, exec, s[10:11]
	buffer_load_dword v90, off, s[0:3], 0 offset:296
	buffer_load_dword v91, off, s[0:3], 0 offset:300
	v_cmp_lt_u32_e64 s[6:7], 37, v0
	s_waitcnt vmcnt(0)
	ds_write_b64 v92, v[90:91]
	s_waitcnt lgkmcnt(0)
	; wave barrier
	s_waitcnt lgkmcnt(0)
	s_and_saveexec_b64 s[10:11], s[6:7]
	s_cbranch_execz .LBB43_56
; %bb.47:
	s_andn2_b64 vcc, exec, s[8:9]
	s_cbranch_vccnz .LBB43_49
; %bb.48:
	buffer_load_dword v90, v93, s[0:3], 0 offen
	buffer_load_dword v91, v93, s[0:3], 0 offen offset:4
	ds_read_b64 v[132:133], v92
	s_waitcnt vmcnt(0) lgkmcnt(0)
	v_mul_f64 v[90:91], v[90:91], v[132:133]
	s_cbranch_execz .LBB43_50
	s_branch .LBB43_51
.LBB43_49:
                                        ; implicit-def: $vgpr90_vgpr91
.LBB43_50:
	ds_read_b64 v[90:91], v92
.LBB43_51:
	s_and_saveexec_b64 s[12:13], s[4:5]
	s_cbranch_execz .LBB43_55
; %bb.52:
	v_subrev_u32_e32 v132, 38, v0
	s_movk_i32 s14, 0x290
	s_mov_b64 s[4:5], 0
.LBB43_53:                              ; =>This Inner Loop Header: Depth=1
	buffer_load_dword v134, v131, s[0:3], 0 offen
	buffer_load_dword v135, v131, s[0:3], 0 offen offset:4
	v_mov_b32_e32 v133, s14
	ds_read_b64 v[136:137], v133
	v_add_u32_e32 v132, -1, v132
	s_add_i32 s14, s14, 8
	v_cmp_eq_u32_e32 vcc, 0, v132
	v_add_u32_e32 v131, 8, v131
	s_or_b64 s[4:5], vcc, s[4:5]
	s_waitcnt vmcnt(0) lgkmcnt(0)
	v_fmac_f64_e32 v[90:91], v[134:135], v[136:137]
	s_andn2_b64 exec, exec, s[4:5]
	s_cbranch_execnz .LBB43_53
; %bb.54:
	s_or_b64 exec, exec, s[4:5]
.LBB43_55:
	s_or_b64 exec, exec, s[12:13]
	v_mov_b32_e32 v131, 0
	ds_read_b64 v[132:133], v131 offset:296
	s_waitcnt lgkmcnt(0)
	v_mul_f64 v[90:91], v[90:91], v[132:133]
	buffer_store_dword v91, off, s[0:3], 0 offset:300
	buffer_store_dword v90, off, s[0:3], 0 offset:296
.LBB43_56:
	s_or_b64 exec, exec, s[10:11]
	buffer_load_dword v90, off, s[0:3], 0 offset:288
	buffer_load_dword v91, off, s[0:3], 0 offset:292
	v_cmp_lt_u32_e64 s[4:5], 36, v0
	s_waitcnt vmcnt(0)
	ds_write_b64 v92, v[90:91]
	s_waitcnt lgkmcnt(0)
	; wave barrier
	s_waitcnt lgkmcnt(0)
	s_and_saveexec_b64 s[10:11], s[4:5]
	s_cbranch_execz .LBB43_66
; %bb.57:
	s_andn2_b64 vcc, exec, s[8:9]
	s_cbranch_vccnz .LBB43_59
; %bb.58:
	buffer_load_dword v90, v93, s[0:3], 0 offen
	buffer_load_dword v91, v93, s[0:3], 0 offen offset:4
	ds_read_b64 v[132:133], v92
	s_waitcnt vmcnt(0) lgkmcnt(0)
	v_mul_f64 v[90:91], v[90:91], v[132:133]
	s_cbranch_execz .LBB43_60
	s_branch .LBB43_61
.LBB43_59:
                                        ; implicit-def: $vgpr90_vgpr91
.LBB43_60:
	ds_read_b64 v[90:91], v92
.LBB43_61:
	s_and_saveexec_b64 s[12:13], s[6:7]
	s_cbranch_execz .LBB43_65
; %bb.62:
	v_subrev_u32_e32 v131, 37, v0
	s_movk_i32 s14, 0x288
	s_mov_b64 s[6:7], 0
.LBB43_63:                              ; =>This Inner Loop Header: Depth=1
	buffer_load_dword v132, v130, s[0:3], 0 offen
	buffer_load_dword v133, v130, s[0:3], 0 offen offset:4
	v_mov_b32_e32 v134, s14
	ds_read_b64 v[134:135], v134
	v_add_u32_e32 v131, -1, v131
	s_add_i32 s14, s14, 8
	v_cmp_eq_u32_e32 vcc, 0, v131
	v_add_u32_e32 v130, 8, v130
	s_or_b64 s[6:7], vcc, s[6:7]
	s_waitcnt vmcnt(0) lgkmcnt(0)
	v_fmac_f64_e32 v[90:91], v[132:133], v[134:135]
	s_andn2_b64 exec, exec, s[6:7]
	s_cbranch_execnz .LBB43_63
; %bb.64:
	s_or_b64 exec, exec, s[6:7]
.LBB43_65:
	s_or_b64 exec, exec, s[12:13]
	v_mov_b32_e32 v130, 0
	ds_read_b64 v[130:131], v130 offset:288
	s_waitcnt lgkmcnt(0)
	v_mul_f64 v[90:91], v[90:91], v[130:131]
	buffer_store_dword v91, off, s[0:3], 0 offset:292
	buffer_store_dword v90, off, s[0:3], 0 offset:288
.LBB43_66:
	s_or_b64 exec, exec, s[10:11]
	buffer_load_dword v90, off, s[0:3], 0 offset:280
	buffer_load_dword v91, off, s[0:3], 0 offset:284
	v_cmp_lt_u32_e64 s[6:7], 35, v0
	s_waitcnt vmcnt(0)
	ds_write_b64 v92, v[90:91]
	s_waitcnt lgkmcnt(0)
	; wave barrier
	s_waitcnt lgkmcnt(0)
	s_and_saveexec_b64 s[10:11], s[6:7]
	s_cbranch_execz .LBB43_76
; %bb.67:
	s_andn2_b64 vcc, exec, s[8:9]
	s_cbranch_vccnz .LBB43_69
; %bb.68:
	buffer_load_dword v90, v93, s[0:3], 0 offen
	buffer_load_dword v91, v93, s[0:3], 0 offen offset:4
	ds_read_b64 v[130:131], v92
	s_waitcnt vmcnt(0) lgkmcnt(0)
	v_mul_f64 v[90:91], v[90:91], v[130:131]
	s_cbranch_execz .LBB43_70
	s_branch .LBB43_71
.LBB43_69:
                                        ; implicit-def: $vgpr90_vgpr91
.LBB43_70:
	ds_read_b64 v[90:91], v92
.LBB43_71:
	s_and_saveexec_b64 s[12:13], s[4:5]
	s_cbranch_execz .LBB43_75
; %bb.72:
	v_subrev_u32_e32 v130, 36, v0
	s_movk_i32 s14, 0x280
	s_mov_b64 s[4:5], 0
.LBB43_73:                              ; =>This Inner Loop Header: Depth=1
	buffer_load_dword v132, v129, s[0:3], 0 offen
	buffer_load_dword v133, v129, s[0:3], 0 offen offset:4
	v_mov_b32_e32 v131, s14
	ds_read_b64 v[134:135], v131
	v_add_u32_e32 v130, -1, v130
	s_add_i32 s14, s14, 8
	v_cmp_eq_u32_e32 vcc, 0, v130
	v_add_u32_e32 v129, 8, v129
	s_or_b64 s[4:5], vcc, s[4:5]
	s_waitcnt vmcnt(0) lgkmcnt(0)
	v_fmac_f64_e32 v[90:91], v[132:133], v[134:135]
	s_andn2_b64 exec, exec, s[4:5]
	s_cbranch_execnz .LBB43_73
; %bb.74:
	s_or_b64 exec, exec, s[4:5]
.LBB43_75:
	s_or_b64 exec, exec, s[12:13]
	v_mov_b32_e32 v129, 0
	ds_read_b64 v[130:131], v129 offset:280
	s_waitcnt lgkmcnt(0)
	v_mul_f64 v[90:91], v[90:91], v[130:131]
	buffer_store_dword v91, off, s[0:3], 0 offset:284
	buffer_store_dword v90, off, s[0:3], 0 offset:280
.LBB43_76:
	s_or_b64 exec, exec, s[10:11]
	buffer_load_dword v90, off, s[0:3], 0 offset:272
	buffer_load_dword v91, off, s[0:3], 0 offset:276
	v_cmp_lt_u32_e64 s[4:5], 34, v0
	s_waitcnt vmcnt(0)
	ds_write_b64 v92, v[90:91]
	s_waitcnt lgkmcnt(0)
	; wave barrier
	s_waitcnt lgkmcnt(0)
	s_and_saveexec_b64 s[10:11], s[4:5]
	s_cbranch_execz .LBB43_86
; %bb.77:
	s_andn2_b64 vcc, exec, s[8:9]
	s_cbranch_vccnz .LBB43_79
; %bb.78:
	buffer_load_dword v90, v93, s[0:3], 0 offen
	buffer_load_dword v91, v93, s[0:3], 0 offen offset:4
	ds_read_b64 v[130:131], v92
	s_waitcnt vmcnt(0) lgkmcnt(0)
	v_mul_f64 v[90:91], v[90:91], v[130:131]
	s_cbranch_execz .LBB43_80
	s_branch .LBB43_81
.LBB43_79:
                                        ; implicit-def: $vgpr90_vgpr91
.LBB43_80:
	ds_read_b64 v[90:91], v92
.LBB43_81:
	s_and_saveexec_b64 s[12:13], s[6:7]
	s_cbranch_execz .LBB43_85
; %bb.82:
	v_subrev_u32_e32 v129, 35, v0
	s_movk_i32 s14, 0x278
	s_mov_b64 s[6:7], 0
.LBB43_83:                              ; =>This Inner Loop Header: Depth=1
	buffer_load_dword v130, v128, s[0:3], 0 offen
	buffer_load_dword v131, v128, s[0:3], 0 offen offset:4
	v_mov_b32_e32 v132, s14
	ds_read_b64 v[132:133], v132
	v_add_u32_e32 v129, -1, v129
	s_add_i32 s14, s14, 8
	v_cmp_eq_u32_e32 vcc, 0, v129
	v_add_u32_e32 v128, 8, v128
	s_or_b64 s[6:7], vcc, s[6:7]
	s_waitcnt vmcnt(0) lgkmcnt(0)
	v_fmac_f64_e32 v[90:91], v[130:131], v[132:133]
	s_andn2_b64 exec, exec, s[6:7]
	s_cbranch_execnz .LBB43_83
; %bb.84:
	s_or_b64 exec, exec, s[6:7]
.LBB43_85:
	s_or_b64 exec, exec, s[12:13]
	v_mov_b32_e32 v128, 0
	ds_read_b64 v[128:129], v128 offset:272
	s_waitcnt lgkmcnt(0)
	v_mul_f64 v[90:91], v[90:91], v[128:129]
	buffer_store_dword v91, off, s[0:3], 0 offset:276
	buffer_store_dword v90, off, s[0:3], 0 offset:272
.LBB43_86:
	s_or_b64 exec, exec, s[10:11]
	buffer_load_dword v90, off, s[0:3], 0 offset:264
	buffer_load_dword v91, off, s[0:3], 0 offset:268
	v_cmp_lt_u32_e64 s[6:7], 33, v0
	s_waitcnt vmcnt(0)
	ds_write_b64 v92, v[90:91]
	s_waitcnt lgkmcnt(0)
	; wave barrier
	s_waitcnt lgkmcnt(0)
	s_and_saveexec_b64 s[10:11], s[6:7]
	s_cbranch_execz .LBB43_96
; %bb.87:
	s_andn2_b64 vcc, exec, s[8:9]
	s_cbranch_vccnz .LBB43_89
; %bb.88:
	buffer_load_dword v90, v93, s[0:3], 0 offen
	buffer_load_dword v91, v93, s[0:3], 0 offen offset:4
	ds_read_b64 v[128:129], v92
	s_waitcnt vmcnt(0) lgkmcnt(0)
	v_mul_f64 v[90:91], v[90:91], v[128:129]
	s_cbranch_execz .LBB43_90
	s_branch .LBB43_91
.LBB43_89:
                                        ; implicit-def: $vgpr90_vgpr91
.LBB43_90:
	ds_read_b64 v[90:91], v92
.LBB43_91:
	s_and_saveexec_b64 s[12:13], s[4:5]
	s_cbranch_execz .LBB43_95
; %bb.92:
	v_subrev_u32_e32 v128, 34, v0
	s_movk_i32 s14, 0x270
	s_mov_b64 s[4:5], 0
.LBB43_93:                              ; =>This Inner Loop Header: Depth=1
	buffer_load_dword v130, v127, s[0:3], 0 offen
	buffer_load_dword v131, v127, s[0:3], 0 offen offset:4
	v_mov_b32_e32 v129, s14
	ds_read_b64 v[132:133], v129
	v_add_u32_e32 v128, -1, v128
	s_add_i32 s14, s14, 8
	v_cmp_eq_u32_e32 vcc, 0, v128
	v_add_u32_e32 v127, 8, v127
	s_or_b64 s[4:5], vcc, s[4:5]
	s_waitcnt vmcnt(0) lgkmcnt(0)
	v_fmac_f64_e32 v[90:91], v[130:131], v[132:133]
	s_andn2_b64 exec, exec, s[4:5]
	s_cbranch_execnz .LBB43_93
; %bb.94:
	s_or_b64 exec, exec, s[4:5]
.LBB43_95:
	s_or_b64 exec, exec, s[12:13]
	v_mov_b32_e32 v127, 0
	ds_read_b64 v[128:129], v127 offset:264
	s_waitcnt lgkmcnt(0)
	v_mul_f64 v[90:91], v[90:91], v[128:129]
	buffer_store_dword v91, off, s[0:3], 0 offset:268
	buffer_store_dword v90, off, s[0:3], 0 offset:264
.LBB43_96:
	s_or_b64 exec, exec, s[10:11]
	buffer_load_dword v90, off, s[0:3], 0 offset:256
	buffer_load_dword v91, off, s[0:3], 0 offset:260
	v_cmp_lt_u32_e64 s[4:5], 32, v0
	s_waitcnt vmcnt(0)
	ds_write_b64 v92, v[90:91]
	s_waitcnt lgkmcnt(0)
	; wave barrier
	s_waitcnt lgkmcnt(0)
	s_and_saveexec_b64 s[10:11], s[4:5]
	s_cbranch_execz .LBB43_106
; %bb.97:
	s_andn2_b64 vcc, exec, s[8:9]
	s_cbranch_vccnz .LBB43_99
; %bb.98:
	buffer_load_dword v90, v93, s[0:3], 0 offen
	buffer_load_dword v91, v93, s[0:3], 0 offen offset:4
	ds_read_b64 v[128:129], v92
	s_waitcnt vmcnt(0) lgkmcnt(0)
	v_mul_f64 v[90:91], v[90:91], v[128:129]
	s_cbranch_execz .LBB43_100
	s_branch .LBB43_101
.LBB43_99:
                                        ; implicit-def: $vgpr90_vgpr91
.LBB43_100:
	ds_read_b64 v[90:91], v92
.LBB43_101:
	s_and_saveexec_b64 s[12:13], s[6:7]
	s_cbranch_execz .LBB43_105
; %bb.102:
	v_subrev_u32_e32 v127, 33, v0
	s_movk_i32 s14, 0x268
	s_mov_b64 s[6:7], 0
.LBB43_103:                             ; =>This Inner Loop Header: Depth=1
	buffer_load_dword v128, v126, s[0:3], 0 offen
	buffer_load_dword v129, v126, s[0:3], 0 offen offset:4
	v_mov_b32_e32 v130, s14
	ds_read_b64 v[130:131], v130
	v_add_u32_e32 v127, -1, v127
	s_add_i32 s14, s14, 8
	v_cmp_eq_u32_e32 vcc, 0, v127
	v_add_u32_e32 v126, 8, v126
	s_or_b64 s[6:7], vcc, s[6:7]
	s_waitcnt vmcnt(0) lgkmcnt(0)
	v_fmac_f64_e32 v[90:91], v[128:129], v[130:131]
	s_andn2_b64 exec, exec, s[6:7]
	s_cbranch_execnz .LBB43_103
; %bb.104:
	s_or_b64 exec, exec, s[6:7]
.LBB43_105:
	s_or_b64 exec, exec, s[12:13]
	v_mov_b32_e32 v126, 0
	ds_read_b64 v[126:127], v126 offset:256
	s_waitcnt lgkmcnt(0)
	v_mul_f64 v[90:91], v[90:91], v[126:127]
	buffer_store_dword v91, off, s[0:3], 0 offset:260
	buffer_store_dword v90, off, s[0:3], 0 offset:256
.LBB43_106:
	s_or_b64 exec, exec, s[10:11]
	buffer_load_dword v90, off, s[0:3], 0 offset:248
	buffer_load_dword v91, off, s[0:3], 0 offset:252
	v_cmp_lt_u32_e64 s[6:7], 31, v0
	s_waitcnt vmcnt(0)
	ds_write_b64 v92, v[90:91]
	s_waitcnt lgkmcnt(0)
	; wave barrier
	s_waitcnt lgkmcnt(0)
	s_and_saveexec_b64 s[10:11], s[6:7]
	s_cbranch_execz .LBB43_116
; %bb.107:
	s_andn2_b64 vcc, exec, s[8:9]
	s_cbranch_vccnz .LBB43_109
; %bb.108:
	buffer_load_dword v90, v93, s[0:3], 0 offen
	buffer_load_dword v91, v93, s[0:3], 0 offen offset:4
	ds_read_b64 v[126:127], v92
	s_waitcnt vmcnt(0) lgkmcnt(0)
	v_mul_f64 v[90:91], v[90:91], v[126:127]
	s_cbranch_execz .LBB43_110
	s_branch .LBB43_111
.LBB43_109:
                                        ; implicit-def: $vgpr90_vgpr91
.LBB43_110:
	ds_read_b64 v[90:91], v92
.LBB43_111:
	s_and_saveexec_b64 s[12:13], s[4:5]
	s_cbranch_execz .LBB43_115
; %bb.112:
	v_subrev_u32_e32 v126, 32, v0
	s_movk_i32 s14, 0x260
	s_mov_b64 s[4:5], 0
.LBB43_113:                             ; =>This Inner Loop Header: Depth=1
	buffer_load_dword v128, v125, s[0:3], 0 offen
	buffer_load_dword v129, v125, s[0:3], 0 offen offset:4
	v_mov_b32_e32 v127, s14
	ds_read_b64 v[130:131], v127
	v_add_u32_e32 v126, -1, v126
	s_add_i32 s14, s14, 8
	v_cmp_eq_u32_e32 vcc, 0, v126
	v_add_u32_e32 v125, 8, v125
	s_or_b64 s[4:5], vcc, s[4:5]
	s_waitcnt vmcnt(0) lgkmcnt(0)
	v_fmac_f64_e32 v[90:91], v[128:129], v[130:131]
	s_andn2_b64 exec, exec, s[4:5]
	s_cbranch_execnz .LBB43_113
; %bb.114:
	s_or_b64 exec, exec, s[4:5]
.LBB43_115:
	s_or_b64 exec, exec, s[12:13]
	v_mov_b32_e32 v125, 0
	ds_read_b64 v[126:127], v125 offset:248
	s_waitcnt lgkmcnt(0)
	v_mul_f64 v[90:91], v[90:91], v[126:127]
	buffer_store_dword v91, off, s[0:3], 0 offset:252
	buffer_store_dword v90, off, s[0:3], 0 offset:248
.LBB43_116:
	;; [unrolled: 58-line block ×17, first 2 shown]
	s_or_b64 exec, exec, s[10:11]
	buffer_load_dword v90, off, s[0:3], 0 offset:120
	buffer_load_dword v91, off, s[0:3], 0 offset:124
	v_cmp_lt_u32_e64 s[6:7], 15, v0
	s_waitcnt vmcnt(0)
	ds_write_b64 v92, v[90:91]
	s_waitcnt lgkmcnt(0)
	; wave barrier
	s_waitcnt lgkmcnt(0)
	s_and_saveexec_b64 s[10:11], s[6:7]
	s_cbranch_execz .LBB43_276
; %bb.267:
	s_andn2_b64 vcc, exec, s[8:9]
	s_cbranch_vccnz .LBB43_269
; %bb.268:
	buffer_load_dword v90, v93, s[0:3], 0 offen
	buffer_load_dword v91, v93, s[0:3], 0 offen offset:4
	ds_read_b64 v[110:111], v92
	s_waitcnt vmcnt(0) lgkmcnt(0)
	v_mul_f64 v[90:91], v[90:91], v[110:111]
	s_cbranch_execz .LBB43_270
	s_branch .LBB43_271
.LBB43_269:
                                        ; implicit-def: $vgpr90_vgpr91
.LBB43_270:
	ds_read_b64 v[90:91], v92
.LBB43_271:
	s_and_saveexec_b64 s[12:13], s[4:5]
	s_cbranch_execz .LBB43_275
; %bb.272:
	v_add_u32_e32 v110, -16, v0
	s_movk_i32 s14, 0x1e0
	s_mov_b64 s[4:5], 0
.LBB43_273:                             ; =>This Inner Loop Header: Depth=1
	buffer_load_dword v112, v109, s[0:3], 0 offen
	buffer_load_dword v113, v109, s[0:3], 0 offen offset:4
	v_mov_b32_e32 v111, s14
	ds_read_b64 v[114:115], v111
	v_add_u32_e32 v110, -1, v110
	s_add_i32 s14, s14, 8
	v_cmp_eq_u32_e32 vcc, 0, v110
	v_add_u32_e32 v109, 8, v109
	s_or_b64 s[4:5], vcc, s[4:5]
	s_waitcnt vmcnt(0) lgkmcnt(0)
	v_fmac_f64_e32 v[90:91], v[112:113], v[114:115]
	s_andn2_b64 exec, exec, s[4:5]
	s_cbranch_execnz .LBB43_273
; %bb.274:
	s_or_b64 exec, exec, s[4:5]
.LBB43_275:
	s_or_b64 exec, exec, s[12:13]
	v_mov_b32_e32 v109, 0
	ds_read_b64 v[110:111], v109 offset:120
	s_waitcnt lgkmcnt(0)
	v_mul_f64 v[90:91], v[90:91], v[110:111]
	buffer_store_dword v91, off, s[0:3], 0 offset:124
	buffer_store_dword v90, off, s[0:3], 0 offset:120
.LBB43_276:
	s_or_b64 exec, exec, s[10:11]
	buffer_load_dword v90, off, s[0:3], 0 offset:112
	buffer_load_dword v91, off, s[0:3], 0 offset:116
	v_cmp_lt_u32_e64 s[4:5], 14, v0
	s_waitcnt vmcnt(0)
	ds_write_b64 v92, v[90:91]
	s_waitcnt lgkmcnt(0)
	; wave barrier
	s_waitcnt lgkmcnt(0)
	s_and_saveexec_b64 s[10:11], s[4:5]
	s_cbranch_execz .LBB43_286
; %bb.277:
	s_andn2_b64 vcc, exec, s[8:9]
	s_cbranch_vccnz .LBB43_279
; %bb.278:
	buffer_load_dword v90, v93, s[0:3], 0 offen
	buffer_load_dword v91, v93, s[0:3], 0 offen offset:4
	ds_read_b64 v[110:111], v92
	s_waitcnt vmcnt(0) lgkmcnt(0)
	v_mul_f64 v[90:91], v[90:91], v[110:111]
	s_cbranch_execz .LBB43_280
	s_branch .LBB43_281
.LBB43_279:
                                        ; implicit-def: $vgpr90_vgpr91
.LBB43_280:
	ds_read_b64 v[90:91], v92
.LBB43_281:
	s_and_saveexec_b64 s[12:13], s[6:7]
	s_cbranch_execz .LBB43_285
; %bb.282:
	v_add_u32_e32 v109, -15, v0
	s_movk_i32 s14, 0x1d8
	s_mov_b64 s[6:7], 0
.LBB43_283:                             ; =>This Inner Loop Header: Depth=1
	buffer_load_dword v110, v108, s[0:3], 0 offen
	buffer_load_dword v111, v108, s[0:3], 0 offen offset:4
	v_mov_b32_e32 v112, s14
	ds_read_b64 v[112:113], v112
	v_add_u32_e32 v109, -1, v109
	s_add_i32 s14, s14, 8
	v_cmp_eq_u32_e32 vcc, 0, v109
	v_add_u32_e32 v108, 8, v108
	s_or_b64 s[6:7], vcc, s[6:7]
	s_waitcnt vmcnt(0) lgkmcnt(0)
	v_fmac_f64_e32 v[90:91], v[110:111], v[112:113]
	s_andn2_b64 exec, exec, s[6:7]
	s_cbranch_execnz .LBB43_283
; %bb.284:
	s_or_b64 exec, exec, s[6:7]
.LBB43_285:
	s_or_b64 exec, exec, s[12:13]
	v_mov_b32_e32 v108, 0
	ds_read_b64 v[108:109], v108 offset:112
	s_waitcnt lgkmcnt(0)
	v_mul_f64 v[90:91], v[90:91], v[108:109]
	buffer_store_dword v91, off, s[0:3], 0 offset:116
	buffer_store_dword v90, off, s[0:3], 0 offset:112
.LBB43_286:
	;; [unrolled: 58-line block ×15, first 2 shown]
	s_or_b64 exec, exec, s[10:11]
	buffer_load_dword v90, off, s[0:3], 0
	buffer_load_dword v91, off, s[0:3], 0 offset:4
	v_cmp_ne_u32_e32 vcc, 0, v0
	s_waitcnt vmcnt(0)
	ds_write_b64 v92, v[90:91]
	s_waitcnt lgkmcnt(0)
	; wave barrier
	s_waitcnt lgkmcnt(0)
	s_and_saveexec_b64 s[4:5], vcc
	s_cbranch_execz .LBB43_426
; %bb.417:
	s_andn2_b64 vcc, exec, s[8:9]
	s_cbranch_vccnz .LBB43_419
; %bb.418:
	buffer_load_dword v90, v93, s[0:3], 0 offen
	buffer_load_dword v91, v93, s[0:3], 0 offen offset:4
	ds_read_b64 v[96:97], v92
	s_waitcnt vmcnt(0) lgkmcnt(0)
	v_mul_f64 v[90:91], v[90:91], v[96:97]
	s_cbranch_execz .LBB43_420
	s_branch .LBB43_421
.LBB43_419:
                                        ; implicit-def: $vgpr90_vgpr91
.LBB43_420:
	ds_read_b64 v[90:91], v92
.LBB43_421:
	s_and_saveexec_b64 s[10:11], s[6:7]
	s_cbranch_execz .LBB43_425
; %bb.422:
	v_add_u32_e32 v95, -1, v0
	s_movk_i32 s12, 0x168
	s_mov_b64 s[6:7], 0
.LBB43_423:                             ; =>This Inner Loop Header: Depth=1
	buffer_load_dword v96, v94, s[0:3], 0 offen
	buffer_load_dword v97, v94, s[0:3], 0 offen offset:4
	v_mov_b32_e32 v98, s12
	ds_read_b64 v[98:99], v98
	v_add_u32_e32 v95, -1, v95
	s_add_i32 s12, s12, 8
	v_cmp_eq_u32_e32 vcc, 0, v95
	v_add_u32_e32 v94, 8, v94
	s_or_b64 s[6:7], vcc, s[6:7]
	s_waitcnt vmcnt(0) lgkmcnt(0)
	v_fmac_f64_e32 v[90:91], v[96:97], v[98:99]
	s_andn2_b64 exec, exec, s[6:7]
	s_cbranch_execnz .LBB43_423
; %bb.424:
	s_or_b64 exec, exec, s[6:7]
.LBB43_425:
	s_or_b64 exec, exec, s[10:11]
	v_mov_b32_e32 v94, 0
	ds_read_b64 v[94:95], v94
	s_waitcnt lgkmcnt(0)
	v_mul_f64 v[90:91], v[90:91], v[94:95]
	buffer_store_dword v91, off, s[0:3], 0 offset:4
	buffer_store_dword v90, off, s[0:3], 0
.LBB43_426:
	s_or_b64 exec, exec, s[4:5]
	s_mov_b64 s[4:5], 0
.LBB43_427:
	s_and_b64 vcc, exec, s[4:5]
	s_cbranch_vccz .LBB43_851
; %bb.428:
	buffer_load_dword v90, off, s[0:3], 0 offset:8
	buffer_load_dword v91, off, s[0:3], 0 offset:12
	v_cmp_eq_u32_e64 s[6:7], 0, v0
	s_waitcnt vmcnt(0)
	ds_write_b64 v92, v[90:91]
	s_waitcnt lgkmcnt(0)
	; wave barrier
	s_waitcnt lgkmcnt(0)
	s_and_saveexec_b64 s[4:5], s[6:7]
	s_cbranch_execz .LBB43_434
; %bb.429:
	s_and_b64 vcc, exec, s[8:9]
	s_cbranch_vccz .LBB43_431
; %bb.430:
	buffer_load_dword v90, v93, s[0:3], 0 offen
	buffer_load_dword v91, v93, s[0:3], 0 offen offset:4
	ds_read_b64 v[94:95], v92
	s_waitcnt vmcnt(0) lgkmcnt(0)
	v_mul_f64 v[90:91], v[90:91], v[94:95]
	s_cbranch_execz .LBB43_432
	s_branch .LBB43_433
.LBB43_431:
                                        ; implicit-def: $vgpr90_vgpr91
.LBB43_432:
	ds_read_b64 v[90:91], v92
.LBB43_433:
	v_mov_b32_e32 v94, 0
	ds_read_b64 v[94:95], v94 offset:8
	s_waitcnt lgkmcnt(0)
	v_mul_f64 v[90:91], v[90:91], v[94:95]
	buffer_store_dword v91, off, s[0:3], 0 offset:12
	buffer_store_dword v90, off, s[0:3], 0 offset:8
.LBB43_434:
	s_or_b64 exec, exec, s[4:5]
	buffer_load_dword v90, off, s[0:3], 0 offset:16
	buffer_load_dword v91, off, s[0:3], 0 offset:20
	v_cndmask_b32_e64 v94, 0, 1, s[8:9]
	v_cmp_gt_u32_e32 vcc, 2, v0
	v_cmp_ne_u32_e64 s[4:5], 1, v94
	s_waitcnt vmcnt(0)
	ds_write_b64 v92, v[90:91]
	s_waitcnt lgkmcnt(0)
	; wave barrier
	s_waitcnt lgkmcnt(0)
	s_and_saveexec_b64 s[8:9], vcc
	s_cbranch_execz .LBB43_442
; %bb.435:
	s_and_b64 vcc, exec, s[4:5]
	s_cbranch_vccnz .LBB43_437
; %bb.436:
	buffer_load_dword v90, v93, s[0:3], 0 offen
	buffer_load_dword v91, v93, s[0:3], 0 offen offset:4
	ds_read_b64 v[94:95], v92
	s_waitcnt vmcnt(0) lgkmcnt(0)
	v_mul_f64 v[90:91], v[90:91], v[94:95]
	s_cbranch_execz .LBB43_438
	s_branch .LBB43_439
.LBB43_437:
                                        ; implicit-def: $vgpr90_vgpr91
.LBB43_438:
	ds_read_b64 v[90:91], v92
.LBB43_439:
	s_and_saveexec_b64 s[10:11], s[6:7]
	s_cbranch_execz .LBB43_441
; %bb.440:
	buffer_load_dword v94, v93, s[0:3], 0 offen offset:8
	buffer_load_dword v95, v93, s[0:3], 0 offen offset:12
	ds_read_b64 v[96:97], v92 offset:8
	s_waitcnt vmcnt(0) lgkmcnt(0)
	v_fmac_f64_e32 v[90:91], v[94:95], v[96:97]
.LBB43_441:
	s_or_b64 exec, exec, s[10:11]
	v_mov_b32_e32 v94, 0
	ds_read_b64 v[94:95], v94 offset:16
	s_waitcnt lgkmcnt(0)
	v_mul_f64 v[90:91], v[90:91], v[94:95]
	buffer_store_dword v91, off, s[0:3], 0 offset:20
	buffer_store_dword v90, off, s[0:3], 0 offset:16
.LBB43_442:
	s_or_b64 exec, exec, s[8:9]
	buffer_load_dword v90, off, s[0:3], 0 offset:24
	buffer_load_dword v91, off, s[0:3], 0 offset:28
	v_cmp_gt_u32_e32 vcc, 3, v0
	s_waitcnt vmcnt(0)
	ds_write_b64 v92, v[90:91]
	s_waitcnt lgkmcnt(0)
	; wave barrier
	s_waitcnt lgkmcnt(0)
	s_and_saveexec_b64 s[8:9], vcc
	s_cbranch_execz .LBB43_450
; %bb.443:
	s_and_b64 vcc, exec, s[4:5]
	s_cbranch_vccnz .LBB43_445
; %bb.444:
	buffer_load_dword v90, v93, s[0:3], 0 offen
	buffer_load_dword v91, v93, s[0:3], 0 offen offset:4
	ds_read_b64 v[94:95], v92
	s_waitcnt vmcnt(0) lgkmcnt(0)
	v_mul_f64 v[90:91], v[90:91], v[94:95]
	s_cbranch_execz .LBB43_446
	s_branch .LBB43_447
.LBB43_445:
                                        ; implicit-def: $vgpr90_vgpr91
.LBB43_446:
	ds_read_b64 v[90:91], v92
.LBB43_447:
	v_cmp_ne_u32_e32 vcc, 2, v0
	s_and_saveexec_b64 s[10:11], vcc
	s_cbranch_execz .LBB43_449
; %bb.448:
	buffer_load_dword v95, v93, s[0:3], 0 offen offset:12
	buffer_load_dword v96, off, s[0:3], 0 offset:16
	buffer_load_dword v94, v93, s[0:3], 0 offen offset:8
	buffer_load_dword v97, off, s[0:3], 0 offset:20
	v_mov_b32_e32 v100, 0
	ds_read_b64 v[98:99], v92 offset:8
	ds_read_b64 v[100:101], v100 offset:368
	s_waitcnt vmcnt(1) lgkmcnt(1)
	v_fmac_f64_e32 v[90:91], v[94:95], v[98:99]
	s_waitcnt vmcnt(0) lgkmcnt(0)
	v_fma_f64 v[94:95], v[96:97], v[100:101], v[90:91]
	v_cndmask_b32_e64 v91, v91, v95, s[6:7]
	v_cndmask_b32_e64 v90, v90, v94, s[6:7]
.LBB43_449:
	s_or_b64 exec, exec, s[10:11]
	v_mov_b32_e32 v94, 0
	ds_read_b64 v[94:95], v94 offset:24
	s_waitcnt lgkmcnt(0)
	v_mul_f64 v[90:91], v[90:91], v[94:95]
	buffer_store_dword v91, off, s[0:3], 0 offset:28
	buffer_store_dword v90, off, s[0:3], 0 offset:24
.LBB43_450:
	s_or_b64 exec, exec, s[8:9]
	buffer_load_dword v90, off, s[0:3], 0 offset:32
	buffer_load_dword v91, off, s[0:3], 0 offset:36
	v_cmp_gt_u32_e32 vcc, 4, v0
	s_waitcnt vmcnt(0)
	ds_write_b64 v92, v[90:91]
	s_waitcnt lgkmcnt(0)
	; wave barrier
	s_waitcnt lgkmcnt(0)
	s_and_saveexec_b64 s[6:7], vcc
	s_cbranch_execz .LBB43_460
; %bb.451:
	s_and_b64 vcc, exec, s[4:5]
	s_cbranch_vccnz .LBB43_453
; %bb.452:
	buffer_load_dword v90, v93, s[0:3], 0 offen
	buffer_load_dword v91, v93, s[0:3], 0 offen offset:4
	ds_read_b64 v[94:95], v92
	s_waitcnt vmcnt(0) lgkmcnt(0)
	v_mul_f64 v[90:91], v[90:91], v[94:95]
	s_cbranch_execz .LBB43_454
	s_branch .LBB43_455
.LBB43_453:
                                        ; implicit-def: $vgpr90_vgpr91
.LBB43_454:
	ds_read_b64 v[90:91], v92
.LBB43_455:
	v_cmp_ne_u32_e32 vcc, 3, v0
	s_and_saveexec_b64 s[8:9], vcc
	s_cbranch_execz .LBB43_459
; %bb.456:
	v_mov_b32_e32 v95, 0
	v_add_u32_e32 v94, 0x168, v1
	v_add3_u32 v95, v1, v95, 8
	s_mov_b64 s[10:11], 0
	v_mov_b32_e32 v96, v0
.LBB43_457:                             ; =>This Inner Loop Header: Depth=1
	buffer_load_dword v98, v95, s[0:3], 0 offen
	buffer_load_dword v99, v95, s[0:3], 0 offen offset:4
	ds_read_b64 v[100:101], v94
	v_add_u32_e32 v96, 1, v96
	v_cmp_lt_u32_e32 vcc, 2, v96
	v_add_u32_e32 v94, 8, v94
	v_add_u32_e32 v95, 8, v95
	s_or_b64 s[10:11], vcc, s[10:11]
	s_waitcnt vmcnt(0) lgkmcnt(0)
	v_fmac_f64_e32 v[90:91], v[98:99], v[100:101]
	s_andn2_b64 exec, exec, s[10:11]
	s_cbranch_execnz .LBB43_457
; %bb.458:
	s_or_b64 exec, exec, s[10:11]
.LBB43_459:
	s_or_b64 exec, exec, s[8:9]
	v_mov_b32_e32 v94, 0
	ds_read_b64 v[94:95], v94 offset:32
	s_waitcnt lgkmcnt(0)
	v_mul_f64 v[90:91], v[90:91], v[94:95]
	buffer_store_dword v91, off, s[0:3], 0 offset:36
	buffer_store_dword v90, off, s[0:3], 0 offset:32
.LBB43_460:
	s_or_b64 exec, exec, s[6:7]
	buffer_load_dword v90, off, s[0:3], 0 offset:40
	buffer_load_dword v91, off, s[0:3], 0 offset:44
	v_cmp_gt_u32_e32 vcc, 5, v0
	s_waitcnt vmcnt(0)
	ds_write_b64 v92, v[90:91]
	s_waitcnt lgkmcnt(0)
	; wave barrier
	s_waitcnt lgkmcnt(0)
	s_and_saveexec_b64 s[6:7], vcc
	s_cbranch_execz .LBB43_470
; %bb.461:
	s_and_b64 vcc, exec, s[4:5]
	s_cbranch_vccnz .LBB43_463
; %bb.462:
	buffer_load_dword v90, v93, s[0:3], 0 offen
	buffer_load_dword v91, v93, s[0:3], 0 offen offset:4
	ds_read_b64 v[94:95], v92
	s_waitcnt vmcnt(0) lgkmcnt(0)
	v_mul_f64 v[90:91], v[90:91], v[94:95]
	s_cbranch_execz .LBB43_464
	s_branch .LBB43_465
.LBB43_463:
                                        ; implicit-def: $vgpr90_vgpr91
.LBB43_464:
	ds_read_b64 v[90:91], v92
.LBB43_465:
	v_cmp_ne_u32_e32 vcc, 4, v0
	s_and_saveexec_b64 s[8:9], vcc
	s_cbranch_execz .LBB43_469
; %bb.466:
	v_mov_b32_e32 v95, 0
	v_add_u32_e32 v94, 0x168, v1
	v_add3_u32 v95, v1, v95, 8
	s_mov_b64 s[10:11], 0
	v_mov_b32_e32 v96, v0
.LBB43_467:                             ; =>This Inner Loop Header: Depth=1
	buffer_load_dword v98, v95, s[0:3], 0 offen
	buffer_load_dword v99, v95, s[0:3], 0 offen offset:4
	ds_read_b64 v[100:101], v94
	v_add_u32_e32 v96, 1, v96
	v_cmp_lt_u32_e32 vcc, 3, v96
	v_add_u32_e32 v94, 8, v94
	v_add_u32_e32 v95, 8, v95
	s_or_b64 s[10:11], vcc, s[10:11]
	s_waitcnt vmcnt(0) lgkmcnt(0)
	v_fmac_f64_e32 v[90:91], v[98:99], v[100:101]
	s_andn2_b64 exec, exec, s[10:11]
	s_cbranch_execnz .LBB43_467
; %bb.468:
	s_or_b64 exec, exec, s[10:11]
.LBB43_469:
	s_or_b64 exec, exec, s[8:9]
	v_mov_b32_e32 v94, 0
	ds_read_b64 v[94:95], v94 offset:40
	s_waitcnt lgkmcnt(0)
	v_mul_f64 v[90:91], v[90:91], v[94:95]
	buffer_store_dword v91, off, s[0:3], 0 offset:44
	buffer_store_dword v90, off, s[0:3], 0 offset:40
.LBB43_470:
	;; [unrolled: 60-line block ×38, first 2 shown]
	s_or_b64 exec, exec, s[6:7]
	buffer_load_dword v90, off, s[0:3], 0 offset:336
	buffer_load_dword v91, off, s[0:3], 0 offset:340
	v_cmp_gt_u32_e64 s[6:7], 42, v0
	s_waitcnt vmcnt(0)
	ds_write_b64 v92, v[90:91]
	s_waitcnt lgkmcnt(0)
	; wave barrier
	s_waitcnt lgkmcnt(0)
	s_and_saveexec_b64 s[8:9], s[6:7]
	s_cbranch_execz .LBB43_840
; %bb.831:
	s_and_b64 vcc, exec, s[4:5]
	s_cbranch_vccnz .LBB43_833
; %bb.832:
	buffer_load_dword v90, v93, s[0:3], 0 offen
	buffer_load_dword v91, v93, s[0:3], 0 offen offset:4
	ds_read_b64 v[94:95], v92
	s_waitcnt vmcnt(0) lgkmcnt(0)
	v_mul_f64 v[90:91], v[90:91], v[94:95]
	s_cbranch_execz .LBB43_834
	s_branch .LBB43_835
.LBB43_833:
                                        ; implicit-def: $vgpr90_vgpr91
.LBB43_834:
	ds_read_b64 v[90:91], v92
.LBB43_835:
	v_cmp_ne_u32_e32 vcc, 41, v0
	s_and_saveexec_b64 s[10:11], vcc
	s_cbranch_execz .LBB43_839
; %bb.836:
	v_mov_b32_e32 v95, 0
	v_add_u32_e32 v94, 0x168, v1
	v_add3_u32 v95, v1, v95, 8
	s_mov_b64 s[12:13], 0
	v_mov_b32_e32 v96, v0
.LBB43_837:                             ; =>This Inner Loop Header: Depth=1
	buffer_load_dword v98, v95, s[0:3], 0 offen
	buffer_load_dword v99, v95, s[0:3], 0 offen offset:4
	ds_read_b64 v[100:101], v94
	v_add_u32_e32 v96, 1, v96
	v_cmp_lt_u32_e32 vcc, 40, v96
	v_add_u32_e32 v94, 8, v94
	v_add_u32_e32 v95, 8, v95
	s_or_b64 s[12:13], vcc, s[12:13]
	s_waitcnt vmcnt(0) lgkmcnt(0)
	v_fmac_f64_e32 v[90:91], v[98:99], v[100:101]
	s_andn2_b64 exec, exec, s[12:13]
	s_cbranch_execnz .LBB43_837
; %bb.838:
	s_or_b64 exec, exec, s[12:13]
.LBB43_839:
	s_or_b64 exec, exec, s[10:11]
	v_mov_b32_e32 v94, 0
	ds_read_b64 v[94:95], v94 offset:336
	s_waitcnt lgkmcnt(0)
	v_mul_f64 v[90:91], v[90:91], v[94:95]
	buffer_store_dword v91, off, s[0:3], 0 offset:340
	buffer_store_dword v90, off, s[0:3], 0 offset:336
.LBB43_840:
	s_or_b64 exec, exec, s[8:9]
	buffer_load_dword v90, off, s[0:3], 0 offset:344
	buffer_load_dword v91, off, s[0:3], 0 offset:348
	v_cmp_ne_u32_e32 vcc, 43, v0
	s_waitcnt vmcnt(0)
	ds_write_b64 v92, v[90:91]
	s_waitcnt lgkmcnt(0)
	; wave barrier
	s_waitcnt lgkmcnt(0)
	s_and_saveexec_b64 s[8:9], vcc
	s_cbranch_execz .LBB43_850
; %bb.841:
	s_and_b64 vcc, exec, s[4:5]
	s_cbranch_vccnz .LBB43_843
; %bb.842:
	buffer_load_dword v90, v93, s[0:3], 0 offen
	buffer_load_dword v91, v93, s[0:3], 0 offen offset:4
	ds_read_b64 v[94:95], v92
	s_waitcnt vmcnt(0) lgkmcnt(0)
	v_mul_f64 v[90:91], v[90:91], v[94:95]
	s_cbranch_execz .LBB43_844
	s_branch .LBB43_845
.LBB43_843:
                                        ; implicit-def: $vgpr90_vgpr91
.LBB43_844:
	ds_read_b64 v[90:91], v92
.LBB43_845:
	s_and_saveexec_b64 s[4:5], s[6:7]
	s_cbranch_execz .LBB43_849
; %bb.846:
	v_mov_b32_e32 v93, 0
	v_add_u32_e32 v92, 0x168, v1
	v_add3_u32 v1, v1, v93, 8
	s_mov_b64 s[6:7], 0
.LBB43_847:                             ; =>This Inner Loop Header: Depth=1
	buffer_load_dword v94, v1, s[0:3], 0 offen
	buffer_load_dword v95, v1, s[0:3], 0 offen offset:4
	ds_read_b64 v[96:97], v92
	v_add_u32_e32 v0, 1, v0
	v_cmp_lt_u32_e32 vcc, 41, v0
	v_add_u32_e32 v92, 8, v92
	v_add_u32_e32 v1, 8, v1
	s_or_b64 s[6:7], vcc, s[6:7]
	s_waitcnt vmcnt(0) lgkmcnt(0)
	v_fmac_f64_e32 v[90:91], v[94:95], v[96:97]
	s_andn2_b64 exec, exec, s[6:7]
	s_cbranch_execnz .LBB43_847
; %bb.848:
	s_or_b64 exec, exec, s[6:7]
.LBB43_849:
	s_or_b64 exec, exec, s[4:5]
	v_mov_b32_e32 v0, 0
	ds_read_b64 v[0:1], v0 offset:344
	s_waitcnt lgkmcnt(0)
	v_mul_f64 v[0:1], v[90:91], v[0:1]
	buffer_store_dword v1, off, s[0:3], 0 offset:348
	buffer_store_dword v0, off, s[0:3], 0 offset:344
.LBB43_850:
	s_or_b64 exec, exec, s[8:9]
.LBB43_851:
	buffer_load_dword v0, off, s[0:3], 0
	buffer_load_dword v1, off, s[0:3], 0 offset:4
	buffer_load_dword v90, off, s[0:3], 0 offset:8
	;; [unrolled: 1-line block ×15, first 2 shown]
	s_waitcnt vmcnt(14)
	global_store_dwordx2 v[2:3], v[0:1], off
	s_waitcnt vmcnt(13)
	global_store_dwordx2 v[4:5], v[90:91], off
	;; [unrolled: 2-line block ×8, first 2 shown]
	buffer_load_dword v1, off, s[0:3], 0 offset:68
	buffer_load_dword v0, off, s[0:3], 0 offset:64
	s_waitcnt vmcnt(0)
	global_store_dwordx2 v[88:89], v[0:1], off
	buffer_load_dword v0, off, s[0:3], 0 offset:72
	s_nop 0
	buffer_load_dword v1, off, s[0:3], 0 offset:76
	s_waitcnt vmcnt(0)
	global_store_dwordx2 v[82:83], v[0:1], off
	buffer_load_dword v0, off, s[0:3], 0 offset:80
	s_nop 0
	;; [unrolled: 5-line block ×35, first 2 shown]
	buffer_load_dword v1, off, s[0:3], 0 offset:348
	s_waitcnt vmcnt(0)
	global_store_dwordx2 v[14:15], v[0:1], off
.LBB43_852:
	s_endpgm
	.section	.rodata,"a",@progbits
	.p2align	6, 0x0
	.amdhsa_kernel _ZN9rocsolver6v33100L18trti2_kernel_smallILi44EdPdEEv13rocblas_fill_17rocblas_diagonal_T1_iil
		.amdhsa_group_segment_fixed_size 704
		.amdhsa_private_segment_fixed_size 368
		.amdhsa_kernarg_size 32
		.amdhsa_user_sgpr_count 8
		.amdhsa_user_sgpr_private_segment_buffer 1
		.amdhsa_user_sgpr_dispatch_ptr 0
		.amdhsa_user_sgpr_queue_ptr 0
		.amdhsa_user_sgpr_kernarg_segment_ptr 1
		.amdhsa_user_sgpr_dispatch_id 0
		.amdhsa_user_sgpr_flat_scratch_init 1
		.amdhsa_user_sgpr_kernarg_preload_length 0
		.amdhsa_user_sgpr_kernarg_preload_offset 0
		.amdhsa_user_sgpr_private_segment_size 0
		.amdhsa_uses_dynamic_stack 0
		.amdhsa_system_sgpr_private_segment_wavefront_offset 1
		.amdhsa_system_sgpr_workgroup_id_x 1
		.amdhsa_system_sgpr_workgroup_id_y 0
		.amdhsa_system_sgpr_workgroup_id_z 0
		.amdhsa_system_sgpr_workgroup_info 0
		.amdhsa_system_vgpr_workitem_id 0
		.amdhsa_next_free_vgpr 168
		.amdhsa_next_free_sgpr 20
		.amdhsa_accum_offset 168
		.amdhsa_reserve_vcc 1
		.amdhsa_reserve_flat_scratch 0
		.amdhsa_float_round_mode_32 0
		.amdhsa_float_round_mode_16_64 0
		.amdhsa_float_denorm_mode_32 3
		.amdhsa_float_denorm_mode_16_64 3
		.amdhsa_dx10_clamp 1
		.amdhsa_ieee_mode 1
		.amdhsa_fp16_overflow 0
		.amdhsa_tg_split 0
		.amdhsa_exception_fp_ieee_invalid_op 0
		.amdhsa_exception_fp_denorm_src 0
		.amdhsa_exception_fp_ieee_div_zero 0
		.amdhsa_exception_fp_ieee_overflow 0
		.amdhsa_exception_fp_ieee_underflow 0
		.amdhsa_exception_fp_ieee_inexact 0
		.amdhsa_exception_int_div_zero 0
	.end_amdhsa_kernel
	.section	.text._ZN9rocsolver6v33100L18trti2_kernel_smallILi44EdPdEEv13rocblas_fill_17rocblas_diagonal_T1_iil,"axG",@progbits,_ZN9rocsolver6v33100L18trti2_kernel_smallILi44EdPdEEv13rocblas_fill_17rocblas_diagonal_T1_iil,comdat
.Lfunc_end43:
	.size	_ZN9rocsolver6v33100L18trti2_kernel_smallILi44EdPdEEv13rocblas_fill_17rocblas_diagonal_T1_iil, .Lfunc_end43-_ZN9rocsolver6v33100L18trti2_kernel_smallILi44EdPdEEv13rocblas_fill_17rocblas_diagonal_T1_iil
                                        ; -- End function
	.section	.AMDGPU.csdata,"",@progbits
; Kernel info:
; codeLenInByte = 25828
; NumSgprs: 24
; NumVgprs: 168
; NumAgprs: 0
; TotalNumVgprs: 168
; ScratchSize: 368
; MemoryBound: 0
; FloatMode: 240
; IeeeMode: 1
; LDSByteSize: 704 bytes/workgroup (compile time only)
; SGPRBlocks: 2
; VGPRBlocks: 20
; NumSGPRsForWavesPerEU: 24
; NumVGPRsForWavesPerEU: 168
; AccumOffset: 168
; Occupancy: 3
; WaveLimiterHint : 0
; COMPUTE_PGM_RSRC2:SCRATCH_EN: 1
; COMPUTE_PGM_RSRC2:USER_SGPR: 8
; COMPUTE_PGM_RSRC2:TRAP_HANDLER: 0
; COMPUTE_PGM_RSRC2:TGID_X_EN: 1
; COMPUTE_PGM_RSRC2:TGID_Y_EN: 0
; COMPUTE_PGM_RSRC2:TGID_Z_EN: 0
; COMPUTE_PGM_RSRC2:TIDIG_COMP_CNT: 0
; COMPUTE_PGM_RSRC3_GFX90A:ACCUM_OFFSET: 41
; COMPUTE_PGM_RSRC3_GFX90A:TG_SPLIT: 0
	.section	.text._ZN9rocsolver6v33100L18trti2_kernel_smallILi45EdPdEEv13rocblas_fill_17rocblas_diagonal_T1_iil,"axG",@progbits,_ZN9rocsolver6v33100L18trti2_kernel_smallILi45EdPdEEv13rocblas_fill_17rocblas_diagonal_T1_iil,comdat
	.globl	_ZN9rocsolver6v33100L18trti2_kernel_smallILi45EdPdEEv13rocblas_fill_17rocblas_diagonal_T1_iil ; -- Begin function _ZN9rocsolver6v33100L18trti2_kernel_smallILi45EdPdEEv13rocblas_fill_17rocblas_diagonal_T1_iil
	.p2align	8
	.type	_ZN9rocsolver6v33100L18trti2_kernel_smallILi45EdPdEEv13rocblas_fill_17rocblas_diagonal_T1_iil,@function
_ZN9rocsolver6v33100L18trti2_kernel_smallILi45EdPdEEv13rocblas_fill_17rocblas_diagonal_T1_iil: ; @_ZN9rocsolver6v33100L18trti2_kernel_smallILi45EdPdEEv13rocblas_fill_17rocblas_diagonal_T1_iil
; %bb.0:
	s_add_u32 s0, s0, s9
	s_addc_u32 s1, s1, 0
	v_cmp_gt_u32_e32 vcc, 45, v0
	s_and_saveexec_b64 s[6:7], vcc
	s_cbranch_execz .LBB44_872
; %bb.1:
	s_load_dwordx8 s[12:19], s[4:5], 0x0
	s_ashr_i32 s6, s8, 31
	v_lshlrev_b32_e32 v1, 3, v0
	s_waitcnt lgkmcnt(0)
	s_mul_i32 s7, s8, s19
	s_mul_hi_u32 s9, s8, s18
	s_add_i32 s7, s9, s7
	s_mul_i32 s6, s6, s18
	s_add_i32 s7, s7, s6
	s_mul_i32 s6, s8, s18
	s_ashr_i32 s5, s16, 31
	s_lshl_b64 s[6:7], s[6:7], 3
	s_mov_b32 s4, s16
	s_add_u32 s6, s14, s6
	s_addc_u32 s7, s15, s7
	s_lshl_b64 s[4:5], s[4:5], 3
	s_add_u32 s4, s6, s4
	s_addc_u32 s5, s7, s5
	v_mov_b32_e32 v3, s5
	v_add_co_u32_e32 v2, vcc, s4, v1
	s_ashr_i32 s7, s17, 31
	s_mov_b32 s6, s17
	v_addc_co_u32_e32 v3, vcc, 0, v3, vcc
	s_lshl_b64 s[6:7], s[6:7], 3
	v_add_co_u32_e32 v4, vcc, s6, v2
	s_add_i32 s6, s17, s17
	v_add_u32_e32 v8, s6, v0
	v_mov_b32_e32 v5, s7
	v_ashrrev_i32_e32 v9, 31, v8
	v_addc_co_u32_e32 v5, vcc, v3, v5, vcc
	v_lshlrev_b64 v[6:7], 3, v[8:9]
	v_add_u32_e32 v10, s17, v8
	v_mov_b32_e32 v9, s5
	v_add_co_u32_e32 v6, vcc, s4, v6
	v_ashrrev_i32_e32 v11, 31, v10
	v_addc_co_u32_e32 v7, vcc, v9, v7, vcc
	v_lshlrev_b64 v[8:9], 3, v[10:11]
	v_add_u32_e32 v12, s17, v10
	v_mov_b32_e32 v11, s5
	v_add_co_u32_e32 v8, vcc, s4, v8
	v_ashrrev_i32_e32 v13, 31, v12
	v_addc_co_u32_e32 v9, vcc, v11, v9, vcc
	v_lshlrev_b64 v[10:11], 3, v[12:13]
	v_mov_b32_e32 v13, s5
	v_add_co_u32_e32 v10, vcc, s4, v10
	global_load_dwordx2 v[18:19], v1, s[4:5]
	v_addc_co_u32_e32 v11, vcc, v13, v11, vcc
	global_load_dwordx2 v[20:21], v[4:5], off
	global_load_dwordx2 v[22:23], v[6:7], off
	;; [unrolled: 1-line block ×4, first 2 shown]
	v_add_u32_e32 v14, s17, v12
	v_ashrrev_i32_e32 v15, 31, v14
	v_lshlrev_b64 v[12:13], 3, v[14:15]
	v_add_u32_e32 v16, s17, v14
	v_mov_b32_e32 v15, s5
	v_add_co_u32_e32 v12, vcc, s4, v12
	v_ashrrev_i32_e32 v17, 31, v16
	v_addc_co_u32_e32 v13, vcc, v15, v13, vcc
	v_lshlrev_b64 v[14:15], 3, v[16:17]
	v_mov_b32_e32 v17, s5
	v_add_co_u32_e32 v14, vcc, s4, v14
	v_add_u32_e32 v32, s17, v16
	v_addc_co_u32_e32 v15, vcc, v17, v15, vcc
	global_load_dwordx2 v[28:29], v[12:13], off
	global_load_dwordx2 v[30:31], v[14:15], off
	v_ashrrev_i32_e32 v33, 31, v32
	v_lshlrev_b64 v[16:17], 3, v[32:33]
	v_mov_b32_e32 v33, s5
	v_add_co_u32_e32 v16, vcc, s4, v16
	v_addc_co_u32_e32 v17, vcc, v33, v17, vcc
	global_load_dwordx2 v[34:35], v[16:17], off
	v_add_u32_e32 v32, s17, v32
	v_ashrrev_i32_e32 v33, 31, v32
	v_lshlrev_b64 v[36:37], 3, v[32:33]
	v_mov_b32_e32 v160, s5
	s_cmpk_lg_i32 s13, 0x84
	s_cselect_b64 s[8:9], -1, 0
	s_cmpk_eq_i32 s13, 0x84
	s_waitcnt vmcnt(7)
	buffer_store_dword v19, off, s[0:3], 0 offset:4
	buffer_store_dword v18, off, s[0:3], 0
	s_waitcnt vmcnt(8)
	buffer_store_dword v21, off, s[0:3], 0 offset:12
	buffer_store_dword v20, off, s[0:3], 0 offset:8
	s_waitcnt vmcnt(9)
	buffer_store_dword v23, off, s[0:3], 0 offset:20
	buffer_store_dword v22, off, s[0:3], 0 offset:16
	;; [unrolled: 3-line block ×4, first 2 shown]
	v_add_u32_e32 v22, s17, v32
	v_mov_b32_e32 v18, s5
	v_add_co_u32_e32 v20, vcc, s4, v36
	v_ashrrev_i32_e32 v23, 31, v22
	v_addc_co_u32_e32 v21, vcc, v18, v37, vcc
	v_lshlrev_b64 v[18:19], 3, v[22:23]
	v_add_u32_e32 v24, s17, v22
	v_mov_b32_e32 v23, s5
	v_add_co_u32_e32 v18, vcc, s4, v18
	v_ashrrev_i32_e32 v25, 31, v24
	v_addc_co_u32_e32 v19, vcc, v23, v19, vcc
	v_lshlrev_b64 v[22:23], 3, v[24:25]
	v_add_u32_e32 v26, s17, v24
	v_mov_b32_e32 v25, s5
	v_add_co_u32_e32 v22, vcc, s4, v22
	v_ashrrev_i32_e32 v27, 31, v26
	global_load_dwordx2 v[100:101], v[20:21], off
	s_waitcnt vmcnt(13)
	buffer_store_dword v29, off, s[0:3], 0 offset:44
	buffer_store_dword v28, off, s[0:3], 0 offset:40
	s_waitcnt vmcnt(14)
	buffer_store_dword v31, off, s[0:3], 0 offset:52
	buffer_store_dword v30, off, s[0:3], 0 offset:48
	s_waitcnt vmcnt(15)
	buffer_store_dword v35, off, s[0:3], 0 offset:60
	buffer_store_dword v34, off, s[0:3], 0 offset:56
	v_addc_co_u32_e32 v23, vcc, v25, v23, vcc
	v_lshlrev_b64 v[24:25], 3, v[26:27]
	v_add_u32_e32 v28, s17, v26
	v_mov_b32_e32 v27, s5
	v_add_co_u32_e32 v24, vcc, s4, v24
	v_ashrrev_i32_e32 v29, 31, v28
	v_addc_co_u32_e32 v25, vcc, v27, v25, vcc
	v_lshlrev_b64 v[26:27], 3, v[28:29]
	v_add_u32_e32 v30, s17, v28
	v_mov_b32_e32 v29, s5
	v_add_co_u32_e32 v26, vcc, s4, v26
	v_ashrrev_i32_e32 v31, 31, v30
	;; [unrolled: 6-line block ×29, first 2 shown]
	v_addc_co_u32_e32 v81, vcc, v83, v81, vcc
	v_lshlrev_b64 v[82:83], 3, v[84:85]
	v_mov_b32_e32 v85, s5
	v_add_co_u32_e32 v82, vcc, s4, v82
	global_load_dwordx2 v[98:99], v[18:19], off
	global_load_dwordx2 v[96:97], v[22:23], off
	;; [unrolled: 1-line block ×28, first 2 shown]
	v_addc_co_u32_e32 v83, vcc, v85, v83, vcc
	global_load_dwordx2 v[156:157], v[76:77], off
	global_load_dwordx2 v[154:155], v[78:79], off
	;; [unrolled: 1-line block ×4, first 2 shown]
	v_add_u32_e32 v84, s17, v84
	v_ashrrev_i32_e32 v85, 31, v84
	v_lshlrev_b64 v[86:87], 3, v[84:85]
	v_mov_b32_e32 v85, s5
	v_add_co_u32_e32 v86, vcc, s4, v86
	v_add_u32_e32 v84, s17, v84
	v_addc_co_u32_e32 v87, vcc, v85, v87, vcc
	v_ashrrev_i32_e32 v85, 31, v84
	v_lshlrev_b64 v[88:89], 3, v[84:85]
	v_mov_b32_e32 v85, s5
	v_add_co_u32_e32 v88, vcc, s4, v88
	v_add_u32_e32 v84, s17, v84
	v_addc_co_u32_e32 v89, vcc, v85, v89, vcc
	v_ashrrev_i32_e32 v85, 31, v84
	global_load_dwordx2 v[158:159], v[86:87], off
	global_load_dwordx2 v[162:163], v[88:89], off
	v_lshlrev_b64 v[90:91], 3, v[84:85]
	v_mov_b32_e32 v85, s5
	v_add_co_u32_e32 v90, vcc, s4, v90
	v_add_u32_e32 v84, s17, v84
	v_addc_co_u32_e32 v91, vcc, v85, v91, vcc
	global_load_dwordx2 v[164:165], v[90:91], off
	v_ashrrev_i32_e32 v85, 31, v84
	v_lshlrev_b64 v[84:85], 3, v[84:85]
	v_add_co_u32_e32 v84, vcc, s4, v84
	v_addc_co_u32_e32 v85, vcc, v160, v85, vcc
	s_waitcnt vmcnt(41)
	buffer_store_dword v101, off, s[0:3], 0 offset:68
	buffer_store_dword v100, off, s[0:3], 0 offset:64
	global_load_dwordx2 v[100:101], v[84:85], off
	s_waitcnt vmcnt(37)
	buffer_store_dword v98, off, s[0:3], 0 offset:72
	buffer_store_dword v99, off, s[0:3], 0 offset:76
	s_waitcnt vmcnt(38)
	buffer_store_dword v96, off, s[0:3], 0 offset:80
	buffer_store_dword v97, off, s[0:3], 0 offset:84
	;; [unrolled: 3-line block ×27, first 2 shown]
	buffer_store_dword v142, off, s[0:3], 0 offset:288
	buffer_store_dword v143, off, s[0:3], 0 offset:292
	s_waitcnt vmcnt(62)
	buffer_store_dword v157, off, s[0:3], 0 offset:300
	buffer_store_dword v156, off, s[0:3], 0 offset:296
	;; [unrolled: 1-line block ×8, first 2 shown]
	s_waitcnt vmcnt(62)
	buffer_store_dword v158, off, s[0:3], 0 offset:328
	buffer_store_dword v159, off, s[0:3], 0 offset:332
	buffer_store_dword v162, off, s[0:3], 0 offset:336
	buffer_store_dword v163, off, s[0:3], 0 offset:340
	buffer_store_dword v165, off, s[0:3], 0 offset:348
	buffer_store_dword v164, off, s[0:3], 0 offset:344
	buffer_store_dword v101, off, s[0:3], 0 offset:356
	buffer_store_dword v100, off, s[0:3], 0 offset:352
	v_mov_b32_e32 v92, 0
	v_mov_b32_e32 v160, 0
	;; [unrolled: 1-line block ×3, first 2 shown]
	s_cbranch_scc1 .LBB44_3
; %bb.2:
	v_lshl_add_u32 v102, v0, 3, v160
	buffer_load_dword v92, v102, s[0:3], 0 offen
	buffer_load_dword v93, v102, s[0:3], 0 offen offset:4
	s_waitcnt vmcnt(0)
	v_div_scale_f64 v[94:95], s[4:5], v[92:93], v[92:93], 1.0
	v_rcp_f64_e32 v[96:97], v[94:95]
	v_div_scale_f64 v[98:99], vcc, 1.0, v[92:93], 1.0
	v_fma_f64 v[100:101], -v[94:95], v[96:97], 1.0
	v_fmac_f64_e32 v[96:97], v[96:97], v[100:101]
	v_fma_f64 v[100:101], -v[94:95], v[96:97], 1.0
	v_fmac_f64_e32 v[96:97], v[96:97], v[100:101]
	v_mul_f64 v[100:101], v[98:99], v[96:97]
	v_fma_f64 v[94:95], -v[94:95], v[100:101], v[98:99]
	v_div_fmas_f64 v[94:95], v[94:95], v[96:97], v[100:101]
	v_div_fixup_f64 v[92:93], v[94:95], v[92:93], 1.0
	buffer_store_dword v92, v102, s[0:3], 0 offen
	buffer_store_dword v93, v102, s[0:3], 0 offen offset:4
	v_xor_b32_e32 v93, 0x80000000, v93
.LBB44_3:
	s_cmpk_eq_i32 s12, 0x79
	v_add_u32_e32 v94, 0x170, v1
	v_add_u32_e32 v95, 0, v1
	s_mov_b64 s[4:5], -1
	ds_write_b64 v1, v[92:93]
	s_cbranch_scc1 .LBB44_437
; %bb.4:
	buffer_load_dword v92, off, s[0:3], 0 offset:344
	buffer_load_dword v93, off, s[0:3], 0 offset:348
	v_cmp_eq_u32_e64 s[4:5], 44, v0
	s_waitcnt vmcnt(0)
	ds_write_b64 v94, v[92:93]
	s_waitcnt lgkmcnt(0)
	; wave barrier
	s_waitcnt lgkmcnt(0)
	s_and_saveexec_b64 s[6:7], s[4:5]
	s_cbranch_execz .LBB44_10
; %bb.5:
	s_and_b64 vcc, exec, s[8:9]
	s_cbranch_vccz .LBB44_7
; %bb.6:
	buffer_load_dword v92, v95, s[0:3], 0 offen
	buffer_load_dword v93, v95, s[0:3], 0 offen offset:4
	ds_read_b64 v[96:97], v94
	s_waitcnt vmcnt(0) lgkmcnt(0)
	v_mul_f64 v[92:93], v[92:93], v[96:97]
	s_cbranch_execz .LBB44_8
	s_branch .LBB44_9
.LBB44_7:
                                        ; implicit-def: $vgpr92_vgpr93
.LBB44_8:
	ds_read_b64 v[92:93], v94
.LBB44_9:
	v_mov_b32_e32 v96, 0
	ds_read_b64 v[96:97], v96 offset:344
	s_waitcnt lgkmcnt(0)
	v_mul_f64 v[92:93], v[92:93], v[96:97]
	buffer_store_dword v93, off, s[0:3], 0 offset:348
	buffer_store_dword v92, off, s[0:3], 0 offset:344
.LBB44_10:
	s_or_b64 exec, exec, s[6:7]
	buffer_load_dword v92, off, s[0:3], 0 offset:336
	buffer_load_dword v93, off, s[0:3], 0 offset:340
	v_or_b32_e32 v96, 8, v160
	v_add_u32_e32 v97, 16, v160
	v_add_u32_e32 v98, 24, v160
	v_add_u32_e32 v99, 32, v160
	v_add_u32_e32 v100, 40, v160
	v_add_u32_e32 v101, 48, v160
	v_add_u32_e32 v102, 56, v160
	v_add_u32_e32 v103, 64, v160
	v_add_u32_e32 v104, 0x48, v160
	v_add_u32_e32 v105, 0x50, v160
	v_add_u32_e32 v106, 0x58, v160
	v_add_u32_e32 v107, 0x60, v160
	v_add_u32_e32 v108, 0x68, v160
	v_add_u32_e32 v109, 0x70, v160
	v_add_u32_e32 v110, 0x78, v160
	v_add_u32_e32 v111, 0x80, v160
	v_add_u32_e32 v112, 0x88, v160
	v_add_u32_e32 v113, 0x90, v160
	v_add_u32_e32 v114, 0x98, v160
	v_add_u32_e32 v115, 0xa0, v160
	v_add_u32_e32 v116, 0xa8, v160
	v_add_u32_e32 v117, 0xb0, v160
	v_add_u32_e32 v118, 0xb8, v160
	v_add_u32_e32 v119, 0xc0, v160
	v_add_u32_e32 v120, 0xc8, v160
	v_add_u32_e32 v121, 0xd0, v160
	v_add_u32_e32 v122, 0xd8, v160
	v_add_u32_e32 v123, 0xe0, v160
	v_add_u32_e32 v124, 0xe8, v160
	v_add_u32_e32 v125, 0xf0, v160
	v_add_u32_e32 v126, 0xf8, v160
	v_add_u32_e32 v127, 0x100, v160
	v_add_u32_e32 v128, 0x108, v160
	v_add_u32_e32 v129, 0x110, v160
	v_add_u32_e32 v130, 0x118, v160
	v_add_u32_e32 v131, 0x120, v160
	v_add_u32_e32 v132, 0x128, v160
	v_add_u32_e32 v133, 0x130, v160
	v_add_u32_e32 v134, 0x138, v160
	v_add_u32_e32 v135, 0x140, v160
	v_add_u32_e32 v136, 0x148, v160
	v_add_u32_e32 v137, 0x150, v160
	v_cmp_lt_u32_e64 s[6:7], 42, v0
	s_waitcnt vmcnt(0)
	ds_write_b64 v94, v[92:93]
	s_waitcnt lgkmcnt(0)
	; wave barrier
	s_waitcnt lgkmcnt(0)
	s_and_saveexec_b64 s[10:11], s[6:7]
	s_cbranch_execz .LBB44_16
; %bb.11:
	s_andn2_b64 vcc, exec, s[8:9]
	s_cbranch_vccnz .LBB44_13
; %bb.12:
	buffer_load_dword v92, v95, s[0:3], 0 offen
	buffer_load_dword v93, v95, s[0:3], 0 offen offset:4
	ds_read_b64 v[138:139], v94
	s_waitcnt vmcnt(0) lgkmcnt(0)
	v_mul_f64 v[92:93], v[92:93], v[138:139]
	s_cbranch_execz .LBB44_14
	s_branch .LBB44_15
.LBB44_13:
                                        ; implicit-def: $vgpr92_vgpr93
.LBB44_14:
	ds_read_b64 v[92:93], v94
.LBB44_15:
	buffer_load_dword v142, off, s[0:3], 0 offset:344
	buffer_load_dword v143, off, s[0:3], 0 offset:348
	v_mov_b32_e32 v138, 0
	ds_read2_b64 v[138:141], v138 offset0:42 offset1:89
	s_waitcnt vmcnt(0) lgkmcnt(0)
	v_fma_f64 v[140:141], v[142:143], v[140:141], v[92:93]
	v_cndmask_b32_e64 v93, v93, v141, s[4:5]
	v_cndmask_b32_e64 v92, v92, v140, s[4:5]
	v_mul_f64 v[92:93], v[92:93], v[138:139]
	buffer_store_dword v93, off, s[0:3], 0 offset:340
	buffer_store_dword v92, off, s[0:3], 0 offset:336
.LBB44_16:
	s_or_b64 exec, exec, s[10:11]
	buffer_load_dword v92, off, s[0:3], 0 offset:328
	buffer_load_dword v93, off, s[0:3], 0 offset:332
	v_cmp_lt_u32_e64 s[4:5], 41, v0
	s_waitcnt vmcnt(0)
	ds_write_b64 v94, v[92:93]
	s_waitcnt lgkmcnt(0)
	; wave barrier
	s_waitcnt lgkmcnt(0)
	s_and_saveexec_b64 s[10:11], s[4:5]
	s_cbranch_execz .LBB44_26
; %bb.17:
	s_andn2_b64 vcc, exec, s[8:9]
	s_cbranch_vccnz .LBB44_19
; %bb.18:
	buffer_load_dword v92, v95, s[0:3], 0 offen
	buffer_load_dword v93, v95, s[0:3], 0 offen offset:4
	ds_read_b64 v[138:139], v94
	s_waitcnt vmcnt(0) lgkmcnt(0)
	v_mul_f64 v[92:93], v[92:93], v[138:139]
	s_cbranch_execz .LBB44_20
	s_branch .LBB44_21
.LBB44_19:
                                        ; implicit-def: $vgpr92_vgpr93
.LBB44_20:
	ds_read_b64 v[92:93], v94
.LBB44_21:
	s_and_saveexec_b64 s[12:13], s[6:7]
	s_cbranch_execz .LBB44_25
; %bb.22:
	v_subrev_u32_e32 v138, 42, v0
	s_movk_i32 s14, 0x2c0
	s_mov_b64 s[6:7], 0
.LBB44_23:                              ; =>This Inner Loop Header: Depth=1
	buffer_load_dword v140, v137, s[0:3], 0 offen
	buffer_load_dword v141, v137, s[0:3], 0 offen offset:4
	v_mov_b32_e32 v139, s14
	ds_read_b64 v[142:143], v139
	v_add_u32_e32 v138, -1, v138
	s_add_i32 s14, s14, 8
	v_cmp_eq_u32_e32 vcc, 0, v138
	v_add_u32_e32 v137, 8, v137
	s_or_b64 s[6:7], vcc, s[6:7]
	s_waitcnt vmcnt(0) lgkmcnt(0)
	v_fmac_f64_e32 v[92:93], v[140:141], v[142:143]
	s_andn2_b64 exec, exec, s[6:7]
	s_cbranch_execnz .LBB44_23
; %bb.24:
	s_or_b64 exec, exec, s[6:7]
.LBB44_25:
	s_or_b64 exec, exec, s[12:13]
	v_mov_b32_e32 v137, 0
	ds_read_b64 v[138:139], v137 offset:328
	s_waitcnt lgkmcnt(0)
	v_mul_f64 v[92:93], v[92:93], v[138:139]
	buffer_store_dword v93, off, s[0:3], 0 offset:332
	buffer_store_dword v92, off, s[0:3], 0 offset:328
.LBB44_26:
	s_or_b64 exec, exec, s[10:11]
	buffer_load_dword v92, off, s[0:3], 0 offset:320
	buffer_load_dword v93, off, s[0:3], 0 offset:324
	v_cmp_lt_u32_e64 s[6:7], 40, v0
	s_waitcnt vmcnt(0)
	ds_write_b64 v94, v[92:93]
	s_waitcnt lgkmcnt(0)
	; wave barrier
	s_waitcnt lgkmcnt(0)
	s_and_saveexec_b64 s[10:11], s[6:7]
	s_cbranch_execz .LBB44_36
; %bb.27:
	s_andn2_b64 vcc, exec, s[8:9]
	s_cbranch_vccnz .LBB44_29
; %bb.28:
	buffer_load_dword v92, v95, s[0:3], 0 offen
	buffer_load_dword v93, v95, s[0:3], 0 offen offset:4
	ds_read_b64 v[138:139], v94
	s_waitcnt vmcnt(0) lgkmcnt(0)
	v_mul_f64 v[92:93], v[92:93], v[138:139]
	s_cbranch_execz .LBB44_30
	s_branch .LBB44_31
.LBB44_29:
                                        ; implicit-def: $vgpr92_vgpr93
.LBB44_30:
	ds_read_b64 v[92:93], v94
.LBB44_31:
	s_and_saveexec_b64 s[12:13], s[4:5]
	s_cbranch_execz .LBB44_35
; %bb.32:
	v_subrev_u32_e32 v137, 41, v0
	s_movk_i32 s14, 0x2b8
	s_mov_b64 s[4:5], 0
.LBB44_33:                              ; =>This Inner Loop Header: Depth=1
	buffer_load_dword v138, v136, s[0:3], 0 offen
	buffer_load_dword v139, v136, s[0:3], 0 offen offset:4
	v_mov_b32_e32 v140, s14
	ds_read_b64 v[140:141], v140
	v_add_u32_e32 v137, -1, v137
	s_add_i32 s14, s14, 8
	v_cmp_eq_u32_e32 vcc, 0, v137
	v_add_u32_e32 v136, 8, v136
	s_or_b64 s[4:5], vcc, s[4:5]
	s_waitcnt vmcnt(0) lgkmcnt(0)
	v_fmac_f64_e32 v[92:93], v[138:139], v[140:141]
	s_andn2_b64 exec, exec, s[4:5]
	s_cbranch_execnz .LBB44_33
; %bb.34:
	s_or_b64 exec, exec, s[4:5]
.LBB44_35:
	s_or_b64 exec, exec, s[12:13]
	v_mov_b32_e32 v136, 0
	ds_read_b64 v[136:137], v136 offset:320
	s_waitcnt lgkmcnt(0)
	v_mul_f64 v[92:93], v[92:93], v[136:137]
	buffer_store_dword v93, off, s[0:3], 0 offset:324
	buffer_store_dword v92, off, s[0:3], 0 offset:320
.LBB44_36:
	;; [unrolled: 58-line block ×8, first 2 shown]
	s_or_b64 exec, exec, s[10:11]
	buffer_load_dword v92, off, s[0:3], 0 offset:264
	buffer_load_dword v93, off, s[0:3], 0 offset:268
	v_cmp_lt_u32_e64 s[4:5], 33, v0
	s_waitcnt vmcnt(0)
	ds_write_b64 v94, v[92:93]
	s_waitcnt lgkmcnt(0)
	; wave barrier
	s_waitcnt lgkmcnt(0)
	s_and_saveexec_b64 s[10:11], s[4:5]
	s_cbranch_execz .LBB44_106
; %bb.97:
	s_andn2_b64 vcc, exec, s[8:9]
	s_cbranch_vccnz .LBB44_99
; %bb.98:
	buffer_load_dword v92, v95, s[0:3], 0 offen
	buffer_load_dword v93, v95, s[0:3], 0 offen offset:4
	ds_read_b64 v[130:131], v94
	s_waitcnt vmcnt(0) lgkmcnt(0)
	v_mul_f64 v[92:93], v[92:93], v[130:131]
	s_cbranch_execz .LBB44_100
	s_branch .LBB44_101
.LBB44_99:
                                        ; implicit-def: $vgpr92_vgpr93
.LBB44_100:
	ds_read_b64 v[92:93], v94
.LBB44_101:
	s_and_saveexec_b64 s[12:13], s[6:7]
	s_cbranch_execz .LBB44_105
; %bb.102:
	v_subrev_u32_e32 v130, 34, v0
	s_movk_i32 s14, 0x280
	s_mov_b64 s[6:7], 0
.LBB44_103:                             ; =>This Inner Loop Header: Depth=1
	buffer_load_dword v132, v129, s[0:3], 0 offen
	buffer_load_dword v133, v129, s[0:3], 0 offen offset:4
	v_mov_b32_e32 v131, s14
	ds_read_b64 v[134:135], v131
	v_add_u32_e32 v130, -1, v130
	s_add_i32 s14, s14, 8
	v_cmp_eq_u32_e32 vcc, 0, v130
	v_add_u32_e32 v129, 8, v129
	s_or_b64 s[6:7], vcc, s[6:7]
	s_waitcnt vmcnt(0) lgkmcnt(0)
	v_fmac_f64_e32 v[92:93], v[132:133], v[134:135]
	s_andn2_b64 exec, exec, s[6:7]
	s_cbranch_execnz .LBB44_103
; %bb.104:
	s_or_b64 exec, exec, s[6:7]
.LBB44_105:
	s_or_b64 exec, exec, s[12:13]
	v_mov_b32_e32 v129, 0
	ds_read_b64 v[130:131], v129 offset:264
	s_waitcnt lgkmcnt(0)
	v_mul_f64 v[92:93], v[92:93], v[130:131]
	buffer_store_dword v93, off, s[0:3], 0 offset:268
	buffer_store_dword v92, off, s[0:3], 0 offset:264
.LBB44_106:
	s_or_b64 exec, exec, s[10:11]
	buffer_load_dword v92, off, s[0:3], 0 offset:256
	buffer_load_dword v93, off, s[0:3], 0 offset:260
	v_cmp_lt_u32_e64 s[6:7], 32, v0
	s_waitcnt vmcnt(0)
	ds_write_b64 v94, v[92:93]
	s_waitcnt lgkmcnt(0)
	; wave barrier
	s_waitcnt lgkmcnt(0)
	s_and_saveexec_b64 s[10:11], s[6:7]
	s_cbranch_execz .LBB44_116
; %bb.107:
	s_andn2_b64 vcc, exec, s[8:9]
	s_cbranch_vccnz .LBB44_109
; %bb.108:
	buffer_load_dword v92, v95, s[0:3], 0 offen
	buffer_load_dword v93, v95, s[0:3], 0 offen offset:4
	ds_read_b64 v[130:131], v94
	s_waitcnt vmcnt(0) lgkmcnt(0)
	v_mul_f64 v[92:93], v[92:93], v[130:131]
	s_cbranch_execz .LBB44_110
	s_branch .LBB44_111
.LBB44_109:
                                        ; implicit-def: $vgpr92_vgpr93
.LBB44_110:
	ds_read_b64 v[92:93], v94
.LBB44_111:
	s_and_saveexec_b64 s[12:13], s[4:5]
	s_cbranch_execz .LBB44_115
; %bb.112:
	v_subrev_u32_e32 v129, 33, v0
	s_movk_i32 s14, 0x278
	s_mov_b64 s[4:5], 0
.LBB44_113:                             ; =>This Inner Loop Header: Depth=1
	buffer_load_dword v130, v128, s[0:3], 0 offen
	buffer_load_dword v131, v128, s[0:3], 0 offen offset:4
	v_mov_b32_e32 v132, s14
	ds_read_b64 v[132:133], v132
	v_add_u32_e32 v129, -1, v129
	s_add_i32 s14, s14, 8
	v_cmp_eq_u32_e32 vcc, 0, v129
	v_add_u32_e32 v128, 8, v128
	s_or_b64 s[4:5], vcc, s[4:5]
	s_waitcnt vmcnt(0) lgkmcnt(0)
	v_fmac_f64_e32 v[92:93], v[130:131], v[132:133]
	s_andn2_b64 exec, exec, s[4:5]
	s_cbranch_execnz .LBB44_113
; %bb.114:
	s_or_b64 exec, exec, s[4:5]
.LBB44_115:
	s_or_b64 exec, exec, s[12:13]
	v_mov_b32_e32 v128, 0
	ds_read_b64 v[128:129], v128 offset:256
	s_waitcnt lgkmcnt(0)
	v_mul_f64 v[92:93], v[92:93], v[128:129]
	buffer_store_dword v93, off, s[0:3], 0 offset:260
	buffer_store_dword v92, off, s[0:3], 0 offset:256
.LBB44_116:
	;; [unrolled: 58-line block ×18, first 2 shown]
	s_or_b64 exec, exec, s[10:11]
	buffer_load_dword v92, off, s[0:3], 0 offset:120
	buffer_load_dword v93, off, s[0:3], 0 offset:124
	v_cmp_lt_u32_e64 s[4:5], 15, v0
	s_waitcnt vmcnt(0)
	ds_write_b64 v94, v[92:93]
	s_waitcnt lgkmcnt(0)
	; wave barrier
	s_waitcnt lgkmcnt(0)
	s_and_saveexec_b64 s[10:11], s[4:5]
	s_cbranch_execz .LBB44_286
; %bb.277:
	s_andn2_b64 vcc, exec, s[8:9]
	s_cbranch_vccnz .LBB44_279
; %bb.278:
	buffer_load_dword v92, v95, s[0:3], 0 offen
	buffer_load_dword v93, v95, s[0:3], 0 offen offset:4
	ds_read_b64 v[112:113], v94
	s_waitcnt vmcnt(0) lgkmcnt(0)
	v_mul_f64 v[92:93], v[92:93], v[112:113]
	s_cbranch_execz .LBB44_280
	s_branch .LBB44_281
.LBB44_279:
                                        ; implicit-def: $vgpr92_vgpr93
.LBB44_280:
	ds_read_b64 v[92:93], v94
.LBB44_281:
	s_and_saveexec_b64 s[12:13], s[6:7]
	s_cbranch_execz .LBB44_285
; %bb.282:
	v_add_u32_e32 v112, -16, v0
	s_movk_i32 s14, 0x1f0
	s_mov_b64 s[6:7], 0
.LBB44_283:                             ; =>This Inner Loop Header: Depth=1
	buffer_load_dword v114, v111, s[0:3], 0 offen
	buffer_load_dword v115, v111, s[0:3], 0 offen offset:4
	v_mov_b32_e32 v113, s14
	ds_read_b64 v[116:117], v113
	v_add_u32_e32 v112, -1, v112
	s_add_i32 s14, s14, 8
	v_cmp_eq_u32_e32 vcc, 0, v112
	v_add_u32_e32 v111, 8, v111
	s_or_b64 s[6:7], vcc, s[6:7]
	s_waitcnt vmcnt(0) lgkmcnt(0)
	v_fmac_f64_e32 v[92:93], v[114:115], v[116:117]
	s_andn2_b64 exec, exec, s[6:7]
	s_cbranch_execnz .LBB44_283
; %bb.284:
	s_or_b64 exec, exec, s[6:7]
.LBB44_285:
	s_or_b64 exec, exec, s[12:13]
	v_mov_b32_e32 v111, 0
	ds_read_b64 v[112:113], v111 offset:120
	s_waitcnt lgkmcnt(0)
	v_mul_f64 v[92:93], v[92:93], v[112:113]
	buffer_store_dword v93, off, s[0:3], 0 offset:124
	buffer_store_dword v92, off, s[0:3], 0 offset:120
.LBB44_286:
	s_or_b64 exec, exec, s[10:11]
	buffer_load_dword v92, off, s[0:3], 0 offset:112
	buffer_load_dword v93, off, s[0:3], 0 offset:116
	v_cmp_lt_u32_e64 s[6:7], 14, v0
	s_waitcnt vmcnt(0)
	ds_write_b64 v94, v[92:93]
	s_waitcnt lgkmcnt(0)
	; wave barrier
	s_waitcnt lgkmcnt(0)
	s_and_saveexec_b64 s[10:11], s[6:7]
	s_cbranch_execz .LBB44_296
; %bb.287:
	s_andn2_b64 vcc, exec, s[8:9]
	s_cbranch_vccnz .LBB44_289
; %bb.288:
	buffer_load_dword v92, v95, s[0:3], 0 offen
	buffer_load_dword v93, v95, s[0:3], 0 offen offset:4
	ds_read_b64 v[112:113], v94
	s_waitcnt vmcnt(0) lgkmcnt(0)
	v_mul_f64 v[92:93], v[92:93], v[112:113]
	s_cbranch_execz .LBB44_290
	s_branch .LBB44_291
.LBB44_289:
                                        ; implicit-def: $vgpr92_vgpr93
.LBB44_290:
	ds_read_b64 v[92:93], v94
.LBB44_291:
	s_and_saveexec_b64 s[12:13], s[4:5]
	s_cbranch_execz .LBB44_295
; %bb.292:
	v_add_u32_e32 v111, -15, v0
	s_movk_i32 s14, 0x1e8
	s_mov_b64 s[4:5], 0
.LBB44_293:                             ; =>This Inner Loop Header: Depth=1
	buffer_load_dword v112, v110, s[0:3], 0 offen
	buffer_load_dword v113, v110, s[0:3], 0 offen offset:4
	v_mov_b32_e32 v114, s14
	ds_read_b64 v[114:115], v114
	v_add_u32_e32 v111, -1, v111
	s_add_i32 s14, s14, 8
	v_cmp_eq_u32_e32 vcc, 0, v111
	v_add_u32_e32 v110, 8, v110
	s_or_b64 s[4:5], vcc, s[4:5]
	s_waitcnt vmcnt(0) lgkmcnt(0)
	v_fmac_f64_e32 v[92:93], v[112:113], v[114:115]
	s_andn2_b64 exec, exec, s[4:5]
	s_cbranch_execnz .LBB44_293
; %bb.294:
	s_or_b64 exec, exec, s[4:5]
.LBB44_295:
	s_or_b64 exec, exec, s[12:13]
	v_mov_b32_e32 v110, 0
	ds_read_b64 v[110:111], v110 offset:112
	s_waitcnt lgkmcnt(0)
	v_mul_f64 v[92:93], v[92:93], v[110:111]
	buffer_store_dword v93, off, s[0:3], 0 offset:116
	buffer_store_dword v92, off, s[0:3], 0 offset:112
.LBB44_296:
	s_or_b64 exec, exec, s[10:11]
	buffer_load_dword v92, off, s[0:3], 0 offset:104
	buffer_load_dword v93, off, s[0:3], 0 offset:108
	v_cmp_lt_u32_e64 s[4:5], 13, v0
	s_waitcnt vmcnt(0)
	ds_write_b64 v94, v[92:93]
	s_waitcnt lgkmcnt(0)
	; wave barrier
	s_waitcnt lgkmcnt(0)
	s_and_saveexec_b64 s[10:11], s[4:5]
	s_cbranch_execz .LBB44_306
; %bb.297:
	s_andn2_b64 vcc, exec, s[8:9]
	s_cbranch_vccnz .LBB44_299
; %bb.298:
	buffer_load_dword v92, v95, s[0:3], 0 offen
	buffer_load_dword v93, v95, s[0:3], 0 offen offset:4
	ds_read_b64 v[110:111], v94
	s_waitcnt vmcnt(0) lgkmcnt(0)
	v_mul_f64 v[92:93], v[92:93], v[110:111]
	s_cbranch_execz .LBB44_300
	s_branch .LBB44_301
.LBB44_299:
                                        ; implicit-def: $vgpr92_vgpr93
.LBB44_300:
	ds_read_b64 v[92:93], v94
.LBB44_301:
	s_and_saveexec_b64 s[12:13], s[6:7]
	s_cbranch_execz .LBB44_305
; %bb.302:
	v_add_u32_e32 v110, -14, v0
	s_movk_i32 s14, 0x1e0
	s_mov_b64 s[6:7], 0
.LBB44_303:                             ; =>This Inner Loop Header: Depth=1
	buffer_load_dword v112, v109, s[0:3], 0 offen
	buffer_load_dword v113, v109, s[0:3], 0 offen offset:4
	v_mov_b32_e32 v111, s14
	ds_read_b64 v[114:115], v111
	v_add_u32_e32 v110, -1, v110
	s_add_i32 s14, s14, 8
	v_cmp_eq_u32_e32 vcc, 0, v110
	v_add_u32_e32 v109, 8, v109
	s_or_b64 s[6:7], vcc, s[6:7]
	s_waitcnt vmcnt(0) lgkmcnt(0)
	v_fmac_f64_e32 v[92:93], v[112:113], v[114:115]
	s_andn2_b64 exec, exec, s[6:7]
	s_cbranch_execnz .LBB44_303
; %bb.304:
	s_or_b64 exec, exec, s[6:7]
.LBB44_305:
	s_or_b64 exec, exec, s[12:13]
	v_mov_b32_e32 v109, 0
	ds_read_b64 v[110:111], v109 offset:104
	s_waitcnt lgkmcnt(0)
	v_mul_f64 v[92:93], v[92:93], v[110:111]
	buffer_store_dword v93, off, s[0:3], 0 offset:108
	buffer_store_dword v92, off, s[0:3], 0 offset:104
.LBB44_306:
	s_or_b64 exec, exec, s[10:11]
	buffer_load_dword v92, off, s[0:3], 0 offset:96
	buffer_load_dword v93, off, s[0:3], 0 offset:100
	v_cmp_lt_u32_e64 s[6:7], 12, v0
	s_waitcnt vmcnt(0)
	ds_write_b64 v94, v[92:93]
	s_waitcnt lgkmcnt(0)
	; wave barrier
	s_waitcnt lgkmcnt(0)
	s_and_saveexec_b64 s[10:11], s[6:7]
	s_cbranch_execz .LBB44_316
; %bb.307:
	s_andn2_b64 vcc, exec, s[8:9]
	s_cbranch_vccnz .LBB44_309
; %bb.308:
	buffer_load_dword v92, v95, s[0:3], 0 offen
	buffer_load_dword v93, v95, s[0:3], 0 offen offset:4
	ds_read_b64 v[110:111], v94
	s_waitcnt vmcnt(0) lgkmcnt(0)
	v_mul_f64 v[92:93], v[92:93], v[110:111]
	s_cbranch_execz .LBB44_310
	s_branch .LBB44_311
.LBB44_309:
                                        ; implicit-def: $vgpr92_vgpr93
.LBB44_310:
	ds_read_b64 v[92:93], v94
.LBB44_311:
	s_and_saveexec_b64 s[12:13], s[4:5]
	s_cbranch_execz .LBB44_315
; %bb.312:
	v_add_u32_e32 v109, -13, v0
	s_movk_i32 s14, 0x1d8
	s_mov_b64 s[4:5], 0
.LBB44_313:                             ; =>This Inner Loop Header: Depth=1
	buffer_load_dword v110, v108, s[0:3], 0 offen
	buffer_load_dword v111, v108, s[0:3], 0 offen offset:4
	v_mov_b32_e32 v112, s14
	ds_read_b64 v[112:113], v112
	v_add_u32_e32 v109, -1, v109
	s_add_i32 s14, s14, 8
	v_cmp_eq_u32_e32 vcc, 0, v109
	v_add_u32_e32 v108, 8, v108
	s_or_b64 s[4:5], vcc, s[4:5]
	s_waitcnt vmcnt(0) lgkmcnt(0)
	v_fmac_f64_e32 v[92:93], v[110:111], v[112:113]
	s_andn2_b64 exec, exec, s[4:5]
	s_cbranch_execnz .LBB44_313
; %bb.314:
	s_or_b64 exec, exec, s[4:5]
.LBB44_315:
	s_or_b64 exec, exec, s[12:13]
	v_mov_b32_e32 v108, 0
	ds_read_b64 v[108:109], v108 offset:96
	s_waitcnt lgkmcnt(0)
	v_mul_f64 v[92:93], v[92:93], v[108:109]
	buffer_store_dword v93, off, s[0:3], 0 offset:100
	buffer_store_dword v92, off, s[0:3], 0 offset:96
.LBB44_316:
	s_or_b64 exec, exec, s[10:11]
	buffer_load_dword v92, off, s[0:3], 0 offset:88
	buffer_load_dword v93, off, s[0:3], 0 offset:92
	v_cmp_lt_u32_e64 s[4:5], 11, v0
	s_waitcnt vmcnt(0)
	ds_write_b64 v94, v[92:93]
	s_waitcnt lgkmcnt(0)
	; wave barrier
	s_waitcnt lgkmcnt(0)
	s_and_saveexec_b64 s[10:11], s[4:5]
	s_cbranch_execz .LBB44_326
; %bb.317:
	s_andn2_b64 vcc, exec, s[8:9]
	s_cbranch_vccnz .LBB44_319
; %bb.318:
	buffer_load_dword v92, v95, s[0:3], 0 offen
	buffer_load_dword v93, v95, s[0:3], 0 offen offset:4
	ds_read_b64 v[108:109], v94
	s_waitcnt vmcnt(0) lgkmcnt(0)
	v_mul_f64 v[92:93], v[92:93], v[108:109]
	s_cbranch_execz .LBB44_320
	s_branch .LBB44_321
.LBB44_319:
                                        ; implicit-def: $vgpr92_vgpr93
.LBB44_320:
	ds_read_b64 v[92:93], v94
.LBB44_321:
	s_and_saveexec_b64 s[12:13], s[6:7]
	s_cbranch_execz .LBB44_325
; %bb.322:
	v_add_u32_e32 v108, -12, v0
	s_movk_i32 s14, 0x1d0
	s_mov_b64 s[6:7], 0
.LBB44_323:                             ; =>This Inner Loop Header: Depth=1
	buffer_load_dword v110, v107, s[0:3], 0 offen
	buffer_load_dword v111, v107, s[0:3], 0 offen offset:4
	v_mov_b32_e32 v109, s14
	ds_read_b64 v[112:113], v109
	v_add_u32_e32 v108, -1, v108
	s_add_i32 s14, s14, 8
	v_cmp_eq_u32_e32 vcc, 0, v108
	v_add_u32_e32 v107, 8, v107
	s_or_b64 s[6:7], vcc, s[6:7]
	s_waitcnt vmcnt(0) lgkmcnt(0)
	v_fmac_f64_e32 v[92:93], v[110:111], v[112:113]
	s_andn2_b64 exec, exec, s[6:7]
	s_cbranch_execnz .LBB44_323
; %bb.324:
	s_or_b64 exec, exec, s[6:7]
.LBB44_325:
	s_or_b64 exec, exec, s[12:13]
	v_mov_b32_e32 v107, 0
	ds_read_b64 v[108:109], v107 offset:88
	s_waitcnt lgkmcnt(0)
	v_mul_f64 v[92:93], v[92:93], v[108:109]
	buffer_store_dword v93, off, s[0:3], 0 offset:92
	buffer_store_dword v92, off, s[0:3], 0 offset:88
.LBB44_326:
	s_or_b64 exec, exec, s[10:11]
	buffer_load_dword v92, off, s[0:3], 0 offset:80
	buffer_load_dword v93, off, s[0:3], 0 offset:84
	v_cmp_lt_u32_e64 s[6:7], 10, v0
	s_waitcnt vmcnt(0)
	ds_write_b64 v94, v[92:93]
	s_waitcnt lgkmcnt(0)
	; wave barrier
	s_waitcnt lgkmcnt(0)
	s_and_saveexec_b64 s[10:11], s[6:7]
	s_cbranch_execz .LBB44_336
; %bb.327:
	s_andn2_b64 vcc, exec, s[8:9]
	s_cbranch_vccnz .LBB44_329
; %bb.328:
	buffer_load_dword v92, v95, s[0:3], 0 offen
	buffer_load_dword v93, v95, s[0:3], 0 offen offset:4
	ds_read_b64 v[108:109], v94
	s_waitcnt vmcnt(0) lgkmcnt(0)
	v_mul_f64 v[92:93], v[92:93], v[108:109]
	s_cbranch_execz .LBB44_330
	s_branch .LBB44_331
.LBB44_329:
                                        ; implicit-def: $vgpr92_vgpr93
.LBB44_330:
	ds_read_b64 v[92:93], v94
.LBB44_331:
	s_and_saveexec_b64 s[12:13], s[4:5]
	s_cbranch_execz .LBB44_335
; %bb.332:
	v_add_u32_e32 v107, -11, v0
	s_movk_i32 s14, 0x1c8
	s_mov_b64 s[4:5], 0
.LBB44_333:                             ; =>This Inner Loop Header: Depth=1
	buffer_load_dword v108, v106, s[0:3], 0 offen
	buffer_load_dword v109, v106, s[0:3], 0 offen offset:4
	v_mov_b32_e32 v110, s14
	ds_read_b64 v[110:111], v110
	v_add_u32_e32 v107, -1, v107
	s_add_i32 s14, s14, 8
	v_cmp_eq_u32_e32 vcc, 0, v107
	v_add_u32_e32 v106, 8, v106
	s_or_b64 s[4:5], vcc, s[4:5]
	s_waitcnt vmcnt(0) lgkmcnt(0)
	v_fmac_f64_e32 v[92:93], v[108:109], v[110:111]
	s_andn2_b64 exec, exec, s[4:5]
	s_cbranch_execnz .LBB44_333
; %bb.334:
	s_or_b64 exec, exec, s[4:5]
.LBB44_335:
	s_or_b64 exec, exec, s[12:13]
	v_mov_b32_e32 v106, 0
	ds_read_b64 v[106:107], v106 offset:80
	s_waitcnt lgkmcnt(0)
	v_mul_f64 v[92:93], v[92:93], v[106:107]
	buffer_store_dword v93, off, s[0:3], 0 offset:84
	buffer_store_dword v92, off, s[0:3], 0 offset:80
.LBB44_336:
	s_or_b64 exec, exec, s[10:11]
	buffer_load_dword v92, off, s[0:3], 0 offset:72
	buffer_load_dword v93, off, s[0:3], 0 offset:76
	v_cmp_lt_u32_e64 s[4:5], 9, v0
	s_waitcnt vmcnt(0)
	ds_write_b64 v94, v[92:93]
	s_waitcnt lgkmcnt(0)
	; wave barrier
	s_waitcnt lgkmcnt(0)
	s_and_saveexec_b64 s[10:11], s[4:5]
	s_cbranch_execz .LBB44_346
; %bb.337:
	s_andn2_b64 vcc, exec, s[8:9]
	s_cbranch_vccnz .LBB44_339
; %bb.338:
	buffer_load_dword v92, v95, s[0:3], 0 offen
	buffer_load_dword v93, v95, s[0:3], 0 offen offset:4
	ds_read_b64 v[106:107], v94
	s_waitcnt vmcnt(0) lgkmcnt(0)
	v_mul_f64 v[92:93], v[92:93], v[106:107]
	s_cbranch_execz .LBB44_340
	s_branch .LBB44_341
.LBB44_339:
                                        ; implicit-def: $vgpr92_vgpr93
.LBB44_340:
	ds_read_b64 v[92:93], v94
.LBB44_341:
	s_and_saveexec_b64 s[12:13], s[6:7]
	s_cbranch_execz .LBB44_345
; %bb.342:
	v_add_u32_e32 v106, -10, v0
	s_movk_i32 s14, 0x1c0
	s_mov_b64 s[6:7], 0
.LBB44_343:                             ; =>This Inner Loop Header: Depth=1
	buffer_load_dword v108, v105, s[0:3], 0 offen
	buffer_load_dword v109, v105, s[0:3], 0 offen offset:4
	v_mov_b32_e32 v107, s14
	ds_read_b64 v[110:111], v107
	v_add_u32_e32 v106, -1, v106
	s_add_i32 s14, s14, 8
	v_cmp_eq_u32_e32 vcc, 0, v106
	v_add_u32_e32 v105, 8, v105
	s_or_b64 s[6:7], vcc, s[6:7]
	s_waitcnt vmcnt(0) lgkmcnt(0)
	v_fmac_f64_e32 v[92:93], v[108:109], v[110:111]
	s_andn2_b64 exec, exec, s[6:7]
	s_cbranch_execnz .LBB44_343
; %bb.344:
	s_or_b64 exec, exec, s[6:7]
.LBB44_345:
	s_or_b64 exec, exec, s[12:13]
	v_mov_b32_e32 v105, 0
	ds_read_b64 v[106:107], v105 offset:72
	s_waitcnt lgkmcnt(0)
	v_mul_f64 v[92:93], v[92:93], v[106:107]
	buffer_store_dword v93, off, s[0:3], 0 offset:76
	buffer_store_dword v92, off, s[0:3], 0 offset:72
.LBB44_346:
	s_or_b64 exec, exec, s[10:11]
	buffer_load_dword v92, off, s[0:3], 0 offset:64
	buffer_load_dword v93, off, s[0:3], 0 offset:68
	v_cmp_lt_u32_e64 s[6:7], 8, v0
	s_waitcnt vmcnt(0)
	ds_write_b64 v94, v[92:93]
	s_waitcnt lgkmcnt(0)
	; wave barrier
	s_waitcnt lgkmcnt(0)
	s_and_saveexec_b64 s[10:11], s[6:7]
	s_cbranch_execz .LBB44_356
; %bb.347:
	s_andn2_b64 vcc, exec, s[8:9]
	s_cbranch_vccnz .LBB44_349
; %bb.348:
	buffer_load_dword v92, v95, s[0:3], 0 offen
	buffer_load_dword v93, v95, s[0:3], 0 offen offset:4
	ds_read_b64 v[106:107], v94
	s_waitcnt vmcnt(0) lgkmcnt(0)
	v_mul_f64 v[92:93], v[92:93], v[106:107]
	s_cbranch_execz .LBB44_350
	s_branch .LBB44_351
.LBB44_349:
                                        ; implicit-def: $vgpr92_vgpr93
.LBB44_350:
	ds_read_b64 v[92:93], v94
.LBB44_351:
	s_and_saveexec_b64 s[12:13], s[4:5]
	s_cbranch_execz .LBB44_355
; %bb.352:
	v_add_u32_e32 v105, -9, v0
	s_movk_i32 s14, 0x1b8
	s_mov_b64 s[4:5], 0
.LBB44_353:                             ; =>This Inner Loop Header: Depth=1
	buffer_load_dword v106, v104, s[0:3], 0 offen
	buffer_load_dword v107, v104, s[0:3], 0 offen offset:4
	v_mov_b32_e32 v108, s14
	ds_read_b64 v[108:109], v108
	v_add_u32_e32 v105, -1, v105
	s_add_i32 s14, s14, 8
	v_cmp_eq_u32_e32 vcc, 0, v105
	v_add_u32_e32 v104, 8, v104
	s_or_b64 s[4:5], vcc, s[4:5]
	s_waitcnt vmcnt(0) lgkmcnt(0)
	v_fmac_f64_e32 v[92:93], v[106:107], v[108:109]
	s_andn2_b64 exec, exec, s[4:5]
	s_cbranch_execnz .LBB44_353
; %bb.354:
	s_or_b64 exec, exec, s[4:5]
.LBB44_355:
	s_or_b64 exec, exec, s[12:13]
	v_mov_b32_e32 v104, 0
	ds_read_b64 v[104:105], v104 offset:64
	s_waitcnt lgkmcnt(0)
	v_mul_f64 v[92:93], v[92:93], v[104:105]
	buffer_store_dword v93, off, s[0:3], 0 offset:68
	buffer_store_dword v92, off, s[0:3], 0 offset:64
.LBB44_356:
	s_or_b64 exec, exec, s[10:11]
	buffer_load_dword v92, off, s[0:3], 0 offset:56
	buffer_load_dword v93, off, s[0:3], 0 offset:60
	v_cmp_lt_u32_e64 s[4:5], 7, v0
	s_waitcnt vmcnt(0)
	ds_write_b64 v94, v[92:93]
	s_waitcnt lgkmcnt(0)
	; wave barrier
	s_waitcnt lgkmcnt(0)
	s_and_saveexec_b64 s[10:11], s[4:5]
	s_cbranch_execz .LBB44_366
; %bb.357:
	s_andn2_b64 vcc, exec, s[8:9]
	s_cbranch_vccnz .LBB44_359
; %bb.358:
	buffer_load_dword v92, v95, s[0:3], 0 offen
	buffer_load_dword v93, v95, s[0:3], 0 offen offset:4
	ds_read_b64 v[104:105], v94
	s_waitcnt vmcnt(0) lgkmcnt(0)
	v_mul_f64 v[92:93], v[92:93], v[104:105]
	s_cbranch_execz .LBB44_360
	s_branch .LBB44_361
.LBB44_359:
                                        ; implicit-def: $vgpr92_vgpr93
.LBB44_360:
	ds_read_b64 v[92:93], v94
.LBB44_361:
	s_and_saveexec_b64 s[12:13], s[6:7]
	s_cbranch_execz .LBB44_365
; %bb.362:
	v_add_u32_e32 v104, -8, v0
	s_movk_i32 s14, 0x1b0
	s_mov_b64 s[6:7], 0
.LBB44_363:                             ; =>This Inner Loop Header: Depth=1
	buffer_load_dword v106, v103, s[0:3], 0 offen
	buffer_load_dword v107, v103, s[0:3], 0 offen offset:4
	v_mov_b32_e32 v105, s14
	ds_read_b64 v[108:109], v105
	v_add_u32_e32 v104, -1, v104
	s_add_i32 s14, s14, 8
	v_cmp_eq_u32_e32 vcc, 0, v104
	v_add_u32_e32 v103, 8, v103
	s_or_b64 s[6:7], vcc, s[6:7]
	s_waitcnt vmcnt(0) lgkmcnt(0)
	v_fmac_f64_e32 v[92:93], v[106:107], v[108:109]
	s_andn2_b64 exec, exec, s[6:7]
	s_cbranch_execnz .LBB44_363
; %bb.364:
	s_or_b64 exec, exec, s[6:7]
.LBB44_365:
	s_or_b64 exec, exec, s[12:13]
	v_mov_b32_e32 v103, 0
	ds_read_b64 v[104:105], v103 offset:56
	s_waitcnt lgkmcnt(0)
	v_mul_f64 v[92:93], v[92:93], v[104:105]
	buffer_store_dword v93, off, s[0:3], 0 offset:60
	buffer_store_dword v92, off, s[0:3], 0 offset:56
.LBB44_366:
	s_or_b64 exec, exec, s[10:11]
	buffer_load_dword v92, off, s[0:3], 0 offset:48
	buffer_load_dword v93, off, s[0:3], 0 offset:52
	v_cmp_lt_u32_e64 s[6:7], 6, v0
	s_waitcnt vmcnt(0)
	ds_write_b64 v94, v[92:93]
	s_waitcnt lgkmcnt(0)
	; wave barrier
	s_waitcnt lgkmcnt(0)
	s_and_saveexec_b64 s[10:11], s[6:7]
	s_cbranch_execz .LBB44_376
; %bb.367:
	s_andn2_b64 vcc, exec, s[8:9]
	s_cbranch_vccnz .LBB44_369
; %bb.368:
	buffer_load_dword v92, v95, s[0:3], 0 offen
	buffer_load_dword v93, v95, s[0:3], 0 offen offset:4
	ds_read_b64 v[104:105], v94
	s_waitcnt vmcnt(0) lgkmcnt(0)
	v_mul_f64 v[92:93], v[92:93], v[104:105]
	s_cbranch_execz .LBB44_370
	s_branch .LBB44_371
.LBB44_369:
                                        ; implicit-def: $vgpr92_vgpr93
.LBB44_370:
	ds_read_b64 v[92:93], v94
.LBB44_371:
	s_and_saveexec_b64 s[12:13], s[4:5]
	s_cbranch_execz .LBB44_375
; %bb.372:
	v_add_u32_e32 v103, -7, v0
	s_movk_i32 s14, 0x1a8
	s_mov_b64 s[4:5], 0
.LBB44_373:                             ; =>This Inner Loop Header: Depth=1
	buffer_load_dword v104, v102, s[0:3], 0 offen
	buffer_load_dword v105, v102, s[0:3], 0 offen offset:4
	v_mov_b32_e32 v106, s14
	ds_read_b64 v[106:107], v106
	v_add_u32_e32 v103, -1, v103
	s_add_i32 s14, s14, 8
	v_cmp_eq_u32_e32 vcc, 0, v103
	v_add_u32_e32 v102, 8, v102
	s_or_b64 s[4:5], vcc, s[4:5]
	s_waitcnt vmcnt(0) lgkmcnt(0)
	v_fmac_f64_e32 v[92:93], v[104:105], v[106:107]
	s_andn2_b64 exec, exec, s[4:5]
	s_cbranch_execnz .LBB44_373
; %bb.374:
	s_or_b64 exec, exec, s[4:5]
.LBB44_375:
	s_or_b64 exec, exec, s[12:13]
	v_mov_b32_e32 v102, 0
	ds_read_b64 v[102:103], v102 offset:48
	s_waitcnt lgkmcnt(0)
	v_mul_f64 v[92:93], v[92:93], v[102:103]
	buffer_store_dword v93, off, s[0:3], 0 offset:52
	buffer_store_dword v92, off, s[0:3], 0 offset:48
.LBB44_376:
	s_or_b64 exec, exec, s[10:11]
	buffer_load_dword v92, off, s[0:3], 0 offset:40
	buffer_load_dword v93, off, s[0:3], 0 offset:44
	v_cmp_lt_u32_e64 s[4:5], 5, v0
	s_waitcnt vmcnt(0)
	ds_write_b64 v94, v[92:93]
	s_waitcnt lgkmcnt(0)
	; wave barrier
	s_waitcnt lgkmcnt(0)
	s_and_saveexec_b64 s[10:11], s[4:5]
	s_cbranch_execz .LBB44_386
; %bb.377:
	s_andn2_b64 vcc, exec, s[8:9]
	s_cbranch_vccnz .LBB44_379
; %bb.378:
	buffer_load_dword v92, v95, s[0:3], 0 offen
	buffer_load_dword v93, v95, s[0:3], 0 offen offset:4
	ds_read_b64 v[102:103], v94
	s_waitcnt vmcnt(0) lgkmcnt(0)
	v_mul_f64 v[92:93], v[92:93], v[102:103]
	s_cbranch_execz .LBB44_380
	s_branch .LBB44_381
.LBB44_379:
                                        ; implicit-def: $vgpr92_vgpr93
.LBB44_380:
	ds_read_b64 v[92:93], v94
.LBB44_381:
	s_and_saveexec_b64 s[12:13], s[6:7]
	s_cbranch_execz .LBB44_385
; %bb.382:
	v_add_u32_e32 v102, -6, v0
	s_movk_i32 s14, 0x1a0
	s_mov_b64 s[6:7], 0
.LBB44_383:                             ; =>This Inner Loop Header: Depth=1
	buffer_load_dword v104, v101, s[0:3], 0 offen
	buffer_load_dword v105, v101, s[0:3], 0 offen offset:4
	v_mov_b32_e32 v103, s14
	ds_read_b64 v[106:107], v103
	v_add_u32_e32 v102, -1, v102
	s_add_i32 s14, s14, 8
	v_cmp_eq_u32_e32 vcc, 0, v102
	v_add_u32_e32 v101, 8, v101
	s_or_b64 s[6:7], vcc, s[6:7]
	s_waitcnt vmcnt(0) lgkmcnt(0)
	v_fmac_f64_e32 v[92:93], v[104:105], v[106:107]
	s_andn2_b64 exec, exec, s[6:7]
	s_cbranch_execnz .LBB44_383
; %bb.384:
	s_or_b64 exec, exec, s[6:7]
.LBB44_385:
	s_or_b64 exec, exec, s[12:13]
	v_mov_b32_e32 v101, 0
	ds_read_b64 v[102:103], v101 offset:40
	s_waitcnt lgkmcnt(0)
	v_mul_f64 v[92:93], v[92:93], v[102:103]
	buffer_store_dword v93, off, s[0:3], 0 offset:44
	buffer_store_dword v92, off, s[0:3], 0 offset:40
.LBB44_386:
	s_or_b64 exec, exec, s[10:11]
	buffer_load_dword v92, off, s[0:3], 0 offset:32
	buffer_load_dword v93, off, s[0:3], 0 offset:36
	v_cmp_lt_u32_e64 s[6:7], 4, v0
	s_waitcnt vmcnt(0)
	ds_write_b64 v94, v[92:93]
	s_waitcnt lgkmcnt(0)
	; wave barrier
	s_waitcnt lgkmcnt(0)
	s_and_saveexec_b64 s[10:11], s[6:7]
	s_cbranch_execz .LBB44_396
; %bb.387:
	s_andn2_b64 vcc, exec, s[8:9]
	s_cbranch_vccnz .LBB44_389
; %bb.388:
	buffer_load_dword v92, v95, s[0:3], 0 offen
	buffer_load_dword v93, v95, s[0:3], 0 offen offset:4
	ds_read_b64 v[102:103], v94
	s_waitcnt vmcnt(0) lgkmcnt(0)
	v_mul_f64 v[92:93], v[92:93], v[102:103]
	s_cbranch_execz .LBB44_390
	s_branch .LBB44_391
.LBB44_389:
                                        ; implicit-def: $vgpr92_vgpr93
.LBB44_390:
	ds_read_b64 v[92:93], v94
.LBB44_391:
	s_and_saveexec_b64 s[12:13], s[4:5]
	s_cbranch_execz .LBB44_395
; %bb.392:
	v_add_u32_e32 v101, -5, v0
	s_movk_i32 s14, 0x198
	s_mov_b64 s[4:5], 0
.LBB44_393:                             ; =>This Inner Loop Header: Depth=1
	buffer_load_dword v102, v100, s[0:3], 0 offen
	buffer_load_dword v103, v100, s[0:3], 0 offen offset:4
	v_mov_b32_e32 v104, s14
	ds_read_b64 v[104:105], v104
	v_add_u32_e32 v101, -1, v101
	s_add_i32 s14, s14, 8
	v_cmp_eq_u32_e32 vcc, 0, v101
	v_add_u32_e32 v100, 8, v100
	s_or_b64 s[4:5], vcc, s[4:5]
	s_waitcnt vmcnt(0) lgkmcnt(0)
	v_fmac_f64_e32 v[92:93], v[102:103], v[104:105]
	s_andn2_b64 exec, exec, s[4:5]
	s_cbranch_execnz .LBB44_393
; %bb.394:
	s_or_b64 exec, exec, s[4:5]
.LBB44_395:
	s_or_b64 exec, exec, s[12:13]
	v_mov_b32_e32 v100, 0
	ds_read_b64 v[100:101], v100 offset:32
	s_waitcnt lgkmcnt(0)
	v_mul_f64 v[92:93], v[92:93], v[100:101]
	buffer_store_dword v93, off, s[0:3], 0 offset:36
	buffer_store_dword v92, off, s[0:3], 0 offset:32
.LBB44_396:
	s_or_b64 exec, exec, s[10:11]
	buffer_load_dword v92, off, s[0:3], 0 offset:24
	buffer_load_dword v93, off, s[0:3], 0 offset:28
	v_cmp_lt_u32_e64 s[4:5], 3, v0
	s_waitcnt vmcnt(0)
	ds_write_b64 v94, v[92:93]
	s_waitcnt lgkmcnt(0)
	; wave barrier
	s_waitcnt lgkmcnt(0)
	s_and_saveexec_b64 s[10:11], s[4:5]
	s_cbranch_execz .LBB44_406
; %bb.397:
	s_andn2_b64 vcc, exec, s[8:9]
	s_cbranch_vccnz .LBB44_399
; %bb.398:
	buffer_load_dword v92, v95, s[0:3], 0 offen
	buffer_load_dword v93, v95, s[0:3], 0 offen offset:4
	ds_read_b64 v[100:101], v94
	s_waitcnt vmcnt(0) lgkmcnt(0)
	v_mul_f64 v[92:93], v[92:93], v[100:101]
	s_cbranch_execz .LBB44_400
	s_branch .LBB44_401
.LBB44_399:
                                        ; implicit-def: $vgpr92_vgpr93
.LBB44_400:
	ds_read_b64 v[92:93], v94
.LBB44_401:
	s_and_saveexec_b64 s[12:13], s[6:7]
	s_cbranch_execz .LBB44_405
; %bb.402:
	v_add_u32_e32 v100, -4, v0
	s_movk_i32 s14, 0x190
	s_mov_b64 s[6:7], 0
.LBB44_403:                             ; =>This Inner Loop Header: Depth=1
	buffer_load_dword v102, v99, s[0:3], 0 offen
	buffer_load_dword v103, v99, s[0:3], 0 offen offset:4
	v_mov_b32_e32 v101, s14
	ds_read_b64 v[104:105], v101
	v_add_u32_e32 v100, -1, v100
	s_add_i32 s14, s14, 8
	v_cmp_eq_u32_e32 vcc, 0, v100
	v_add_u32_e32 v99, 8, v99
	s_or_b64 s[6:7], vcc, s[6:7]
	s_waitcnt vmcnt(0) lgkmcnt(0)
	v_fmac_f64_e32 v[92:93], v[102:103], v[104:105]
	s_andn2_b64 exec, exec, s[6:7]
	s_cbranch_execnz .LBB44_403
; %bb.404:
	s_or_b64 exec, exec, s[6:7]
.LBB44_405:
	s_or_b64 exec, exec, s[12:13]
	v_mov_b32_e32 v99, 0
	ds_read_b64 v[100:101], v99 offset:24
	s_waitcnt lgkmcnt(0)
	v_mul_f64 v[92:93], v[92:93], v[100:101]
	buffer_store_dword v93, off, s[0:3], 0 offset:28
	buffer_store_dword v92, off, s[0:3], 0 offset:24
.LBB44_406:
	s_or_b64 exec, exec, s[10:11]
	buffer_load_dword v92, off, s[0:3], 0 offset:16
	buffer_load_dword v93, off, s[0:3], 0 offset:20
	v_cmp_lt_u32_e64 s[6:7], 2, v0
	s_waitcnt vmcnt(0)
	ds_write_b64 v94, v[92:93]
	s_waitcnt lgkmcnt(0)
	; wave barrier
	s_waitcnt lgkmcnt(0)
	s_and_saveexec_b64 s[10:11], s[6:7]
	s_cbranch_execz .LBB44_416
; %bb.407:
	s_andn2_b64 vcc, exec, s[8:9]
	s_cbranch_vccnz .LBB44_409
; %bb.408:
	buffer_load_dword v92, v95, s[0:3], 0 offen
	buffer_load_dword v93, v95, s[0:3], 0 offen offset:4
	ds_read_b64 v[100:101], v94
	s_waitcnt vmcnt(0) lgkmcnt(0)
	v_mul_f64 v[92:93], v[92:93], v[100:101]
	s_cbranch_execz .LBB44_410
	s_branch .LBB44_411
.LBB44_409:
                                        ; implicit-def: $vgpr92_vgpr93
.LBB44_410:
	ds_read_b64 v[92:93], v94
.LBB44_411:
	s_and_saveexec_b64 s[12:13], s[4:5]
	s_cbranch_execz .LBB44_415
; %bb.412:
	v_add_u32_e32 v99, -3, v0
	s_movk_i32 s14, 0x188
	s_mov_b64 s[4:5], 0
.LBB44_413:                             ; =>This Inner Loop Header: Depth=1
	buffer_load_dword v100, v98, s[0:3], 0 offen
	buffer_load_dword v101, v98, s[0:3], 0 offen offset:4
	v_mov_b32_e32 v102, s14
	ds_read_b64 v[102:103], v102
	v_add_u32_e32 v99, -1, v99
	s_add_i32 s14, s14, 8
	v_cmp_eq_u32_e32 vcc, 0, v99
	v_add_u32_e32 v98, 8, v98
	s_or_b64 s[4:5], vcc, s[4:5]
	s_waitcnt vmcnt(0) lgkmcnt(0)
	v_fmac_f64_e32 v[92:93], v[100:101], v[102:103]
	s_andn2_b64 exec, exec, s[4:5]
	s_cbranch_execnz .LBB44_413
; %bb.414:
	s_or_b64 exec, exec, s[4:5]
.LBB44_415:
	s_or_b64 exec, exec, s[12:13]
	v_mov_b32_e32 v98, 0
	ds_read_b64 v[98:99], v98 offset:16
	s_waitcnt lgkmcnt(0)
	v_mul_f64 v[92:93], v[92:93], v[98:99]
	buffer_store_dword v93, off, s[0:3], 0 offset:20
	buffer_store_dword v92, off, s[0:3], 0 offset:16
.LBB44_416:
	s_or_b64 exec, exec, s[10:11]
	buffer_load_dword v92, off, s[0:3], 0 offset:8
	buffer_load_dword v93, off, s[0:3], 0 offset:12
	v_cmp_lt_u32_e64 s[4:5], 1, v0
	s_waitcnt vmcnt(0)
	ds_write_b64 v94, v[92:93]
	s_waitcnt lgkmcnt(0)
	; wave barrier
	s_waitcnt lgkmcnt(0)
	s_and_saveexec_b64 s[10:11], s[4:5]
	s_cbranch_execz .LBB44_426
; %bb.417:
	s_andn2_b64 vcc, exec, s[8:9]
	s_cbranch_vccnz .LBB44_419
; %bb.418:
	buffer_load_dword v92, v95, s[0:3], 0 offen
	buffer_load_dword v93, v95, s[0:3], 0 offen offset:4
	ds_read_b64 v[98:99], v94
	s_waitcnt vmcnt(0) lgkmcnt(0)
	v_mul_f64 v[92:93], v[92:93], v[98:99]
	s_cbranch_execz .LBB44_420
	s_branch .LBB44_421
.LBB44_419:
                                        ; implicit-def: $vgpr92_vgpr93
.LBB44_420:
	ds_read_b64 v[92:93], v94
.LBB44_421:
	s_and_saveexec_b64 s[12:13], s[6:7]
	s_cbranch_execz .LBB44_425
; %bb.422:
	v_add_u32_e32 v98, -2, v0
	s_movk_i32 s14, 0x180
	s_mov_b64 s[6:7], 0
.LBB44_423:                             ; =>This Inner Loop Header: Depth=1
	buffer_load_dword v100, v97, s[0:3], 0 offen
	buffer_load_dword v101, v97, s[0:3], 0 offen offset:4
	v_mov_b32_e32 v99, s14
	ds_read_b64 v[102:103], v99
	v_add_u32_e32 v98, -1, v98
	s_add_i32 s14, s14, 8
	v_cmp_eq_u32_e32 vcc, 0, v98
	v_add_u32_e32 v97, 8, v97
	s_or_b64 s[6:7], vcc, s[6:7]
	s_waitcnt vmcnt(0) lgkmcnt(0)
	v_fmac_f64_e32 v[92:93], v[100:101], v[102:103]
	s_andn2_b64 exec, exec, s[6:7]
	s_cbranch_execnz .LBB44_423
; %bb.424:
	s_or_b64 exec, exec, s[6:7]
.LBB44_425:
	s_or_b64 exec, exec, s[12:13]
	v_mov_b32_e32 v97, 0
	ds_read_b64 v[98:99], v97 offset:8
	s_waitcnt lgkmcnt(0)
	v_mul_f64 v[92:93], v[92:93], v[98:99]
	buffer_store_dword v93, off, s[0:3], 0 offset:12
	buffer_store_dword v92, off, s[0:3], 0 offset:8
.LBB44_426:
	s_or_b64 exec, exec, s[10:11]
	buffer_load_dword v92, off, s[0:3], 0
	buffer_load_dword v93, off, s[0:3], 0 offset:4
	v_cmp_ne_u32_e32 vcc, 0, v0
	s_waitcnt vmcnt(0)
	ds_write_b64 v94, v[92:93]
	s_waitcnt lgkmcnt(0)
	; wave barrier
	s_waitcnt lgkmcnt(0)
	s_and_saveexec_b64 s[6:7], vcc
	s_cbranch_execz .LBB44_436
; %bb.427:
	s_andn2_b64 vcc, exec, s[8:9]
	s_cbranch_vccnz .LBB44_429
; %bb.428:
	buffer_load_dword v92, v95, s[0:3], 0 offen
	buffer_load_dword v93, v95, s[0:3], 0 offen offset:4
	ds_read_b64 v[98:99], v94
	s_waitcnt vmcnt(0) lgkmcnt(0)
	v_mul_f64 v[92:93], v[92:93], v[98:99]
	s_cbranch_execz .LBB44_430
	s_branch .LBB44_431
.LBB44_429:
                                        ; implicit-def: $vgpr92_vgpr93
.LBB44_430:
	ds_read_b64 v[92:93], v94
.LBB44_431:
	s_and_saveexec_b64 s[10:11], s[4:5]
	s_cbranch_execz .LBB44_435
; %bb.432:
	v_add_u32_e32 v97, -1, v0
	s_movk_i32 s12, 0x178
	s_mov_b64 s[4:5], 0
.LBB44_433:                             ; =>This Inner Loop Header: Depth=1
	buffer_load_dword v98, v96, s[0:3], 0 offen
	buffer_load_dword v99, v96, s[0:3], 0 offen offset:4
	v_mov_b32_e32 v100, s12
	ds_read_b64 v[100:101], v100
	v_add_u32_e32 v97, -1, v97
	s_add_i32 s12, s12, 8
	v_cmp_eq_u32_e32 vcc, 0, v97
	v_add_u32_e32 v96, 8, v96
	s_or_b64 s[4:5], vcc, s[4:5]
	s_waitcnt vmcnt(0) lgkmcnt(0)
	v_fmac_f64_e32 v[92:93], v[98:99], v[100:101]
	s_andn2_b64 exec, exec, s[4:5]
	s_cbranch_execnz .LBB44_433
; %bb.434:
	s_or_b64 exec, exec, s[4:5]
.LBB44_435:
	s_or_b64 exec, exec, s[10:11]
	v_mov_b32_e32 v96, 0
	ds_read_b64 v[96:97], v96
	s_waitcnt lgkmcnt(0)
	v_mul_f64 v[92:93], v[92:93], v[96:97]
	buffer_store_dword v93, off, s[0:3], 0 offset:4
	buffer_store_dword v92, off, s[0:3], 0
.LBB44_436:
	s_or_b64 exec, exec, s[6:7]
	s_mov_b64 s[4:5], 0
.LBB44_437:
	s_and_b64 vcc, exec, s[4:5]
	s_cbranch_vccz .LBB44_871
; %bb.438:
	buffer_load_dword v92, off, s[0:3], 0 offset:8
	buffer_load_dword v93, off, s[0:3], 0 offset:12
	v_cmp_eq_u32_e64 s[6:7], 0, v0
	s_waitcnt vmcnt(0)
	ds_write_b64 v94, v[92:93]
	s_waitcnt lgkmcnt(0)
	; wave barrier
	s_waitcnt lgkmcnt(0)
	s_and_saveexec_b64 s[4:5], s[6:7]
	s_cbranch_execz .LBB44_444
; %bb.439:
	s_and_b64 vcc, exec, s[8:9]
	s_cbranch_vccz .LBB44_441
; %bb.440:
	buffer_load_dword v92, v95, s[0:3], 0 offen
	buffer_load_dword v93, v95, s[0:3], 0 offen offset:4
	ds_read_b64 v[96:97], v94
	s_waitcnt vmcnt(0) lgkmcnt(0)
	v_mul_f64 v[92:93], v[92:93], v[96:97]
	s_cbranch_execz .LBB44_442
	s_branch .LBB44_443
.LBB44_441:
                                        ; implicit-def: $vgpr92_vgpr93
.LBB44_442:
	ds_read_b64 v[92:93], v94
.LBB44_443:
	v_mov_b32_e32 v96, 0
	ds_read_b64 v[96:97], v96 offset:8
	s_waitcnt lgkmcnt(0)
	v_mul_f64 v[92:93], v[92:93], v[96:97]
	buffer_store_dword v93, off, s[0:3], 0 offset:12
	buffer_store_dword v92, off, s[0:3], 0 offset:8
.LBB44_444:
	s_or_b64 exec, exec, s[4:5]
	buffer_load_dword v92, off, s[0:3], 0 offset:16
	buffer_load_dword v93, off, s[0:3], 0 offset:20
	v_cndmask_b32_e64 v96, 0, 1, s[8:9]
	v_cmp_gt_u32_e32 vcc, 2, v0
	v_cmp_ne_u32_e64 s[4:5], 1, v96
	s_waitcnt vmcnt(0)
	ds_write_b64 v94, v[92:93]
	s_waitcnt lgkmcnt(0)
	; wave barrier
	s_waitcnt lgkmcnt(0)
	s_and_saveexec_b64 s[8:9], vcc
	s_cbranch_execz .LBB44_452
; %bb.445:
	s_and_b64 vcc, exec, s[4:5]
	s_cbranch_vccnz .LBB44_447
; %bb.446:
	buffer_load_dword v92, v95, s[0:3], 0 offen
	buffer_load_dword v93, v95, s[0:3], 0 offen offset:4
	ds_read_b64 v[96:97], v94
	s_waitcnt vmcnt(0) lgkmcnt(0)
	v_mul_f64 v[92:93], v[92:93], v[96:97]
	s_cbranch_execz .LBB44_448
	s_branch .LBB44_449
.LBB44_447:
                                        ; implicit-def: $vgpr92_vgpr93
.LBB44_448:
	ds_read_b64 v[92:93], v94
.LBB44_449:
	s_and_saveexec_b64 s[10:11], s[6:7]
	s_cbranch_execz .LBB44_451
; %bb.450:
	buffer_load_dword v96, v95, s[0:3], 0 offen offset:8
	buffer_load_dword v97, v95, s[0:3], 0 offen offset:12
	ds_read_b64 v[98:99], v94 offset:8
	s_waitcnt vmcnt(0) lgkmcnt(0)
	v_fmac_f64_e32 v[92:93], v[96:97], v[98:99]
.LBB44_451:
	s_or_b64 exec, exec, s[10:11]
	v_mov_b32_e32 v96, 0
	ds_read_b64 v[96:97], v96 offset:16
	s_waitcnt lgkmcnt(0)
	v_mul_f64 v[92:93], v[92:93], v[96:97]
	buffer_store_dword v93, off, s[0:3], 0 offset:20
	buffer_store_dword v92, off, s[0:3], 0 offset:16
.LBB44_452:
	s_or_b64 exec, exec, s[8:9]
	buffer_load_dword v92, off, s[0:3], 0 offset:24
	buffer_load_dword v93, off, s[0:3], 0 offset:28
	v_cmp_gt_u32_e32 vcc, 3, v0
	s_waitcnt vmcnt(0)
	ds_write_b64 v94, v[92:93]
	s_waitcnt lgkmcnt(0)
	; wave barrier
	s_waitcnt lgkmcnt(0)
	s_and_saveexec_b64 s[8:9], vcc
	s_cbranch_execz .LBB44_460
; %bb.453:
	s_and_b64 vcc, exec, s[4:5]
	s_cbranch_vccnz .LBB44_455
; %bb.454:
	buffer_load_dword v92, v95, s[0:3], 0 offen
	buffer_load_dword v93, v95, s[0:3], 0 offen offset:4
	ds_read_b64 v[96:97], v94
	s_waitcnt vmcnt(0) lgkmcnt(0)
	v_mul_f64 v[92:93], v[92:93], v[96:97]
	s_cbranch_execz .LBB44_456
	s_branch .LBB44_457
.LBB44_455:
                                        ; implicit-def: $vgpr92_vgpr93
.LBB44_456:
	ds_read_b64 v[92:93], v94
.LBB44_457:
	v_cmp_ne_u32_e32 vcc, 2, v0
	s_and_saveexec_b64 s[10:11], vcc
	s_cbranch_execz .LBB44_459
; %bb.458:
	buffer_load_dword v97, v95, s[0:3], 0 offen offset:12
	buffer_load_dword v98, off, s[0:3], 0 offset:16
	buffer_load_dword v96, v95, s[0:3], 0 offen offset:8
	buffer_load_dword v99, off, s[0:3], 0 offset:20
	v_mov_b32_e32 v102, 0
	ds_read_b64 v[100:101], v94 offset:8
	ds_read_b64 v[102:103], v102 offset:384
	s_waitcnt vmcnt(1) lgkmcnt(1)
	v_fmac_f64_e32 v[92:93], v[96:97], v[100:101]
	s_waitcnt vmcnt(0) lgkmcnt(0)
	v_fma_f64 v[96:97], v[98:99], v[102:103], v[92:93]
	v_cndmask_b32_e64 v93, v93, v97, s[6:7]
	v_cndmask_b32_e64 v92, v92, v96, s[6:7]
.LBB44_459:
	s_or_b64 exec, exec, s[10:11]
	v_mov_b32_e32 v96, 0
	ds_read_b64 v[96:97], v96 offset:24
	s_waitcnt lgkmcnt(0)
	v_mul_f64 v[92:93], v[92:93], v[96:97]
	buffer_store_dword v93, off, s[0:3], 0 offset:28
	buffer_store_dword v92, off, s[0:3], 0 offset:24
.LBB44_460:
	s_or_b64 exec, exec, s[8:9]
	buffer_load_dword v92, off, s[0:3], 0 offset:32
	buffer_load_dword v93, off, s[0:3], 0 offset:36
	v_cmp_gt_u32_e32 vcc, 4, v0
	s_waitcnt vmcnt(0)
	ds_write_b64 v94, v[92:93]
	s_waitcnt lgkmcnt(0)
	; wave barrier
	s_waitcnt lgkmcnt(0)
	s_and_saveexec_b64 s[6:7], vcc
	s_cbranch_execz .LBB44_470
; %bb.461:
	s_and_b64 vcc, exec, s[4:5]
	s_cbranch_vccnz .LBB44_463
; %bb.462:
	buffer_load_dword v92, v95, s[0:3], 0 offen
	buffer_load_dword v93, v95, s[0:3], 0 offen offset:4
	ds_read_b64 v[96:97], v94
	s_waitcnt vmcnt(0) lgkmcnt(0)
	v_mul_f64 v[92:93], v[92:93], v[96:97]
	s_cbranch_execz .LBB44_464
	s_branch .LBB44_465
.LBB44_463:
                                        ; implicit-def: $vgpr92_vgpr93
.LBB44_464:
	ds_read_b64 v[92:93], v94
.LBB44_465:
	v_cmp_ne_u32_e32 vcc, 3, v0
	s_and_saveexec_b64 s[8:9], vcc
	s_cbranch_execz .LBB44_469
; %bb.466:
	v_mov_b32_e32 v97, 0
	v_add_u32_e32 v96, 0x178, v1
	v_add3_u32 v97, v1, v97, 8
	s_mov_b64 s[10:11], 0
	v_mov_b32_e32 v98, v0
.LBB44_467:                             ; =>This Inner Loop Header: Depth=1
	buffer_load_dword v100, v97, s[0:3], 0 offen
	buffer_load_dword v101, v97, s[0:3], 0 offen offset:4
	ds_read_b64 v[102:103], v96
	v_add_u32_e32 v98, 1, v98
	v_cmp_lt_u32_e32 vcc, 2, v98
	v_add_u32_e32 v96, 8, v96
	v_add_u32_e32 v97, 8, v97
	s_or_b64 s[10:11], vcc, s[10:11]
	s_waitcnt vmcnt(0) lgkmcnt(0)
	v_fmac_f64_e32 v[92:93], v[100:101], v[102:103]
	s_andn2_b64 exec, exec, s[10:11]
	s_cbranch_execnz .LBB44_467
; %bb.468:
	s_or_b64 exec, exec, s[10:11]
.LBB44_469:
	s_or_b64 exec, exec, s[8:9]
	v_mov_b32_e32 v96, 0
	ds_read_b64 v[96:97], v96 offset:32
	s_waitcnt lgkmcnt(0)
	v_mul_f64 v[92:93], v[92:93], v[96:97]
	buffer_store_dword v93, off, s[0:3], 0 offset:36
	buffer_store_dword v92, off, s[0:3], 0 offset:32
.LBB44_470:
	s_or_b64 exec, exec, s[6:7]
	buffer_load_dword v92, off, s[0:3], 0 offset:40
	buffer_load_dword v93, off, s[0:3], 0 offset:44
	v_cmp_gt_u32_e32 vcc, 5, v0
	s_waitcnt vmcnt(0)
	ds_write_b64 v94, v[92:93]
	s_waitcnt lgkmcnt(0)
	; wave barrier
	s_waitcnt lgkmcnt(0)
	s_and_saveexec_b64 s[6:7], vcc
	s_cbranch_execz .LBB44_480
; %bb.471:
	s_and_b64 vcc, exec, s[4:5]
	s_cbranch_vccnz .LBB44_473
; %bb.472:
	buffer_load_dword v92, v95, s[0:3], 0 offen
	buffer_load_dword v93, v95, s[0:3], 0 offen offset:4
	ds_read_b64 v[96:97], v94
	s_waitcnt vmcnt(0) lgkmcnt(0)
	v_mul_f64 v[92:93], v[92:93], v[96:97]
	s_cbranch_execz .LBB44_474
	s_branch .LBB44_475
.LBB44_473:
                                        ; implicit-def: $vgpr92_vgpr93
.LBB44_474:
	ds_read_b64 v[92:93], v94
.LBB44_475:
	v_cmp_ne_u32_e32 vcc, 4, v0
	s_and_saveexec_b64 s[8:9], vcc
	s_cbranch_execz .LBB44_479
; %bb.476:
	v_mov_b32_e32 v97, 0
	v_add_u32_e32 v96, 0x178, v1
	v_add3_u32 v97, v1, v97, 8
	s_mov_b64 s[10:11], 0
	v_mov_b32_e32 v98, v0
.LBB44_477:                             ; =>This Inner Loop Header: Depth=1
	buffer_load_dword v100, v97, s[0:3], 0 offen
	buffer_load_dword v101, v97, s[0:3], 0 offen offset:4
	ds_read_b64 v[102:103], v96
	v_add_u32_e32 v98, 1, v98
	v_cmp_lt_u32_e32 vcc, 3, v98
	v_add_u32_e32 v96, 8, v96
	v_add_u32_e32 v97, 8, v97
	s_or_b64 s[10:11], vcc, s[10:11]
	s_waitcnt vmcnt(0) lgkmcnt(0)
	v_fmac_f64_e32 v[92:93], v[100:101], v[102:103]
	s_andn2_b64 exec, exec, s[10:11]
	s_cbranch_execnz .LBB44_477
; %bb.478:
	s_or_b64 exec, exec, s[10:11]
.LBB44_479:
	s_or_b64 exec, exec, s[8:9]
	v_mov_b32_e32 v96, 0
	ds_read_b64 v[96:97], v96 offset:40
	s_waitcnt lgkmcnt(0)
	v_mul_f64 v[92:93], v[92:93], v[96:97]
	buffer_store_dword v93, off, s[0:3], 0 offset:44
	buffer_store_dword v92, off, s[0:3], 0 offset:40
.LBB44_480:
	;; [unrolled: 60-line block ×39, first 2 shown]
	s_or_b64 exec, exec, s[6:7]
	buffer_load_dword v92, off, s[0:3], 0 offset:344
	buffer_load_dword v93, off, s[0:3], 0 offset:348
	v_cmp_gt_u32_e64 s[6:7], 43, v0
	s_waitcnt vmcnt(0)
	ds_write_b64 v94, v[92:93]
	s_waitcnt lgkmcnt(0)
	; wave barrier
	s_waitcnt lgkmcnt(0)
	s_and_saveexec_b64 s[8:9], s[6:7]
	s_cbranch_execz .LBB44_860
; %bb.851:
	s_and_b64 vcc, exec, s[4:5]
	s_cbranch_vccnz .LBB44_853
; %bb.852:
	buffer_load_dword v92, v95, s[0:3], 0 offen
	buffer_load_dword v93, v95, s[0:3], 0 offen offset:4
	ds_read_b64 v[96:97], v94
	s_waitcnt vmcnt(0) lgkmcnt(0)
	v_mul_f64 v[92:93], v[92:93], v[96:97]
	s_cbranch_execz .LBB44_854
	s_branch .LBB44_855
.LBB44_853:
                                        ; implicit-def: $vgpr92_vgpr93
.LBB44_854:
	ds_read_b64 v[92:93], v94
.LBB44_855:
	v_cmp_ne_u32_e32 vcc, 42, v0
	s_and_saveexec_b64 s[10:11], vcc
	s_cbranch_execz .LBB44_859
; %bb.856:
	v_mov_b32_e32 v97, 0
	v_add_u32_e32 v96, 0x178, v1
	v_add3_u32 v97, v1, v97, 8
	s_mov_b64 s[12:13], 0
	v_mov_b32_e32 v98, v0
.LBB44_857:                             ; =>This Inner Loop Header: Depth=1
	buffer_load_dword v100, v97, s[0:3], 0 offen
	buffer_load_dword v101, v97, s[0:3], 0 offen offset:4
	ds_read_b64 v[102:103], v96
	v_add_u32_e32 v98, 1, v98
	v_cmp_lt_u32_e32 vcc, 41, v98
	v_add_u32_e32 v96, 8, v96
	v_add_u32_e32 v97, 8, v97
	s_or_b64 s[12:13], vcc, s[12:13]
	s_waitcnt vmcnt(0) lgkmcnt(0)
	v_fmac_f64_e32 v[92:93], v[100:101], v[102:103]
	s_andn2_b64 exec, exec, s[12:13]
	s_cbranch_execnz .LBB44_857
; %bb.858:
	s_or_b64 exec, exec, s[12:13]
.LBB44_859:
	s_or_b64 exec, exec, s[10:11]
	v_mov_b32_e32 v96, 0
	ds_read_b64 v[96:97], v96 offset:344
	s_waitcnt lgkmcnt(0)
	v_mul_f64 v[92:93], v[92:93], v[96:97]
	buffer_store_dword v93, off, s[0:3], 0 offset:348
	buffer_store_dword v92, off, s[0:3], 0 offset:344
.LBB44_860:
	s_or_b64 exec, exec, s[8:9]
	buffer_load_dword v92, off, s[0:3], 0 offset:352
	buffer_load_dword v93, off, s[0:3], 0 offset:356
	v_cmp_ne_u32_e32 vcc, 44, v0
	s_waitcnt vmcnt(0)
	ds_write_b64 v94, v[92:93]
	s_waitcnt lgkmcnt(0)
	; wave barrier
	s_waitcnt lgkmcnt(0)
	s_and_saveexec_b64 s[8:9], vcc
	s_cbranch_execz .LBB44_870
; %bb.861:
	s_and_b64 vcc, exec, s[4:5]
	s_cbranch_vccnz .LBB44_863
; %bb.862:
	buffer_load_dword v92, v95, s[0:3], 0 offen
	buffer_load_dword v93, v95, s[0:3], 0 offen offset:4
	ds_read_b64 v[96:97], v94
	s_waitcnt vmcnt(0) lgkmcnt(0)
	v_mul_f64 v[92:93], v[92:93], v[96:97]
	s_cbranch_execz .LBB44_864
	s_branch .LBB44_865
.LBB44_863:
                                        ; implicit-def: $vgpr92_vgpr93
.LBB44_864:
	ds_read_b64 v[92:93], v94
.LBB44_865:
	s_and_saveexec_b64 s[4:5], s[6:7]
	s_cbranch_execz .LBB44_869
; %bb.866:
	v_mov_b32_e32 v95, 0
	v_add_u32_e32 v94, 0x178, v1
	v_add3_u32 v1, v1, v95, 8
	s_mov_b64 s[6:7], 0
.LBB44_867:                             ; =>This Inner Loop Header: Depth=1
	buffer_load_dword v96, v1, s[0:3], 0 offen
	buffer_load_dword v97, v1, s[0:3], 0 offen offset:4
	ds_read_b64 v[98:99], v94
	v_add_u32_e32 v0, 1, v0
	v_cmp_lt_u32_e32 vcc, 42, v0
	v_add_u32_e32 v94, 8, v94
	v_add_u32_e32 v1, 8, v1
	s_or_b64 s[6:7], vcc, s[6:7]
	s_waitcnt vmcnt(0) lgkmcnt(0)
	v_fmac_f64_e32 v[92:93], v[96:97], v[98:99]
	s_andn2_b64 exec, exec, s[6:7]
	s_cbranch_execnz .LBB44_867
; %bb.868:
	s_or_b64 exec, exec, s[6:7]
.LBB44_869:
	s_or_b64 exec, exec, s[4:5]
	v_mov_b32_e32 v0, 0
	ds_read_b64 v[0:1], v0 offset:352
	s_waitcnt lgkmcnt(0)
	v_mul_f64 v[0:1], v[92:93], v[0:1]
	buffer_store_dword v1, off, s[0:3], 0 offset:356
	buffer_store_dword v0, off, s[0:3], 0 offset:352
.LBB44_870:
	s_or_b64 exec, exec, s[8:9]
.LBB44_871:
	buffer_load_dword v0, off, s[0:3], 0
	buffer_load_dword v1, off, s[0:3], 0 offset:4
	buffer_load_dword v92, off, s[0:3], 0 offset:8
	;; [unrolled: 1-line block ×15, first 2 shown]
	s_waitcnt vmcnt(14)
	global_store_dwordx2 v[2:3], v[0:1], off
	s_waitcnt vmcnt(13)
	global_store_dwordx2 v[4:5], v[92:93], off
	;; [unrolled: 2-line block ×8, first 2 shown]
	buffer_load_dword v1, off, s[0:3], 0 offset:68
	buffer_load_dword v0, off, s[0:3], 0 offset:64
	s_waitcnt vmcnt(0)
	global_store_dwordx2 v[20:21], v[0:1], off
	buffer_load_dword v0, off, s[0:3], 0 offset:72
	s_nop 0
	buffer_load_dword v1, off, s[0:3], 0 offset:76
	s_waitcnt vmcnt(0)
	global_store_dwordx2 v[18:19], v[0:1], off
	buffer_load_dword v0, off, s[0:3], 0 offset:80
	s_nop 0
	;; [unrolled: 5-line block ×36, first 2 shown]
	buffer_load_dword v1, off, s[0:3], 0 offset:356
	s_waitcnt vmcnt(0)
	global_store_dwordx2 v[84:85], v[0:1], off
.LBB44_872:
	s_endpgm
	.section	.rodata,"a",@progbits
	.p2align	6, 0x0
	.amdhsa_kernel _ZN9rocsolver6v33100L18trti2_kernel_smallILi45EdPdEEv13rocblas_fill_17rocblas_diagonal_T1_iil
		.amdhsa_group_segment_fixed_size 728
		.amdhsa_private_segment_fixed_size 368
		.amdhsa_kernarg_size 32
		.amdhsa_user_sgpr_count 8
		.amdhsa_user_sgpr_private_segment_buffer 1
		.amdhsa_user_sgpr_dispatch_ptr 0
		.amdhsa_user_sgpr_queue_ptr 0
		.amdhsa_user_sgpr_kernarg_segment_ptr 1
		.amdhsa_user_sgpr_dispatch_id 0
		.amdhsa_user_sgpr_flat_scratch_init 1
		.amdhsa_user_sgpr_kernarg_preload_length 0
		.amdhsa_user_sgpr_kernarg_preload_offset 0
		.amdhsa_user_sgpr_private_segment_size 0
		.amdhsa_uses_dynamic_stack 0
		.amdhsa_system_sgpr_private_segment_wavefront_offset 1
		.amdhsa_system_sgpr_workgroup_id_x 1
		.amdhsa_system_sgpr_workgroup_id_y 0
		.amdhsa_system_sgpr_workgroup_id_z 0
		.amdhsa_system_sgpr_workgroup_info 0
		.amdhsa_system_vgpr_workitem_id 0
		.amdhsa_next_free_vgpr 166
		.amdhsa_next_free_sgpr 20
		.amdhsa_accum_offset 168
		.amdhsa_reserve_vcc 1
		.amdhsa_reserve_flat_scratch 0
		.amdhsa_float_round_mode_32 0
		.amdhsa_float_round_mode_16_64 0
		.amdhsa_float_denorm_mode_32 3
		.amdhsa_float_denorm_mode_16_64 3
		.amdhsa_dx10_clamp 1
		.amdhsa_ieee_mode 1
		.amdhsa_fp16_overflow 0
		.amdhsa_tg_split 0
		.amdhsa_exception_fp_ieee_invalid_op 0
		.amdhsa_exception_fp_denorm_src 0
		.amdhsa_exception_fp_ieee_div_zero 0
		.amdhsa_exception_fp_ieee_overflow 0
		.amdhsa_exception_fp_ieee_underflow 0
		.amdhsa_exception_fp_ieee_inexact 0
		.amdhsa_exception_int_div_zero 0
	.end_amdhsa_kernel
	.section	.text._ZN9rocsolver6v33100L18trti2_kernel_smallILi45EdPdEEv13rocblas_fill_17rocblas_diagonal_T1_iil,"axG",@progbits,_ZN9rocsolver6v33100L18trti2_kernel_smallILi45EdPdEEv13rocblas_fill_17rocblas_diagonal_T1_iil,comdat
.Lfunc_end44:
	.size	_ZN9rocsolver6v33100L18trti2_kernel_smallILi45EdPdEEv13rocblas_fill_17rocblas_diagonal_T1_iil, .Lfunc_end44-_ZN9rocsolver6v33100L18trti2_kernel_smallILi45EdPdEEv13rocblas_fill_17rocblas_diagonal_T1_iil
                                        ; -- End function
	.section	.AMDGPU.csdata,"",@progbits
; Kernel info:
; codeLenInByte = 26532
; NumSgprs: 24
; NumVgprs: 166
; NumAgprs: 0
; TotalNumVgprs: 166
; ScratchSize: 368
; MemoryBound: 0
; FloatMode: 240
; IeeeMode: 1
; LDSByteSize: 728 bytes/workgroup (compile time only)
; SGPRBlocks: 2
; VGPRBlocks: 20
; NumSGPRsForWavesPerEU: 24
; NumVGPRsForWavesPerEU: 166
; AccumOffset: 168
; Occupancy: 3
; WaveLimiterHint : 0
; COMPUTE_PGM_RSRC2:SCRATCH_EN: 1
; COMPUTE_PGM_RSRC2:USER_SGPR: 8
; COMPUTE_PGM_RSRC2:TRAP_HANDLER: 0
; COMPUTE_PGM_RSRC2:TGID_X_EN: 1
; COMPUTE_PGM_RSRC2:TGID_Y_EN: 0
; COMPUTE_PGM_RSRC2:TGID_Z_EN: 0
; COMPUTE_PGM_RSRC2:TIDIG_COMP_CNT: 0
; COMPUTE_PGM_RSRC3_GFX90A:ACCUM_OFFSET: 41
; COMPUTE_PGM_RSRC3_GFX90A:TG_SPLIT: 0
	.section	.text._ZN9rocsolver6v33100L18trti2_kernel_smallILi46EdPdEEv13rocblas_fill_17rocblas_diagonal_T1_iil,"axG",@progbits,_ZN9rocsolver6v33100L18trti2_kernel_smallILi46EdPdEEv13rocblas_fill_17rocblas_diagonal_T1_iil,comdat
	.globl	_ZN9rocsolver6v33100L18trti2_kernel_smallILi46EdPdEEv13rocblas_fill_17rocblas_diagonal_T1_iil ; -- Begin function _ZN9rocsolver6v33100L18trti2_kernel_smallILi46EdPdEEv13rocblas_fill_17rocblas_diagonal_T1_iil
	.p2align	8
	.type	_ZN9rocsolver6v33100L18trti2_kernel_smallILi46EdPdEEv13rocblas_fill_17rocblas_diagonal_T1_iil,@function
_ZN9rocsolver6v33100L18trti2_kernel_smallILi46EdPdEEv13rocblas_fill_17rocblas_diagonal_T1_iil: ; @_ZN9rocsolver6v33100L18trti2_kernel_smallILi46EdPdEEv13rocblas_fill_17rocblas_diagonal_T1_iil
; %bb.0:
	s_add_u32 s0, s0, s9
	s_addc_u32 s1, s1, 0
	v_cmp_gt_u32_e32 vcc, 46, v0
	s_and_saveexec_b64 s[6:7], vcc
	s_cbranch_execz .LBB45_892
; %bb.1:
	s_load_dwordx8 s[12:19], s[4:5], 0x0
	s_ashr_i32 s6, s8, 31
	s_waitcnt lgkmcnt(0)
	s_mul_i32 s7, s8, s19
	s_mul_hi_u32 s9, s8, s18
	s_add_i32 s7, s9, s7
	s_mul_i32 s6, s6, s18
	s_add_i32 s7, s7, s6
	s_mul_i32 s6, s8, s18
	s_ashr_i32 s5, s16, 31
	s_lshl_b64 s[6:7], s[6:7], 3
	s_mov_b32 s4, s16
	s_add_u32 s6, s14, s6
	s_addc_u32 s7, s15, s7
	s_lshl_b64 s[4:5], s[4:5], 3
	s_add_u32 s4, s6, s4
	s_addc_u32 s5, s7, s5
	s_add_i32 s6, s17, s17
	v_add_u32_e32 v4, s6, v0
	v_ashrrev_i32_e32 v5, 31, v4
	v_lshlrev_b64 v[2:3], 3, v[4:5]
	v_add_u32_e32 v6, s17, v4
	v_mov_b32_e32 v1, s5
	v_add_co_u32_e32 v2, vcc, s4, v2
	v_ashrrev_i32_e32 v7, 31, v6
	v_addc_co_u32_e32 v3, vcc, v1, v3, vcc
	v_lshlrev_b64 v[4:5], 3, v[6:7]
	v_add_u32_e32 v8, s17, v6
	v_add_co_u32_e32 v4, vcc, s4, v4
	v_ashrrev_i32_e32 v9, 31, v8
	v_addc_co_u32_e32 v5, vcc, v1, v5, vcc
	v_lshlrev_b64 v[6:7], 3, v[8:9]
	v_add_u32_e32 v10, s17, v8
	;; [unrolled: 5-line block ×5, first 2 shown]
	v_add_co_u32_e32 v14, vcc, s4, v14
	v_ashrrev_i32_e32 v13, 31, v12
	v_addc_co_u32_e32 v15, vcc, v1, v15, vcc
	v_lshlrev_b64 v[16:17], 3, v[12:13]
	v_add_co_u32_e32 v20, vcc, s4, v16
	v_add_u32_e32 v16, s17, v12
	v_addc_co_u32_e32 v21, vcc, v1, v17, vcc
	v_ashrrev_i32_e32 v17, 31, v16
	v_lshlrev_b64 v[12:13], 3, v[16:17]
	v_add_u32_e32 v18, s17, v16
	v_add_co_u32_e32 v12, vcc, s4, v12
	v_ashrrev_i32_e32 v19, 31, v18
	v_addc_co_u32_e32 v13, vcc, v1, v13, vcc
	v_lshlrev_b64 v[16:17], 3, v[18:19]
	v_add_u32_e32 v22, s17, v18
	v_add_co_u32_e32 v16, vcc, s4, v16
	v_ashrrev_i32_e32 v23, 31, v22
	v_addc_co_u32_e32 v17, vcc, v1, v17, vcc
	;; [unrolled: 5-line block ×29, first 2 shown]
	v_lshlrev_b64 v[74:75], 3, v[76:77]
	v_add_co_u32_e32 v74, vcc, s4, v74
	v_addc_co_u32_e32 v75, vcc, v1, v75, vcc
	v_lshlrev_b32_e32 v1, 3, v0
	v_add_u32_e32 v78, s17, v76
	global_load_dwordx2 v[94:95], v1, s[4:5]
	global_load_dwordx2 v[98:99], v[2:3], off
	global_load_dwordx2 v[100:101], v[4:5], off
	v_mov_b32_e32 v76, s5
	v_add_co_u32_e32 v90, vcc, s4, v1
	s_ashr_i32 s7, s17, 31
	s_mov_b32 s6, s17
	v_addc_co_u32_e32 v91, vcc, 0, v76, vcc
	s_lshl_b64 s[6:7], s[6:7], 3
	v_mov_b32_e32 v76, s7
	v_add_co_u32_e32 v92, vcc, s6, v90
	v_addc_co_u32_e32 v93, vcc, v91, v76, vcc
	global_load_dwordx2 v[96:97], v[92:93], off
	global_load_dwordx2 v[102:103], v[6:7], off
	;; [unrolled: 1-line block ×8, first 2 shown]
	v_ashrrev_i32_e32 v79, 31, v78
	v_lshlrev_b64 v[76:77], 3, v[78:79]
	v_add_u32_e32 v78, s17, v78
	v_mov_b32_e32 v80, s5
	v_add_co_u32_e32 v76, vcc, s4, v76
	v_ashrrev_i32_e32 v79, 31, v78
	v_addc_co_u32_e32 v77, vcc, v80, v77, vcc
	v_lshlrev_b64 v[80:81], 3, v[78:79]
	v_add_u32_e32 v78, s17, v78
	v_mov_b32_e32 v82, s5
	v_add_co_u32_e32 v80, vcc, s4, v80
	v_ashrrev_i32_e32 v79, 31, v78
	v_addc_co_u32_e32 v81, vcc, v82, v81, vcc
	;; [unrolled: 6-line block ×6, first 2 shown]
	v_lshlrev_b64 v[78:79], 3, v[78:79]
	v_mov_b32_e32 v136, s5
	v_add_co_u32_e32 v78, vcc, s4, v78
	global_load_dwordx2 v[116:117], v[18:19], off
	global_load_dwordx2 v[118:119], v[22:23], off
	;; [unrolled: 1-line block ×10, first 2 shown]
	v_addc_co_u32_e32 v79, vcc, v136, v79, vcc
	global_load_dwordx2 v[136:137], v[40:41], off
	global_load_dwordx2 v[138:139], v[78:79], off
	;; [unrolled: 1-line block ×14, first 2 shown]
	s_cmpk_lg_i32 s13, 0x84
	s_waitcnt vmcnt(34)
	buffer_store_dword v95, off, s[0:3], 0 offset:4
	buffer_store_dword v94, off, s[0:3], 0
	global_load_dwordx2 v[94:95], v[46:47], off
	s_cselect_b64 s[8:9], -1, 0
	s_waitcnt vmcnt(34)
	buffer_store_dword v97, off, s[0:3], 0 offset:12
	buffer_store_dword v96, off, s[0:3], 0 offset:8
	global_load_dwordx2 v[96:97], v[50:51], off
	s_cmpk_eq_i32 s13, 0x84
	buffer_store_dword v99, off, s[0:3], 0 offset:20
	buffer_store_dword v98, off, s[0:3], 0 offset:16
	global_load_dwordx2 v[98:99], v[54:55], off
	s_nop 0
	buffer_store_dword v101, off, s[0:3], 0 offset:28
	buffer_store_dword v100, off, s[0:3], 0 offset:24
	global_load_dwordx2 v[100:101], v[58:59], off
	s_waitcnt vmcnt(42)
	buffer_store_dword v103, off, s[0:3], 0 offset:36
	buffer_store_dword v102, off, s[0:3], 0 offset:32
	global_load_dwordx2 v[102:103], v[62:63], off
	s_waitcnt vmcnt(44)
	;; [unrolled: 4-line block ×6, first 2 shown]
	buffer_store_dword v112, off, s[0:3], 0 offset:72
	buffer_store_dword v113, off, s[0:3], 0 offset:76
	global_load_dwordx2 v[112:113], v[84:85], off
	s_nop 0
	buffer_store_dword v114, off, s[0:3], 0 offset:80
	buffer_store_dword v115, off, s[0:3], 0 offset:84
	global_load_dwordx2 v[114:115], v[88:89], off
	s_waitcnt vmcnt(56)
	buffer_store_dword v116, off, s[0:3], 0 offset:88
	buffer_store_dword v117, off, s[0:3], 0 offset:92
	s_waitcnt vmcnt(57)
	buffer_store_dword v118, off, s[0:3], 0 offset:96
	buffer_store_dword v119, off, s[0:3], 0 offset:100
	;; [unrolled: 3-line block ×8, first 2 shown]
	buffer_store_dword v133, off, s[0:3], 0 offset:156
	buffer_store_dword v132, off, s[0:3], 0 offset:152
	s_waitcnt vmcnt(62)
	buffer_store_dword v135, off, s[0:3], 0 offset:164
	buffer_store_dword v134, off, s[0:3], 0 offset:160
	;; [unrolled: 1-line block ×6, first 2 shown]
	s_waitcnt vmcnt(62)
	buffer_store_dword v142, off, s[0:3], 0 offset:184
	buffer_store_dword v143, off, s[0:3], 0 offset:188
	s_waitcnt vmcnt(56)
	buffer_store_dword v94, off, s[0:3], 0 offset:192
	buffer_store_dword v95, off, s[0:3], 0 offset:196
	buffer_store_dword v145, off, s[0:3], 0 offset:204
	buffer_store_dword v144, off, s[0:3], 0 offset:200
	s_waitcnt vmcnt(57)
	buffer_store_dword v97, off, s[0:3], 0 offset:212
	buffer_store_dword v96, off, s[0:3], 0 offset:208
	;; [unrolled: 5-line block ×10, first 2 shown]
	buffer_store_dword v163, off, s[0:3], 0 offset:348
	buffer_store_dword v162, off, s[0:3], 0 offset:344
	;; [unrolled: 1-line block ×6, first 2 shown]
	v_mov_b32_e32 v94, 0
	v_mov_b32_e32 v140, 0
	;; [unrolled: 1-line block ×3, first 2 shown]
	s_cbranch_scc1 .LBB45_3
; %bb.2:
	v_lshl_add_u32 v104, v0, 3, v140
	buffer_load_dword v94, v104, s[0:3], 0 offen
	buffer_load_dword v95, v104, s[0:3], 0 offen offset:4
	s_waitcnt vmcnt(0)
	v_div_scale_f64 v[96:97], s[4:5], v[94:95], v[94:95], 1.0
	v_rcp_f64_e32 v[98:99], v[96:97]
	v_div_scale_f64 v[100:101], vcc, 1.0, v[94:95], 1.0
	v_fma_f64 v[102:103], -v[96:97], v[98:99], 1.0
	v_fmac_f64_e32 v[98:99], v[98:99], v[102:103]
	v_fma_f64 v[102:103], -v[96:97], v[98:99], 1.0
	v_fmac_f64_e32 v[98:99], v[98:99], v[102:103]
	v_mul_f64 v[102:103], v[100:101], v[98:99]
	v_fma_f64 v[96:97], -v[96:97], v[102:103], v[100:101]
	v_div_fmas_f64 v[96:97], v[96:97], v[98:99], v[102:103]
	v_div_fixup_f64 v[94:95], v[96:97], v[94:95], 1.0
	buffer_store_dword v94, v104, s[0:3], 0 offen
	buffer_store_dword v95, v104, s[0:3], 0 offen offset:4
	v_xor_b32_e32 v95, 0x80000000, v95
.LBB45_3:
	s_cmpk_eq_i32 s12, 0x79
	v_add_u32_e32 v96, 0x170, v1
	v_add_u32_e32 v97, 0, v1
	s_mov_b64 s[4:5], -1
	ds_write_b64 v1, v[94:95]
	s_cbranch_scc1 .LBB45_447
; %bb.4:
	buffer_load_dword v94, off, s[0:3], 0 offset:352
	buffer_load_dword v95, off, s[0:3], 0 offset:356
	v_cmp_eq_u32_e64 s[4:5], 45, v0
	s_waitcnt vmcnt(0)
	ds_write_b64 v96, v[94:95]
	s_waitcnt lgkmcnt(0)
	; wave barrier
	s_waitcnt lgkmcnt(0)
	s_and_saveexec_b64 s[6:7], s[4:5]
	s_cbranch_execz .LBB45_10
; %bb.5:
	s_and_b64 vcc, exec, s[8:9]
	s_cbranch_vccz .LBB45_7
; %bb.6:
	buffer_load_dword v94, v97, s[0:3], 0 offen
	buffer_load_dword v95, v97, s[0:3], 0 offen offset:4
	ds_read_b64 v[98:99], v96
	s_waitcnt vmcnt(0) lgkmcnt(0)
	v_mul_f64 v[94:95], v[94:95], v[98:99]
	s_cbranch_execz .LBB45_8
	s_branch .LBB45_9
.LBB45_7:
                                        ; implicit-def: $vgpr94_vgpr95
.LBB45_8:
	ds_read_b64 v[94:95], v96
.LBB45_9:
	v_mov_b32_e32 v98, 0
	ds_read_b64 v[98:99], v98 offset:352
	s_waitcnt lgkmcnt(0)
	v_mul_f64 v[94:95], v[94:95], v[98:99]
	buffer_store_dword v95, off, s[0:3], 0 offset:356
	buffer_store_dword v94, off, s[0:3], 0 offset:352
.LBB45_10:
	s_or_b64 exec, exec, s[6:7]
	buffer_load_dword v94, off, s[0:3], 0 offset:344
	buffer_load_dword v95, off, s[0:3], 0 offset:348
	v_or_b32_e32 v98, 8, v140
	v_add_u32_e32 v99, 16, v140
	v_add_u32_e32 v100, 24, v140
	;; [unrolled: 1-line block ×42, first 2 shown]
	v_cmp_lt_u32_e64 s[6:7], 43, v0
	s_waitcnt vmcnt(0)
	ds_write_b64 v96, v[94:95]
	s_waitcnt lgkmcnt(0)
	; wave barrier
	s_waitcnt lgkmcnt(0)
	s_and_saveexec_b64 s[10:11], s[6:7]
	s_cbranch_execz .LBB45_16
; %bb.11:
	s_andn2_b64 vcc, exec, s[8:9]
	s_cbranch_vccnz .LBB45_13
; %bb.12:
	buffer_load_dword v94, v97, s[0:3], 0 offen
	buffer_load_dword v95, v97, s[0:3], 0 offen offset:4
	ds_read_b64 v[142:143], v96
	s_waitcnt vmcnt(0) lgkmcnt(0)
	v_mul_f64 v[94:95], v[94:95], v[142:143]
	s_cbranch_execz .LBB45_14
	s_branch .LBB45_15
.LBB45_13:
                                        ; implicit-def: $vgpr94_vgpr95
.LBB45_14:
	ds_read_b64 v[94:95], v96
.LBB45_15:
	buffer_load_dword v146, off, s[0:3], 0 offset:352
	buffer_load_dword v147, off, s[0:3], 0 offset:356
	v_mov_b32_e32 v141, 0
	ds_read2_b64 v[142:145], v141 offset0:43 offset1:90
	s_waitcnt vmcnt(0) lgkmcnt(0)
	v_fma_f64 v[144:145], v[146:147], v[144:145], v[94:95]
	v_cndmask_b32_e64 v95, v95, v145, s[4:5]
	v_cndmask_b32_e64 v94, v94, v144, s[4:5]
	v_mul_f64 v[94:95], v[94:95], v[142:143]
	buffer_store_dword v95, off, s[0:3], 0 offset:348
	buffer_store_dword v94, off, s[0:3], 0 offset:344
.LBB45_16:
	s_or_b64 exec, exec, s[10:11]
	buffer_load_dword v94, off, s[0:3], 0 offset:336
	buffer_load_dword v95, off, s[0:3], 0 offset:340
	v_cmp_lt_u32_e64 s[4:5], 42, v0
	s_waitcnt vmcnt(0)
	ds_write_b64 v96, v[94:95]
	s_waitcnt lgkmcnt(0)
	; wave barrier
	s_waitcnt lgkmcnt(0)
	s_and_saveexec_b64 s[10:11], s[4:5]
	s_cbranch_execz .LBB45_26
; %bb.17:
	s_andn2_b64 vcc, exec, s[8:9]
	s_cbranch_vccnz .LBB45_19
; %bb.18:
	buffer_load_dword v94, v97, s[0:3], 0 offen
	buffer_load_dword v95, v97, s[0:3], 0 offen offset:4
	ds_read_b64 v[142:143], v96
	s_waitcnt vmcnt(0) lgkmcnt(0)
	v_mul_f64 v[94:95], v[94:95], v[142:143]
	s_cbranch_execz .LBB45_20
	s_branch .LBB45_21
.LBB45_19:
                                        ; implicit-def: $vgpr94_vgpr95
.LBB45_20:
	ds_read_b64 v[94:95], v96
.LBB45_21:
	s_and_saveexec_b64 s[12:13], s[6:7]
	s_cbranch_execz .LBB45_25
; %bb.22:
	v_subrev_u32_e32 v141, 43, v0
	s_movk_i32 s14, 0x2c8
	s_mov_b64 s[6:7], 0
.LBB45_23:                              ; =>This Inner Loop Header: Depth=1
	buffer_load_dword v142, v140, s[0:3], 0 offen
	buffer_load_dword v143, v140, s[0:3], 0 offen offset:4
	v_mov_b32_e32 v144, s14
	ds_read_b64 v[144:145], v144
	v_add_u32_e32 v141, -1, v141
	s_add_i32 s14, s14, 8
	v_cmp_eq_u32_e32 vcc, 0, v141
	v_add_u32_e32 v140, 8, v140
	s_or_b64 s[6:7], vcc, s[6:7]
	s_waitcnt vmcnt(0) lgkmcnt(0)
	v_fmac_f64_e32 v[94:95], v[142:143], v[144:145]
	s_andn2_b64 exec, exec, s[6:7]
	s_cbranch_execnz .LBB45_23
; %bb.24:
	s_or_b64 exec, exec, s[6:7]
.LBB45_25:
	s_or_b64 exec, exec, s[12:13]
	v_mov_b32_e32 v140, 0
	ds_read_b64 v[140:141], v140 offset:336
	s_waitcnt lgkmcnt(0)
	v_mul_f64 v[94:95], v[94:95], v[140:141]
	buffer_store_dword v95, off, s[0:3], 0 offset:340
	buffer_store_dword v94, off, s[0:3], 0 offset:336
.LBB45_26:
	s_or_b64 exec, exec, s[10:11]
	buffer_load_dword v94, off, s[0:3], 0 offset:328
	buffer_load_dword v95, off, s[0:3], 0 offset:332
	v_cmp_lt_u32_e64 s[6:7], 41, v0
	s_waitcnt vmcnt(0)
	ds_write_b64 v96, v[94:95]
	s_waitcnt lgkmcnt(0)
	; wave barrier
	s_waitcnt lgkmcnt(0)
	s_and_saveexec_b64 s[10:11], s[6:7]
	s_cbranch_execz .LBB45_36
; %bb.27:
	s_andn2_b64 vcc, exec, s[8:9]
	s_cbranch_vccnz .LBB45_29
; %bb.28:
	buffer_load_dword v94, v97, s[0:3], 0 offen
	buffer_load_dword v95, v97, s[0:3], 0 offen offset:4
	ds_read_b64 v[140:141], v96
	s_waitcnt vmcnt(0) lgkmcnt(0)
	v_mul_f64 v[94:95], v[94:95], v[140:141]
	s_cbranch_execz .LBB45_30
	s_branch .LBB45_31
.LBB45_29:
                                        ; implicit-def: $vgpr94_vgpr95
.LBB45_30:
	ds_read_b64 v[94:95], v96
.LBB45_31:
	s_and_saveexec_b64 s[12:13], s[4:5]
	s_cbranch_execz .LBB45_35
; %bb.32:
	v_subrev_u32_e32 v140, 42, v0
	s_movk_i32 s14, 0x2c0
	s_mov_b64 s[4:5], 0
.LBB45_33:                              ; =>This Inner Loop Header: Depth=1
	buffer_load_dword v142, v139, s[0:3], 0 offen
	buffer_load_dword v143, v139, s[0:3], 0 offen offset:4
	v_mov_b32_e32 v141, s14
	ds_read_b64 v[144:145], v141
	v_add_u32_e32 v140, -1, v140
	s_add_i32 s14, s14, 8
	v_cmp_eq_u32_e32 vcc, 0, v140
	v_add_u32_e32 v139, 8, v139
	s_or_b64 s[4:5], vcc, s[4:5]
	s_waitcnt vmcnt(0) lgkmcnt(0)
	v_fmac_f64_e32 v[94:95], v[142:143], v[144:145]
	s_andn2_b64 exec, exec, s[4:5]
	s_cbranch_execnz .LBB45_33
; %bb.34:
	s_or_b64 exec, exec, s[4:5]
.LBB45_35:
	s_or_b64 exec, exec, s[12:13]
	v_mov_b32_e32 v139, 0
	ds_read_b64 v[140:141], v139 offset:328
	s_waitcnt lgkmcnt(0)
	v_mul_f64 v[94:95], v[94:95], v[140:141]
	buffer_store_dword v95, off, s[0:3], 0 offset:332
	buffer_store_dword v94, off, s[0:3], 0 offset:328
.LBB45_36:
	s_or_b64 exec, exec, s[10:11]
	buffer_load_dword v94, off, s[0:3], 0 offset:320
	buffer_load_dword v95, off, s[0:3], 0 offset:324
	v_cmp_lt_u32_e64 s[4:5], 40, v0
	s_waitcnt vmcnt(0)
	ds_write_b64 v96, v[94:95]
	s_waitcnt lgkmcnt(0)
	; wave barrier
	s_waitcnt lgkmcnt(0)
	s_and_saveexec_b64 s[10:11], s[4:5]
	s_cbranch_execz .LBB45_46
; %bb.37:
	s_andn2_b64 vcc, exec, s[8:9]
	s_cbranch_vccnz .LBB45_39
; %bb.38:
	buffer_load_dword v94, v97, s[0:3], 0 offen
	buffer_load_dword v95, v97, s[0:3], 0 offen offset:4
	ds_read_b64 v[140:141], v96
	s_waitcnt vmcnt(0) lgkmcnt(0)
	v_mul_f64 v[94:95], v[94:95], v[140:141]
	s_cbranch_execz .LBB45_40
	s_branch .LBB45_41
.LBB45_39:
                                        ; implicit-def: $vgpr94_vgpr95
.LBB45_40:
	ds_read_b64 v[94:95], v96
.LBB45_41:
	s_and_saveexec_b64 s[12:13], s[6:7]
	s_cbranch_execz .LBB45_45
; %bb.42:
	v_subrev_u32_e32 v139, 41, v0
	s_movk_i32 s14, 0x2b8
	s_mov_b64 s[6:7], 0
.LBB45_43:                              ; =>This Inner Loop Header: Depth=1
	buffer_load_dword v140, v138, s[0:3], 0 offen
	buffer_load_dword v141, v138, s[0:3], 0 offen offset:4
	v_mov_b32_e32 v142, s14
	ds_read_b64 v[142:143], v142
	v_add_u32_e32 v139, -1, v139
	s_add_i32 s14, s14, 8
	v_cmp_eq_u32_e32 vcc, 0, v139
	v_add_u32_e32 v138, 8, v138
	s_or_b64 s[6:7], vcc, s[6:7]
	s_waitcnt vmcnt(0) lgkmcnt(0)
	v_fmac_f64_e32 v[94:95], v[140:141], v[142:143]
	s_andn2_b64 exec, exec, s[6:7]
	s_cbranch_execnz .LBB45_43
; %bb.44:
	s_or_b64 exec, exec, s[6:7]
.LBB45_45:
	s_or_b64 exec, exec, s[12:13]
	v_mov_b32_e32 v138, 0
	ds_read_b64 v[138:139], v138 offset:320
	s_waitcnt lgkmcnt(0)
	v_mul_f64 v[94:95], v[94:95], v[138:139]
	buffer_store_dword v95, off, s[0:3], 0 offset:324
	buffer_store_dword v94, off, s[0:3], 0 offset:320
.LBB45_46:
	s_or_b64 exec, exec, s[10:11]
	buffer_load_dword v94, off, s[0:3], 0 offset:312
	buffer_load_dword v95, off, s[0:3], 0 offset:316
	v_cmp_lt_u32_e64 s[6:7], 39, v0
	s_waitcnt vmcnt(0)
	ds_write_b64 v96, v[94:95]
	s_waitcnt lgkmcnt(0)
	; wave barrier
	s_waitcnt lgkmcnt(0)
	s_and_saveexec_b64 s[10:11], s[6:7]
	s_cbranch_execz .LBB45_56
; %bb.47:
	s_andn2_b64 vcc, exec, s[8:9]
	s_cbranch_vccnz .LBB45_49
; %bb.48:
	buffer_load_dword v94, v97, s[0:3], 0 offen
	buffer_load_dword v95, v97, s[0:3], 0 offen offset:4
	ds_read_b64 v[138:139], v96
	s_waitcnt vmcnt(0) lgkmcnt(0)
	v_mul_f64 v[94:95], v[94:95], v[138:139]
	s_cbranch_execz .LBB45_50
	s_branch .LBB45_51
.LBB45_49:
                                        ; implicit-def: $vgpr94_vgpr95
.LBB45_50:
	ds_read_b64 v[94:95], v96
.LBB45_51:
	s_and_saveexec_b64 s[12:13], s[4:5]
	s_cbranch_execz .LBB45_55
; %bb.52:
	v_subrev_u32_e32 v138, 40, v0
	s_movk_i32 s14, 0x2b0
	s_mov_b64 s[4:5], 0
.LBB45_53:                              ; =>This Inner Loop Header: Depth=1
	buffer_load_dword v140, v137, s[0:3], 0 offen
	buffer_load_dword v141, v137, s[0:3], 0 offen offset:4
	v_mov_b32_e32 v139, s14
	ds_read_b64 v[142:143], v139
	v_add_u32_e32 v138, -1, v138
	s_add_i32 s14, s14, 8
	v_cmp_eq_u32_e32 vcc, 0, v138
	v_add_u32_e32 v137, 8, v137
	s_or_b64 s[4:5], vcc, s[4:5]
	s_waitcnt vmcnt(0) lgkmcnt(0)
	v_fmac_f64_e32 v[94:95], v[140:141], v[142:143]
	s_andn2_b64 exec, exec, s[4:5]
	s_cbranch_execnz .LBB45_53
; %bb.54:
	s_or_b64 exec, exec, s[4:5]
.LBB45_55:
	s_or_b64 exec, exec, s[12:13]
	v_mov_b32_e32 v137, 0
	ds_read_b64 v[138:139], v137 offset:312
	s_waitcnt lgkmcnt(0)
	v_mul_f64 v[94:95], v[94:95], v[138:139]
	buffer_store_dword v95, off, s[0:3], 0 offset:316
	buffer_store_dword v94, off, s[0:3], 0 offset:312
.LBB45_56:
	s_or_b64 exec, exec, s[10:11]
	buffer_load_dword v94, off, s[0:3], 0 offset:304
	buffer_load_dword v95, off, s[0:3], 0 offset:308
	v_cmp_lt_u32_e64 s[4:5], 38, v0
	s_waitcnt vmcnt(0)
	ds_write_b64 v96, v[94:95]
	s_waitcnt lgkmcnt(0)
	; wave barrier
	s_waitcnt lgkmcnt(0)
	s_and_saveexec_b64 s[10:11], s[4:5]
	s_cbranch_execz .LBB45_66
; %bb.57:
	s_andn2_b64 vcc, exec, s[8:9]
	s_cbranch_vccnz .LBB45_59
; %bb.58:
	buffer_load_dword v94, v97, s[0:3], 0 offen
	buffer_load_dword v95, v97, s[0:3], 0 offen offset:4
	ds_read_b64 v[138:139], v96
	s_waitcnt vmcnt(0) lgkmcnt(0)
	v_mul_f64 v[94:95], v[94:95], v[138:139]
	s_cbranch_execz .LBB45_60
	s_branch .LBB45_61
.LBB45_59:
                                        ; implicit-def: $vgpr94_vgpr95
.LBB45_60:
	ds_read_b64 v[94:95], v96
.LBB45_61:
	s_and_saveexec_b64 s[12:13], s[6:7]
	s_cbranch_execz .LBB45_65
; %bb.62:
	v_subrev_u32_e32 v137, 39, v0
	s_movk_i32 s14, 0x2a8
	s_mov_b64 s[6:7], 0
.LBB45_63:                              ; =>This Inner Loop Header: Depth=1
	buffer_load_dword v138, v136, s[0:3], 0 offen
	buffer_load_dword v139, v136, s[0:3], 0 offen offset:4
	v_mov_b32_e32 v140, s14
	ds_read_b64 v[140:141], v140
	v_add_u32_e32 v137, -1, v137
	s_add_i32 s14, s14, 8
	v_cmp_eq_u32_e32 vcc, 0, v137
	v_add_u32_e32 v136, 8, v136
	s_or_b64 s[6:7], vcc, s[6:7]
	s_waitcnt vmcnt(0) lgkmcnt(0)
	v_fmac_f64_e32 v[94:95], v[138:139], v[140:141]
	s_andn2_b64 exec, exec, s[6:7]
	s_cbranch_execnz .LBB45_63
; %bb.64:
	s_or_b64 exec, exec, s[6:7]
.LBB45_65:
	s_or_b64 exec, exec, s[12:13]
	v_mov_b32_e32 v136, 0
	ds_read_b64 v[136:137], v136 offset:304
	s_waitcnt lgkmcnt(0)
	v_mul_f64 v[94:95], v[94:95], v[136:137]
	buffer_store_dword v95, off, s[0:3], 0 offset:308
	buffer_store_dword v94, off, s[0:3], 0 offset:304
.LBB45_66:
	s_or_b64 exec, exec, s[10:11]
	buffer_load_dword v94, off, s[0:3], 0 offset:296
	buffer_load_dword v95, off, s[0:3], 0 offset:300
	v_cmp_lt_u32_e64 s[6:7], 37, v0
	s_waitcnt vmcnt(0)
	ds_write_b64 v96, v[94:95]
	s_waitcnt lgkmcnt(0)
	; wave barrier
	s_waitcnt lgkmcnt(0)
	s_and_saveexec_b64 s[10:11], s[6:7]
	s_cbranch_execz .LBB45_76
; %bb.67:
	s_andn2_b64 vcc, exec, s[8:9]
	s_cbranch_vccnz .LBB45_69
; %bb.68:
	buffer_load_dword v94, v97, s[0:3], 0 offen
	buffer_load_dword v95, v97, s[0:3], 0 offen offset:4
	ds_read_b64 v[136:137], v96
	s_waitcnt vmcnt(0) lgkmcnt(0)
	v_mul_f64 v[94:95], v[94:95], v[136:137]
	s_cbranch_execz .LBB45_70
	s_branch .LBB45_71
.LBB45_69:
                                        ; implicit-def: $vgpr94_vgpr95
.LBB45_70:
	ds_read_b64 v[94:95], v96
.LBB45_71:
	s_and_saveexec_b64 s[12:13], s[4:5]
	s_cbranch_execz .LBB45_75
; %bb.72:
	v_subrev_u32_e32 v136, 38, v0
	s_movk_i32 s14, 0x2a0
	s_mov_b64 s[4:5], 0
.LBB45_73:                              ; =>This Inner Loop Header: Depth=1
	buffer_load_dword v138, v135, s[0:3], 0 offen
	buffer_load_dword v139, v135, s[0:3], 0 offen offset:4
	v_mov_b32_e32 v137, s14
	ds_read_b64 v[140:141], v137
	v_add_u32_e32 v136, -1, v136
	s_add_i32 s14, s14, 8
	v_cmp_eq_u32_e32 vcc, 0, v136
	v_add_u32_e32 v135, 8, v135
	s_or_b64 s[4:5], vcc, s[4:5]
	s_waitcnt vmcnt(0) lgkmcnt(0)
	v_fmac_f64_e32 v[94:95], v[138:139], v[140:141]
	s_andn2_b64 exec, exec, s[4:5]
	s_cbranch_execnz .LBB45_73
; %bb.74:
	s_or_b64 exec, exec, s[4:5]
.LBB45_75:
	s_or_b64 exec, exec, s[12:13]
	v_mov_b32_e32 v135, 0
	ds_read_b64 v[136:137], v135 offset:296
	s_waitcnt lgkmcnt(0)
	v_mul_f64 v[94:95], v[94:95], v[136:137]
	buffer_store_dword v95, off, s[0:3], 0 offset:300
	buffer_store_dword v94, off, s[0:3], 0 offset:296
.LBB45_76:
	s_or_b64 exec, exec, s[10:11]
	buffer_load_dword v94, off, s[0:3], 0 offset:288
	buffer_load_dword v95, off, s[0:3], 0 offset:292
	v_cmp_lt_u32_e64 s[4:5], 36, v0
	s_waitcnt vmcnt(0)
	ds_write_b64 v96, v[94:95]
	s_waitcnt lgkmcnt(0)
	; wave barrier
	s_waitcnt lgkmcnt(0)
	s_and_saveexec_b64 s[10:11], s[4:5]
	s_cbranch_execz .LBB45_86
; %bb.77:
	s_andn2_b64 vcc, exec, s[8:9]
	s_cbranch_vccnz .LBB45_79
; %bb.78:
	buffer_load_dword v94, v97, s[0:3], 0 offen
	buffer_load_dword v95, v97, s[0:3], 0 offen offset:4
	ds_read_b64 v[136:137], v96
	s_waitcnt vmcnt(0) lgkmcnt(0)
	v_mul_f64 v[94:95], v[94:95], v[136:137]
	s_cbranch_execz .LBB45_80
	s_branch .LBB45_81
.LBB45_79:
                                        ; implicit-def: $vgpr94_vgpr95
.LBB45_80:
	ds_read_b64 v[94:95], v96
.LBB45_81:
	s_and_saveexec_b64 s[12:13], s[6:7]
	s_cbranch_execz .LBB45_85
; %bb.82:
	v_subrev_u32_e32 v135, 37, v0
	s_movk_i32 s14, 0x298
	s_mov_b64 s[6:7], 0
.LBB45_83:                              ; =>This Inner Loop Header: Depth=1
	buffer_load_dword v136, v134, s[0:3], 0 offen
	buffer_load_dword v137, v134, s[0:3], 0 offen offset:4
	v_mov_b32_e32 v138, s14
	ds_read_b64 v[138:139], v138
	v_add_u32_e32 v135, -1, v135
	s_add_i32 s14, s14, 8
	v_cmp_eq_u32_e32 vcc, 0, v135
	v_add_u32_e32 v134, 8, v134
	s_or_b64 s[6:7], vcc, s[6:7]
	s_waitcnt vmcnt(0) lgkmcnt(0)
	v_fmac_f64_e32 v[94:95], v[136:137], v[138:139]
	s_andn2_b64 exec, exec, s[6:7]
	s_cbranch_execnz .LBB45_83
; %bb.84:
	s_or_b64 exec, exec, s[6:7]
.LBB45_85:
	s_or_b64 exec, exec, s[12:13]
	v_mov_b32_e32 v134, 0
	ds_read_b64 v[134:135], v134 offset:288
	s_waitcnt lgkmcnt(0)
	v_mul_f64 v[94:95], v[94:95], v[134:135]
	buffer_store_dword v95, off, s[0:3], 0 offset:292
	buffer_store_dword v94, off, s[0:3], 0 offset:288
.LBB45_86:
	s_or_b64 exec, exec, s[10:11]
	buffer_load_dword v94, off, s[0:3], 0 offset:280
	buffer_load_dword v95, off, s[0:3], 0 offset:284
	v_cmp_lt_u32_e64 s[6:7], 35, v0
	s_waitcnt vmcnt(0)
	ds_write_b64 v96, v[94:95]
	s_waitcnt lgkmcnt(0)
	; wave barrier
	s_waitcnt lgkmcnt(0)
	s_and_saveexec_b64 s[10:11], s[6:7]
	s_cbranch_execz .LBB45_96
; %bb.87:
	s_andn2_b64 vcc, exec, s[8:9]
	s_cbranch_vccnz .LBB45_89
; %bb.88:
	buffer_load_dword v94, v97, s[0:3], 0 offen
	buffer_load_dword v95, v97, s[0:3], 0 offen offset:4
	ds_read_b64 v[134:135], v96
	s_waitcnt vmcnt(0) lgkmcnt(0)
	v_mul_f64 v[94:95], v[94:95], v[134:135]
	s_cbranch_execz .LBB45_90
	s_branch .LBB45_91
.LBB45_89:
                                        ; implicit-def: $vgpr94_vgpr95
.LBB45_90:
	ds_read_b64 v[94:95], v96
.LBB45_91:
	s_and_saveexec_b64 s[12:13], s[4:5]
	s_cbranch_execz .LBB45_95
; %bb.92:
	v_subrev_u32_e32 v134, 36, v0
	s_movk_i32 s14, 0x290
	s_mov_b64 s[4:5], 0
.LBB45_93:                              ; =>This Inner Loop Header: Depth=1
	buffer_load_dword v136, v133, s[0:3], 0 offen
	buffer_load_dword v137, v133, s[0:3], 0 offen offset:4
	v_mov_b32_e32 v135, s14
	ds_read_b64 v[138:139], v135
	v_add_u32_e32 v134, -1, v134
	s_add_i32 s14, s14, 8
	v_cmp_eq_u32_e32 vcc, 0, v134
	v_add_u32_e32 v133, 8, v133
	s_or_b64 s[4:5], vcc, s[4:5]
	s_waitcnt vmcnt(0) lgkmcnt(0)
	v_fmac_f64_e32 v[94:95], v[136:137], v[138:139]
	s_andn2_b64 exec, exec, s[4:5]
	s_cbranch_execnz .LBB45_93
; %bb.94:
	s_or_b64 exec, exec, s[4:5]
.LBB45_95:
	s_or_b64 exec, exec, s[12:13]
	v_mov_b32_e32 v133, 0
	ds_read_b64 v[134:135], v133 offset:280
	s_waitcnt lgkmcnt(0)
	v_mul_f64 v[94:95], v[94:95], v[134:135]
	buffer_store_dword v95, off, s[0:3], 0 offset:284
	buffer_store_dword v94, off, s[0:3], 0 offset:280
.LBB45_96:
	s_or_b64 exec, exec, s[10:11]
	buffer_load_dword v94, off, s[0:3], 0 offset:272
	buffer_load_dword v95, off, s[0:3], 0 offset:276
	v_cmp_lt_u32_e64 s[4:5], 34, v0
	s_waitcnt vmcnt(0)
	ds_write_b64 v96, v[94:95]
	s_waitcnt lgkmcnt(0)
	; wave barrier
	s_waitcnt lgkmcnt(0)
	s_and_saveexec_b64 s[10:11], s[4:5]
	s_cbranch_execz .LBB45_106
; %bb.97:
	s_andn2_b64 vcc, exec, s[8:9]
	s_cbranch_vccnz .LBB45_99
; %bb.98:
	buffer_load_dword v94, v97, s[0:3], 0 offen
	buffer_load_dword v95, v97, s[0:3], 0 offen offset:4
	ds_read_b64 v[134:135], v96
	s_waitcnt vmcnt(0) lgkmcnt(0)
	v_mul_f64 v[94:95], v[94:95], v[134:135]
	s_cbranch_execz .LBB45_100
	s_branch .LBB45_101
.LBB45_99:
                                        ; implicit-def: $vgpr94_vgpr95
.LBB45_100:
	ds_read_b64 v[94:95], v96
.LBB45_101:
	s_and_saveexec_b64 s[12:13], s[6:7]
	s_cbranch_execz .LBB45_105
; %bb.102:
	v_subrev_u32_e32 v133, 35, v0
	s_movk_i32 s14, 0x288
	s_mov_b64 s[6:7], 0
.LBB45_103:                             ; =>This Inner Loop Header: Depth=1
	buffer_load_dword v134, v132, s[0:3], 0 offen
	buffer_load_dword v135, v132, s[0:3], 0 offen offset:4
	v_mov_b32_e32 v136, s14
	ds_read_b64 v[136:137], v136
	v_add_u32_e32 v133, -1, v133
	s_add_i32 s14, s14, 8
	v_cmp_eq_u32_e32 vcc, 0, v133
	v_add_u32_e32 v132, 8, v132
	s_or_b64 s[6:7], vcc, s[6:7]
	s_waitcnt vmcnt(0) lgkmcnt(0)
	v_fmac_f64_e32 v[94:95], v[134:135], v[136:137]
	s_andn2_b64 exec, exec, s[6:7]
	s_cbranch_execnz .LBB45_103
; %bb.104:
	s_or_b64 exec, exec, s[6:7]
.LBB45_105:
	s_or_b64 exec, exec, s[12:13]
	v_mov_b32_e32 v132, 0
	ds_read_b64 v[132:133], v132 offset:272
	s_waitcnt lgkmcnt(0)
	v_mul_f64 v[94:95], v[94:95], v[132:133]
	buffer_store_dword v95, off, s[0:3], 0 offset:276
	buffer_store_dword v94, off, s[0:3], 0 offset:272
.LBB45_106:
	s_or_b64 exec, exec, s[10:11]
	buffer_load_dword v94, off, s[0:3], 0 offset:264
	buffer_load_dword v95, off, s[0:3], 0 offset:268
	v_cmp_lt_u32_e64 s[6:7], 33, v0
	s_waitcnt vmcnt(0)
	ds_write_b64 v96, v[94:95]
	s_waitcnt lgkmcnt(0)
	; wave barrier
	s_waitcnt lgkmcnt(0)
	s_and_saveexec_b64 s[10:11], s[6:7]
	s_cbranch_execz .LBB45_116
; %bb.107:
	s_andn2_b64 vcc, exec, s[8:9]
	s_cbranch_vccnz .LBB45_109
; %bb.108:
	buffer_load_dword v94, v97, s[0:3], 0 offen
	buffer_load_dword v95, v97, s[0:3], 0 offen offset:4
	ds_read_b64 v[132:133], v96
	s_waitcnt vmcnt(0) lgkmcnt(0)
	v_mul_f64 v[94:95], v[94:95], v[132:133]
	s_cbranch_execz .LBB45_110
	s_branch .LBB45_111
.LBB45_109:
                                        ; implicit-def: $vgpr94_vgpr95
.LBB45_110:
	ds_read_b64 v[94:95], v96
.LBB45_111:
	s_and_saveexec_b64 s[12:13], s[4:5]
	s_cbranch_execz .LBB45_115
; %bb.112:
	v_subrev_u32_e32 v132, 34, v0
	s_movk_i32 s14, 0x280
	s_mov_b64 s[4:5], 0
.LBB45_113:                             ; =>This Inner Loop Header: Depth=1
	buffer_load_dword v134, v131, s[0:3], 0 offen
	buffer_load_dword v135, v131, s[0:3], 0 offen offset:4
	v_mov_b32_e32 v133, s14
	ds_read_b64 v[136:137], v133
	v_add_u32_e32 v132, -1, v132
	s_add_i32 s14, s14, 8
	v_cmp_eq_u32_e32 vcc, 0, v132
	v_add_u32_e32 v131, 8, v131
	s_or_b64 s[4:5], vcc, s[4:5]
	s_waitcnt vmcnt(0) lgkmcnt(0)
	v_fmac_f64_e32 v[94:95], v[134:135], v[136:137]
	s_andn2_b64 exec, exec, s[4:5]
	s_cbranch_execnz .LBB45_113
; %bb.114:
	s_or_b64 exec, exec, s[4:5]
.LBB45_115:
	s_or_b64 exec, exec, s[12:13]
	v_mov_b32_e32 v131, 0
	ds_read_b64 v[132:133], v131 offset:264
	s_waitcnt lgkmcnt(0)
	v_mul_f64 v[94:95], v[94:95], v[132:133]
	buffer_store_dword v95, off, s[0:3], 0 offset:268
	buffer_store_dword v94, off, s[0:3], 0 offset:264
.LBB45_116:
	;; [unrolled: 58-line block ×19, first 2 shown]
	s_or_b64 exec, exec, s[10:11]
	buffer_load_dword v94, off, s[0:3], 0 offset:120
	buffer_load_dword v95, off, s[0:3], 0 offset:124
	v_cmp_lt_u32_e64 s[6:7], 15, v0
	s_waitcnt vmcnt(0)
	ds_write_b64 v96, v[94:95]
	s_waitcnt lgkmcnt(0)
	; wave barrier
	s_waitcnt lgkmcnt(0)
	s_and_saveexec_b64 s[10:11], s[6:7]
	s_cbranch_execz .LBB45_296
; %bb.287:
	s_andn2_b64 vcc, exec, s[8:9]
	s_cbranch_vccnz .LBB45_289
; %bb.288:
	buffer_load_dword v94, v97, s[0:3], 0 offen
	buffer_load_dword v95, v97, s[0:3], 0 offen offset:4
	ds_read_b64 v[114:115], v96
	s_waitcnt vmcnt(0) lgkmcnt(0)
	v_mul_f64 v[94:95], v[94:95], v[114:115]
	s_cbranch_execz .LBB45_290
	s_branch .LBB45_291
.LBB45_289:
                                        ; implicit-def: $vgpr94_vgpr95
.LBB45_290:
	ds_read_b64 v[94:95], v96
.LBB45_291:
	s_and_saveexec_b64 s[12:13], s[4:5]
	s_cbranch_execz .LBB45_295
; %bb.292:
	v_add_u32_e32 v114, -16, v0
	s_movk_i32 s14, 0x1f0
	s_mov_b64 s[4:5], 0
.LBB45_293:                             ; =>This Inner Loop Header: Depth=1
	buffer_load_dword v116, v113, s[0:3], 0 offen
	buffer_load_dword v117, v113, s[0:3], 0 offen offset:4
	v_mov_b32_e32 v115, s14
	ds_read_b64 v[118:119], v115
	v_add_u32_e32 v114, -1, v114
	s_add_i32 s14, s14, 8
	v_cmp_eq_u32_e32 vcc, 0, v114
	v_add_u32_e32 v113, 8, v113
	s_or_b64 s[4:5], vcc, s[4:5]
	s_waitcnt vmcnt(0) lgkmcnt(0)
	v_fmac_f64_e32 v[94:95], v[116:117], v[118:119]
	s_andn2_b64 exec, exec, s[4:5]
	s_cbranch_execnz .LBB45_293
; %bb.294:
	s_or_b64 exec, exec, s[4:5]
.LBB45_295:
	s_or_b64 exec, exec, s[12:13]
	v_mov_b32_e32 v113, 0
	ds_read_b64 v[114:115], v113 offset:120
	s_waitcnt lgkmcnt(0)
	v_mul_f64 v[94:95], v[94:95], v[114:115]
	buffer_store_dword v95, off, s[0:3], 0 offset:124
	buffer_store_dword v94, off, s[0:3], 0 offset:120
.LBB45_296:
	s_or_b64 exec, exec, s[10:11]
	buffer_load_dword v94, off, s[0:3], 0 offset:112
	buffer_load_dword v95, off, s[0:3], 0 offset:116
	v_cmp_lt_u32_e64 s[4:5], 14, v0
	s_waitcnt vmcnt(0)
	ds_write_b64 v96, v[94:95]
	s_waitcnt lgkmcnt(0)
	; wave barrier
	s_waitcnt lgkmcnt(0)
	s_and_saveexec_b64 s[10:11], s[4:5]
	s_cbranch_execz .LBB45_306
; %bb.297:
	s_andn2_b64 vcc, exec, s[8:9]
	s_cbranch_vccnz .LBB45_299
; %bb.298:
	buffer_load_dword v94, v97, s[0:3], 0 offen
	buffer_load_dword v95, v97, s[0:3], 0 offen offset:4
	ds_read_b64 v[114:115], v96
	s_waitcnt vmcnt(0) lgkmcnt(0)
	v_mul_f64 v[94:95], v[94:95], v[114:115]
	s_cbranch_execz .LBB45_300
	s_branch .LBB45_301
.LBB45_299:
                                        ; implicit-def: $vgpr94_vgpr95
.LBB45_300:
	ds_read_b64 v[94:95], v96
.LBB45_301:
	s_and_saveexec_b64 s[12:13], s[6:7]
	s_cbranch_execz .LBB45_305
; %bb.302:
	v_add_u32_e32 v113, -15, v0
	s_movk_i32 s14, 0x1e8
	s_mov_b64 s[6:7], 0
.LBB45_303:                             ; =>This Inner Loop Header: Depth=1
	buffer_load_dword v114, v112, s[0:3], 0 offen
	buffer_load_dword v115, v112, s[0:3], 0 offen offset:4
	v_mov_b32_e32 v116, s14
	ds_read_b64 v[116:117], v116
	v_add_u32_e32 v113, -1, v113
	s_add_i32 s14, s14, 8
	v_cmp_eq_u32_e32 vcc, 0, v113
	v_add_u32_e32 v112, 8, v112
	s_or_b64 s[6:7], vcc, s[6:7]
	s_waitcnt vmcnt(0) lgkmcnt(0)
	v_fmac_f64_e32 v[94:95], v[114:115], v[116:117]
	s_andn2_b64 exec, exec, s[6:7]
	s_cbranch_execnz .LBB45_303
; %bb.304:
	s_or_b64 exec, exec, s[6:7]
.LBB45_305:
	s_or_b64 exec, exec, s[12:13]
	v_mov_b32_e32 v112, 0
	ds_read_b64 v[112:113], v112 offset:112
	s_waitcnt lgkmcnt(0)
	v_mul_f64 v[94:95], v[94:95], v[112:113]
	buffer_store_dword v95, off, s[0:3], 0 offset:116
	buffer_store_dword v94, off, s[0:3], 0 offset:112
.LBB45_306:
	;; [unrolled: 58-line block ×15, first 2 shown]
	s_or_b64 exec, exec, s[10:11]
	buffer_load_dword v94, off, s[0:3], 0
	buffer_load_dword v95, off, s[0:3], 0 offset:4
	v_cmp_ne_u32_e32 vcc, 0, v0
	s_waitcnt vmcnt(0)
	ds_write_b64 v96, v[94:95]
	s_waitcnt lgkmcnt(0)
	; wave barrier
	s_waitcnt lgkmcnt(0)
	s_and_saveexec_b64 s[4:5], vcc
	s_cbranch_execz .LBB45_446
; %bb.437:
	s_andn2_b64 vcc, exec, s[8:9]
	s_cbranch_vccnz .LBB45_439
; %bb.438:
	buffer_load_dword v94, v97, s[0:3], 0 offen
	buffer_load_dword v95, v97, s[0:3], 0 offen offset:4
	ds_read_b64 v[100:101], v96
	s_waitcnt vmcnt(0) lgkmcnt(0)
	v_mul_f64 v[94:95], v[94:95], v[100:101]
	s_cbranch_execz .LBB45_440
	s_branch .LBB45_441
.LBB45_439:
                                        ; implicit-def: $vgpr94_vgpr95
.LBB45_440:
	ds_read_b64 v[94:95], v96
.LBB45_441:
	s_and_saveexec_b64 s[10:11], s[6:7]
	s_cbranch_execz .LBB45_445
; %bb.442:
	v_add_u32_e32 v99, -1, v0
	s_movk_i32 s12, 0x178
	s_mov_b64 s[6:7], 0
.LBB45_443:                             ; =>This Inner Loop Header: Depth=1
	buffer_load_dword v100, v98, s[0:3], 0 offen
	buffer_load_dword v101, v98, s[0:3], 0 offen offset:4
	v_mov_b32_e32 v102, s12
	ds_read_b64 v[102:103], v102
	v_add_u32_e32 v99, -1, v99
	s_add_i32 s12, s12, 8
	v_cmp_eq_u32_e32 vcc, 0, v99
	v_add_u32_e32 v98, 8, v98
	s_or_b64 s[6:7], vcc, s[6:7]
	s_waitcnt vmcnt(0) lgkmcnt(0)
	v_fmac_f64_e32 v[94:95], v[100:101], v[102:103]
	s_andn2_b64 exec, exec, s[6:7]
	s_cbranch_execnz .LBB45_443
; %bb.444:
	s_or_b64 exec, exec, s[6:7]
.LBB45_445:
	s_or_b64 exec, exec, s[10:11]
	v_mov_b32_e32 v98, 0
	ds_read_b64 v[98:99], v98
	s_waitcnt lgkmcnt(0)
	v_mul_f64 v[94:95], v[94:95], v[98:99]
	buffer_store_dword v95, off, s[0:3], 0 offset:4
	buffer_store_dword v94, off, s[0:3], 0
.LBB45_446:
	s_or_b64 exec, exec, s[4:5]
	s_mov_b64 s[4:5], 0
.LBB45_447:
	s_and_b64 vcc, exec, s[4:5]
	s_cbranch_vccz .LBB45_891
; %bb.448:
	buffer_load_dword v94, off, s[0:3], 0 offset:8
	buffer_load_dword v95, off, s[0:3], 0 offset:12
	v_cmp_eq_u32_e64 s[6:7], 0, v0
	s_waitcnt vmcnt(0)
	ds_write_b64 v96, v[94:95]
	s_waitcnt lgkmcnt(0)
	; wave barrier
	s_waitcnt lgkmcnt(0)
	s_and_saveexec_b64 s[4:5], s[6:7]
	s_cbranch_execz .LBB45_454
; %bb.449:
	s_and_b64 vcc, exec, s[8:9]
	s_cbranch_vccz .LBB45_451
; %bb.450:
	buffer_load_dword v94, v97, s[0:3], 0 offen
	buffer_load_dword v95, v97, s[0:3], 0 offen offset:4
	ds_read_b64 v[98:99], v96
	s_waitcnt vmcnt(0) lgkmcnt(0)
	v_mul_f64 v[94:95], v[94:95], v[98:99]
	s_cbranch_execz .LBB45_452
	s_branch .LBB45_453
.LBB45_451:
                                        ; implicit-def: $vgpr94_vgpr95
.LBB45_452:
	ds_read_b64 v[94:95], v96
.LBB45_453:
	v_mov_b32_e32 v98, 0
	ds_read_b64 v[98:99], v98 offset:8
	s_waitcnt lgkmcnt(0)
	v_mul_f64 v[94:95], v[94:95], v[98:99]
	buffer_store_dword v95, off, s[0:3], 0 offset:12
	buffer_store_dword v94, off, s[0:3], 0 offset:8
.LBB45_454:
	s_or_b64 exec, exec, s[4:5]
	buffer_load_dword v94, off, s[0:3], 0 offset:16
	buffer_load_dword v95, off, s[0:3], 0 offset:20
	v_cndmask_b32_e64 v98, 0, 1, s[8:9]
	v_cmp_gt_u32_e32 vcc, 2, v0
	v_cmp_ne_u32_e64 s[4:5], 1, v98
	s_waitcnt vmcnt(0)
	ds_write_b64 v96, v[94:95]
	s_waitcnt lgkmcnt(0)
	; wave barrier
	s_waitcnt lgkmcnt(0)
	s_and_saveexec_b64 s[8:9], vcc
	s_cbranch_execz .LBB45_462
; %bb.455:
	s_and_b64 vcc, exec, s[4:5]
	s_cbranch_vccnz .LBB45_457
; %bb.456:
	buffer_load_dword v94, v97, s[0:3], 0 offen
	buffer_load_dword v95, v97, s[0:3], 0 offen offset:4
	ds_read_b64 v[98:99], v96
	s_waitcnt vmcnt(0) lgkmcnt(0)
	v_mul_f64 v[94:95], v[94:95], v[98:99]
	s_cbranch_execz .LBB45_458
	s_branch .LBB45_459
.LBB45_457:
                                        ; implicit-def: $vgpr94_vgpr95
.LBB45_458:
	ds_read_b64 v[94:95], v96
.LBB45_459:
	s_and_saveexec_b64 s[10:11], s[6:7]
	s_cbranch_execz .LBB45_461
; %bb.460:
	buffer_load_dword v98, v97, s[0:3], 0 offen offset:8
	buffer_load_dword v99, v97, s[0:3], 0 offen offset:12
	ds_read_b64 v[100:101], v96 offset:8
	s_waitcnt vmcnt(0) lgkmcnt(0)
	v_fmac_f64_e32 v[94:95], v[98:99], v[100:101]
.LBB45_461:
	s_or_b64 exec, exec, s[10:11]
	v_mov_b32_e32 v98, 0
	ds_read_b64 v[98:99], v98 offset:16
	s_waitcnt lgkmcnt(0)
	v_mul_f64 v[94:95], v[94:95], v[98:99]
	buffer_store_dword v95, off, s[0:3], 0 offset:20
	buffer_store_dword v94, off, s[0:3], 0 offset:16
.LBB45_462:
	s_or_b64 exec, exec, s[8:9]
	buffer_load_dword v94, off, s[0:3], 0 offset:24
	buffer_load_dword v95, off, s[0:3], 0 offset:28
	v_cmp_gt_u32_e32 vcc, 3, v0
	s_waitcnt vmcnt(0)
	ds_write_b64 v96, v[94:95]
	s_waitcnt lgkmcnt(0)
	; wave barrier
	s_waitcnt lgkmcnt(0)
	s_and_saveexec_b64 s[8:9], vcc
	s_cbranch_execz .LBB45_470
; %bb.463:
	s_and_b64 vcc, exec, s[4:5]
	s_cbranch_vccnz .LBB45_465
; %bb.464:
	buffer_load_dword v94, v97, s[0:3], 0 offen
	buffer_load_dword v95, v97, s[0:3], 0 offen offset:4
	ds_read_b64 v[98:99], v96
	s_waitcnt vmcnt(0) lgkmcnt(0)
	v_mul_f64 v[94:95], v[94:95], v[98:99]
	s_cbranch_execz .LBB45_466
	s_branch .LBB45_467
.LBB45_465:
                                        ; implicit-def: $vgpr94_vgpr95
.LBB45_466:
	ds_read_b64 v[94:95], v96
.LBB45_467:
	v_cmp_ne_u32_e32 vcc, 2, v0
	s_and_saveexec_b64 s[10:11], vcc
	s_cbranch_execz .LBB45_469
; %bb.468:
	buffer_load_dword v99, v97, s[0:3], 0 offen offset:12
	buffer_load_dword v100, off, s[0:3], 0 offset:16
	buffer_load_dword v98, v97, s[0:3], 0 offen offset:8
	buffer_load_dword v101, off, s[0:3], 0 offset:20
	v_mov_b32_e32 v104, 0
	ds_read_b64 v[102:103], v96 offset:8
	ds_read_b64 v[104:105], v104 offset:384
	s_waitcnt vmcnt(1) lgkmcnt(1)
	v_fmac_f64_e32 v[94:95], v[98:99], v[102:103]
	s_waitcnt vmcnt(0) lgkmcnt(0)
	v_fma_f64 v[98:99], v[100:101], v[104:105], v[94:95]
	v_cndmask_b32_e64 v95, v95, v99, s[6:7]
	v_cndmask_b32_e64 v94, v94, v98, s[6:7]
.LBB45_469:
	s_or_b64 exec, exec, s[10:11]
	v_mov_b32_e32 v98, 0
	ds_read_b64 v[98:99], v98 offset:24
	s_waitcnt lgkmcnt(0)
	v_mul_f64 v[94:95], v[94:95], v[98:99]
	buffer_store_dword v95, off, s[0:3], 0 offset:28
	buffer_store_dword v94, off, s[0:3], 0 offset:24
.LBB45_470:
	s_or_b64 exec, exec, s[8:9]
	buffer_load_dword v94, off, s[0:3], 0 offset:32
	buffer_load_dword v95, off, s[0:3], 0 offset:36
	v_cmp_gt_u32_e32 vcc, 4, v0
	s_waitcnt vmcnt(0)
	ds_write_b64 v96, v[94:95]
	s_waitcnt lgkmcnt(0)
	; wave barrier
	s_waitcnt lgkmcnt(0)
	s_and_saveexec_b64 s[6:7], vcc
	s_cbranch_execz .LBB45_480
; %bb.471:
	s_and_b64 vcc, exec, s[4:5]
	s_cbranch_vccnz .LBB45_473
; %bb.472:
	buffer_load_dword v94, v97, s[0:3], 0 offen
	buffer_load_dword v95, v97, s[0:3], 0 offen offset:4
	ds_read_b64 v[98:99], v96
	s_waitcnt vmcnt(0) lgkmcnt(0)
	v_mul_f64 v[94:95], v[94:95], v[98:99]
	s_cbranch_execz .LBB45_474
	s_branch .LBB45_475
.LBB45_473:
                                        ; implicit-def: $vgpr94_vgpr95
.LBB45_474:
	ds_read_b64 v[94:95], v96
.LBB45_475:
	v_cmp_ne_u32_e32 vcc, 3, v0
	s_and_saveexec_b64 s[8:9], vcc
	s_cbranch_execz .LBB45_479
; %bb.476:
	v_mov_b32_e32 v99, 0
	v_add_u32_e32 v98, 0x178, v1
	v_add3_u32 v99, v1, v99, 8
	s_mov_b64 s[10:11], 0
	v_mov_b32_e32 v100, v0
.LBB45_477:                             ; =>This Inner Loop Header: Depth=1
	buffer_load_dword v102, v99, s[0:3], 0 offen
	buffer_load_dword v103, v99, s[0:3], 0 offen offset:4
	ds_read_b64 v[104:105], v98
	v_add_u32_e32 v100, 1, v100
	v_cmp_lt_u32_e32 vcc, 2, v100
	v_add_u32_e32 v98, 8, v98
	v_add_u32_e32 v99, 8, v99
	s_or_b64 s[10:11], vcc, s[10:11]
	s_waitcnt vmcnt(0) lgkmcnt(0)
	v_fmac_f64_e32 v[94:95], v[102:103], v[104:105]
	s_andn2_b64 exec, exec, s[10:11]
	s_cbranch_execnz .LBB45_477
; %bb.478:
	s_or_b64 exec, exec, s[10:11]
.LBB45_479:
	s_or_b64 exec, exec, s[8:9]
	v_mov_b32_e32 v98, 0
	ds_read_b64 v[98:99], v98 offset:32
	s_waitcnt lgkmcnt(0)
	v_mul_f64 v[94:95], v[94:95], v[98:99]
	buffer_store_dword v95, off, s[0:3], 0 offset:36
	buffer_store_dword v94, off, s[0:3], 0 offset:32
.LBB45_480:
	s_or_b64 exec, exec, s[6:7]
	buffer_load_dword v94, off, s[0:3], 0 offset:40
	buffer_load_dword v95, off, s[0:3], 0 offset:44
	v_cmp_gt_u32_e32 vcc, 5, v0
	s_waitcnt vmcnt(0)
	ds_write_b64 v96, v[94:95]
	s_waitcnt lgkmcnt(0)
	; wave barrier
	s_waitcnt lgkmcnt(0)
	s_and_saveexec_b64 s[6:7], vcc
	s_cbranch_execz .LBB45_490
; %bb.481:
	s_and_b64 vcc, exec, s[4:5]
	s_cbranch_vccnz .LBB45_483
; %bb.482:
	buffer_load_dword v94, v97, s[0:3], 0 offen
	buffer_load_dword v95, v97, s[0:3], 0 offen offset:4
	ds_read_b64 v[98:99], v96
	s_waitcnt vmcnt(0) lgkmcnt(0)
	v_mul_f64 v[94:95], v[94:95], v[98:99]
	s_cbranch_execz .LBB45_484
	s_branch .LBB45_485
.LBB45_483:
                                        ; implicit-def: $vgpr94_vgpr95
.LBB45_484:
	ds_read_b64 v[94:95], v96
.LBB45_485:
	v_cmp_ne_u32_e32 vcc, 4, v0
	s_and_saveexec_b64 s[8:9], vcc
	s_cbranch_execz .LBB45_489
; %bb.486:
	v_mov_b32_e32 v99, 0
	v_add_u32_e32 v98, 0x178, v1
	v_add3_u32 v99, v1, v99, 8
	s_mov_b64 s[10:11], 0
	v_mov_b32_e32 v100, v0
.LBB45_487:                             ; =>This Inner Loop Header: Depth=1
	buffer_load_dword v102, v99, s[0:3], 0 offen
	buffer_load_dword v103, v99, s[0:3], 0 offen offset:4
	ds_read_b64 v[104:105], v98
	v_add_u32_e32 v100, 1, v100
	v_cmp_lt_u32_e32 vcc, 3, v100
	v_add_u32_e32 v98, 8, v98
	v_add_u32_e32 v99, 8, v99
	s_or_b64 s[10:11], vcc, s[10:11]
	s_waitcnt vmcnt(0) lgkmcnt(0)
	v_fmac_f64_e32 v[94:95], v[102:103], v[104:105]
	s_andn2_b64 exec, exec, s[10:11]
	s_cbranch_execnz .LBB45_487
; %bb.488:
	s_or_b64 exec, exec, s[10:11]
.LBB45_489:
	s_or_b64 exec, exec, s[8:9]
	v_mov_b32_e32 v98, 0
	ds_read_b64 v[98:99], v98 offset:40
	s_waitcnt lgkmcnt(0)
	v_mul_f64 v[94:95], v[94:95], v[98:99]
	buffer_store_dword v95, off, s[0:3], 0 offset:44
	buffer_store_dword v94, off, s[0:3], 0 offset:40
.LBB45_490:
	;; [unrolled: 60-line block ×40, first 2 shown]
	s_or_b64 exec, exec, s[6:7]
	buffer_load_dword v94, off, s[0:3], 0 offset:352
	buffer_load_dword v95, off, s[0:3], 0 offset:356
	v_cmp_gt_u32_e64 s[6:7], 44, v0
	s_waitcnt vmcnt(0)
	ds_write_b64 v96, v[94:95]
	s_waitcnt lgkmcnt(0)
	; wave barrier
	s_waitcnt lgkmcnt(0)
	s_and_saveexec_b64 s[8:9], s[6:7]
	s_cbranch_execz .LBB45_880
; %bb.871:
	s_and_b64 vcc, exec, s[4:5]
	s_cbranch_vccnz .LBB45_873
; %bb.872:
	buffer_load_dword v94, v97, s[0:3], 0 offen
	buffer_load_dword v95, v97, s[0:3], 0 offen offset:4
	ds_read_b64 v[98:99], v96
	s_waitcnt vmcnt(0) lgkmcnt(0)
	v_mul_f64 v[94:95], v[94:95], v[98:99]
	s_cbranch_execz .LBB45_874
	s_branch .LBB45_875
.LBB45_873:
                                        ; implicit-def: $vgpr94_vgpr95
.LBB45_874:
	ds_read_b64 v[94:95], v96
.LBB45_875:
	v_cmp_ne_u32_e32 vcc, 43, v0
	s_and_saveexec_b64 s[10:11], vcc
	s_cbranch_execz .LBB45_879
; %bb.876:
	v_mov_b32_e32 v99, 0
	v_add_u32_e32 v98, 0x178, v1
	v_add3_u32 v99, v1, v99, 8
	s_mov_b64 s[12:13], 0
	v_mov_b32_e32 v100, v0
.LBB45_877:                             ; =>This Inner Loop Header: Depth=1
	buffer_load_dword v102, v99, s[0:3], 0 offen
	buffer_load_dword v103, v99, s[0:3], 0 offen offset:4
	ds_read_b64 v[104:105], v98
	v_add_u32_e32 v100, 1, v100
	v_cmp_lt_u32_e32 vcc, 42, v100
	v_add_u32_e32 v98, 8, v98
	v_add_u32_e32 v99, 8, v99
	s_or_b64 s[12:13], vcc, s[12:13]
	s_waitcnt vmcnt(0) lgkmcnt(0)
	v_fmac_f64_e32 v[94:95], v[102:103], v[104:105]
	s_andn2_b64 exec, exec, s[12:13]
	s_cbranch_execnz .LBB45_877
; %bb.878:
	s_or_b64 exec, exec, s[12:13]
.LBB45_879:
	s_or_b64 exec, exec, s[10:11]
	v_mov_b32_e32 v98, 0
	ds_read_b64 v[98:99], v98 offset:352
	s_waitcnt lgkmcnt(0)
	v_mul_f64 v[94:95], v[94:95], v[98:99]
	buffer_store_dword v95, off, s[0:3], 0 offset:356
	buffer_store_dword v94, off, s[0:3], 0 offset:352
.LBB45_880:
	s_or_b64 exec, exec, s[8:9]
	buffer_load_dword v94, off, s[0:3], 0 offset:360
	buffer_load_dword v95, off, s[0:3], 0 offset:364
	v_cmp_ne_u32_e32 vcc, 45, v0
	s_waitcnt vmcnt(0)
	ds_write_b64 v96, v[94:95]
	s_waitcnt lgkmcnt(0)
	; wave barrier
	s_waitcnt lgkmcnt(0)
	s_and_saveexec_b64 s[8:9], vcc
	s_cbranch_execz .LBB45_890
; %bb.881:
	s_and_b64 vcc, exec, s[4:5]
	s_cbranch_vccnz .LBB45_883
; %bb.882:
	buffer_load_dword v94, v97, s[0:3], 0 offen
	buffer_load_dword v95, v97, s[0:3], 0 offen offset:4
	ds_read_b64 v[98:99], v96
	s_waitcnt vmcnt(0) lgkmcnt(0)
	v_mul_f64 v[94:95], v[94:95], v[98:99]
	s_cbranch_execz .LBB45_884
	s_branch .LBB45_885
.LBB45_883:
                                        ; implicit-def: $vgpr94_vgpr95
.LBB45_884:
	ds_read_b64 v[94:95], v96
.LBB45_885:
	s_and_saveexec_b64 s[4:5], s[6:7]
	s_cbranch_execz .LBB45_889
; %bb.886:
	v_mov_b32_e32 v97, 0
	v_add_u32_e32 v96, 0x178, v1
	v_add3_u32 v1, v1, v97, 8
	s_mov_b64 s[6:7], 0
.LBB45_887:                             ; =>This Inner Loop Header: Depth=1
	buffer_load_dword v98, v1, s[0:3], 0 offen
	buffer_load_dword v99, v1, s[0:3], 0 offen offset:4
	ds_read_b64 v[100:101], v96
	v_add_u32_e32 v0, 1, v0
	v_cmp_lt_u32_e32 vcc, 43, v0
	v_add_u32_e32 v96, 8, v96
	v_add_u32_e32 v1, 8, v1
	s_or_b64 s[6:7], vcc, s[6:7]
	s_waitcnt vmcnt(0) lgkmcnt(0)
	v_fmac_f64_e32 v[94:95], v[98:99], v[100:101]
	s_andn2_b64 exec, exec, s[6:7]
	s_cbranch_execnz .LBB45_887
; %bb.888:
	s_or_b64 exec, exec, s[6:7]
.LBB45_889:
	s_or_b64 exec, exec, s[4:5]
	v_mov_b32_e32 v0, 0
	ds_read_b64 v[0:1], v0 offset:360
	s_waitcnt lgkmcnt(0)
	v_mul_f64 v[0:1], v[94:95], v[0:1]
	buffer_store_dword v1, off, s[0:3], 0 offset:364
	buffer_store_dword v0, off, s[0:3], 0 offset:360
.LBB45_890:
	s_or_b64 exec, exec, s[8:9]
.LBB45_891:
	buffer_load_dword v0, off, s[0:3], 0
	buffer_load_dword v1, off, s[0:3], 0 offset:4
	buffer_load_dword v94, off, s[0:3], 0 offset:8
	buffer_load_dword v95, off, s[0:3], 0 offset:12
	buffer_load_dword v96, off, s[0:3], 0 offset:16
	buffer_load_dword v97, off, s[0:3], 0 offset:20
	buffer_load_dword v98, off, s[0:3], 0 offset:24
	buffer_load_dword v99, off, s[0:3], 0 offset:28
	buffer_load_dword v100, off, s[0:3], 0 offset:32
	buffer_load_dword v101, off, s[0:3], 0 offset:36
	buffer_load_dword v102, off, s[0:3], 0 offset:40
	buffer_load_dword v103, off, s[0:3], 0 offset:44
	buffer_load_dword v104, off, s[0:3], 0 offset:48
	buffer_load_dword v105, off, s[0:3], 0 offset:52
	buffer_load_dword v106, off, s[0:3], 0 offset:56
	buffer_load_dword v107, off, s[0:3], 0 offset:60
	s_waitcnt vmcnt(14)
	global_store_dwordx2 v[90:91], v[0:1], off
	s_waitcnt vmcnt(13)
	global_store_dwordx2 v[92:93], v[94:95], off
	;; [unrolled: 2-line block ×8, first 2 shown]
	buffer_load_dword v1, off, s[0:3], 0 offset:68
	buffer_load_dword v0, off, s[0:3], 0 offset:64
	s_waitcnt vmcnt(0)
	global_store_dwordx2 v[20:21], v[0:1], off
	buffer_load_dword v0, off, s[0:3], 0 offset:72
	s_nop 0
	buffer_load_dword v1, off, s[0:3], 0 offset:76
	s_waitcnt vmcnt(0)
	global_store_dwordx2 v[12:13], v[0:1], off
	buffer_load_dword v0, off, s[0:3], 0 offset:80
	s_nop 0
	;; [unrolled: 5-line block ×37, first 2 shown]
	buffer_load_dword v1, off, s[0:3], 0 offset:364
	s_waitcnt vmcnt(0)
	global_store_dwordx2 v[78:79], v[0:1], off
.LBB45_892:
	s_endpgm
	.section	.rodata,"a",@progbits
	.p2align	6, 0x0
	.amdhsa_kernel _ZN9rocsolver6v33100L18trti2_kernel_smallILi46EdPdEEv13rocblas_fill_17rocblas_diagonal_T1_iil
		.amdhsa_group_segment_fixed_size 736
		.amdhsa_private_segment_fixed_size 384
		.amdhsa_kernarg_size 32
		.amdhsa_user_sgpr_count 8
		.amdhsa_user_sgpr_private_segment_buffer 1
		.amdhsa_user_sgpr_dispatch_ptr 0
		.amdhsa_user_sgpr_queue_ptr 0
		.amdhsa_user_sgpr_kernarg_segment_ptr 1
		.amdhsa_user_sgpr_dispatch_id 0
		.amdhsa_user_sgpr_flat_scratch_init 1
		.amdhsa_user_sgpr_kernarg_preload_length 0
		.amdhsa_user_sgpr_kernarg_preload_offset 0
		.amdhsa_user_sgpr_private_segment_size 0
		.amdhsa_uses_dynamic_stack 0
		.amdhsa_system_sgpr_private_segment_wavefront_offset 1
		.amdhsa_system_sgpr_workgroup_id_x 1
		.amdhsa_system_sgpr_workgroup_id_y 0
		.amdhsa_system_sgpr_workgroup_id_z 0
		.amdhsa_system_sgpr_workgroup_info 0
		.amdhsa_system_vgpr_workitem_id 0
		.amdhsa_next_free_vgpr 164
		.amdhsa_next_free_sgpr 20
		.amdhsa_accum_offset 164
		.amdhsa_reserve_vcc 1
		.amdhsa_reserve_flat_scratch 0
		.amdhsa_float_round_mode_32 0
		.amdhsa_float_round_mode_16_64 0
		.amdhsa_float_denorm_mode_32 3
		.amdhsa_float_denorm_mode_16_64 3
		.amdhsa_dx10_clamp 1
		.amdhsa_ieee_mode 1
		.amdhsa_fp16_overflow 0
		.amdhsa_tg_split 0
		.amdhsa_exception_fp_ieee_invalid_op 0
		.amdhsa_exception_fp_denorm_src 0
		.amdhsa_exception_fp_ieee_div_zero 0
		.amdhsa_exception_fp_ieee_overflow 0
		.amdhsa_exception_fp_ieee_underflow 0
		.amdhsa_exception_fp_ieee_inexact 0
		.amdhsa_exception_int_div_zero 0
	.end_amdhsa_kernel
	.section	.text._ZN9rocsolver6v33100L18trti2_kernel_smallILi46EdPdEEv13rocblas_fill_17rocblas_diagonal_T1_iil,"axG",@progbits,_ZN9rocsolver6v33100L18trti2_kernel_smallILi46EdPdEEv13rocblas_fill_17rocblas_diagonal_T1_iil,comdat
.Lfunc_end45:
	.size	_ZN9rocsolver6v33100L18trti2_kernel_smallILi46EdPdEEv13rocblas_fill_17rocblas_diagonal_T1_iil, .Lfunc_end45-_ZN9rocsolver6v33100L18trti2_kernel_smallILi46EdPdEEv13rocblas_fill_17rocblas_diagonal_T1_iil
                                        ; -- End function
	.section	.AMDGPU.csdata,"",@progbits
; Kernel info:
; codeLenInByte = 26956
; NumSgprs: 24
; NumVgprs: 164
; NumAgprs: 0
; TotalNumVgprs: 164
; ScratchSize: 384
; MemoryBound: 0
; FloatMode: 240
; IeeeMode: 1
; LDSByteSize: 736 bytes/workgroup (compile time only)
; SGPRBlocks: 2
; VGPRBlocks: 20
; NumSGPRsForWavesPerEU: 24
; NumVGPRsForWavesPerEU: 164
; AccumOffset: 164
; Occupancy: 3
; WaveLimiterHint : 0
; COMPUTE_PGM_RSRC2:SCRATCH_EN: 1
; COMPUTE_PGM_RSRC2:USER_SGPR: 8
; COMPUTE_PGM_RSRC2:TRAP_HANDLER: 0
; COMPUTE_PGM_RSRC2:TGID_X_EN: 1
; COMPUTE_PGM_RSRC2:TGID_Y_EN: 0
; COMPUTE_PGM_RSRC2:TGID_Z_EN: 0
; COMPUTE_PGM_RSRC2:TIDIG_COMP_CNT: 0
; COMPUTE_PGM_RSRC3_GFX90A:ACCUM_OFFSET: 40
; COMPUTE_PGM_RSRC3_GFX90A:TG_SPLIT: 0
	.section	.text._ZN9rocsolver6v33100L18trti2_kernel_smallILi47EdPdEEv13rocblas_fill_17rocblas_diagonal_T1_iil,"axG",@progbits,_ZN9rocsolver6v33100L18trti2_kernel_smallILi47EdPdEEv13rocblas_fill_17rocblas_diagonal_T1_iil,comdat
	.globl	_ZN9rocsolver6v33100L18trti2_kernel_smallILi47EdPdEEv13rocblas_fill_17rocblas_diagonal_T1_iil ; -- Begin function _ZN9rocsolver6v33100L18trti2_kernel_smallILi47EdPdEEv13rocblas_fill_17rocblas_diagonal_T1_iil
	.p2align	8
	.type	_ZN9rocsolver6v33100L18trti2_kernel_smallILi47EdPdEEv13rocblas_fill_17rocblas_diagonal_T1_iil,@function
_ZN9rocsolver6v33100L18trti2_kernel_smallILi47EdPdEEv13rocblas_fill_17rocblas_diagonal_T1_iil: ; @_ZN9rocsolver6v33100L18trti2_kernel_smallILi47EdPdEEv13rocblas_fill_17rocblas_diagonal_T1_iil
; %bb.0:
	s_add_u32 s0, s0, s9
	s_addc_u32 s1, s1, 0
	v_cmp_gt_u32_e32 vcc, 47, v0
	s_and_saveexec_b64 s[6:7], vcc
	s_cbranch_execz .LBB46_912
; %bb.1:
	s_load_dwordx8 s[12:19], s[4:5], 0x0
	s_ashr_i32 s6, s8, 31
	s_waitcnt lgkmcnt(0)
	s_mul_i32 s7, s8, s19
	s_mul_hi_u32 s9, s8, s18
	s_add_i32 s7, s9, s7
	s_mul_i32 s6, s6, s18
	s_add_i32 s7, s7, s6
	s_mul_i32 s6, s8, s18
	s_ashr_i32 s5, s16, 31
	s_lshl_b64 s[6:7], s[6:7], 3
	s_mov_b32 s4, s16
	s_add_u32 s6, s14, s6
	s_addc_u32 s7, s15, s7
	s_lshl_b64 s[4:5], s[4:5], 3
	s_add_u32 s4, s6, s4
	s_addc_u32 s5, s7, s5
	s_add_i32 s6, s17, s17
	v_add_u32_e32 v4, s6, v0
	v_ashrrev_i32_e32 v5, 31, v4
	v_lshlrev_b64 v[2:3], 3, v[4:5]
	v_add_u32_e32 v6, s17, v4
	v_mov_b32_e32 v1, s5
	v_add_co_u32_e32 v2, vcc, s4, v2
	v_ashrrev_i32_e32 v7, 31, v6
	v_addc_co_u32_e32 v3, vcc, v1, v3, vcc
	v_lshlrev_b64 v[4:5], 3, v[6:7]
	v_add_u32_e32 v8, s17, v6
	v_add_co_u32_e32 v4, vcc, s4, v4
	v_ashrrev_i32_e32 v9, 31, v8
	v_addc_co_u32_e32 v5, vcc, v1, v5, vcc
	v_lshlrev_b64 v[6:7], 3, v[8:9]
	v_add_u32_e32 v10, s17, v8
	;; [unrolled: 5-line block ×5, first 2 shown]
	v_add_co_u32_e32 v14, vcc, s4, v14
	v_ashrrev_i32_e32 v13, 31, v12
	v_addc_co_u32_e32 v15, vcc, v1, v15, vcc
	v_lshlrev_b64 v[16:17], 3, v[12:13]
	v_add_co_u32_e32 v20, vcc, s4, v16
	v_add_u32_e32 v16, s17, v12
	v_addc_co_u32_e32 v21, vcc, v1, v17, vcc
	v_ashrrev_i32_e32 v17, 31, v16
	v_lshlrev_b64 v[12:13], 3, v[16:17]
	v_add_u32_e32 v18, s17, v16
	v_add_co_u32_e32 v12, vcc, s4, v12
	v_ashrrev_i32_e32 v19, 31, v18
	v_addc_co_u32_e32 v13, vcc, v1, v13, vcc
	v_lshlrev_b64 v[16:17], 3, v[18:19]
	v_add_u32_e32 v22, s17, v18
	v_add_co_u32_e32 v16, vcc, s4, v16
	v_ashrrev_i32_e32 v23, 31, v22
	v_addc_co_u32_e32 v17, vcc, v1, v17, vcc
	;; [unrolled: 5-line block ×30, first 2 shown]
	v_lshlrev_b64 v[76:77], 3, v[78:79]
	v_add_co_u32_e32 v76, vcc, s4, v76
	v_addc_co_u32_e32 v77, vcc, v1, v77, vcc
	v_lshlrev_b32_e32 v1, 3, v0
	global_load_dwordx2 v[96:97], v1, s[4:5]
	global_load_dwordx2 v[100:101], v[2:3], off
	global_load_dwordx2 v[102:103], v[4:5], off
	;; [unrolled: 1-line block ×3, first 2 shown]
	v_mov_b32_e32 v79, s5
	v_add_co_u32_e32 v92, vcc, s4, v1
	s_ashr_i32 s7, s17, 31
	s_mov_b32 s6, s17
	v_addc_co_u32_e32 v93, vcc, 0, v79, vcc
	s_lshl_b64 s[6:7], s[6:7], 3
	v_mov_b32_e32 v79, s7
	v_add_co_u32_e32 v94, vcc, s6, v92
	v_addc_co_u32_e32 v95, vcc, v93, v79, vcc
	global_load_dwordx2 v[98:99], v[94:95], off
	global_load_dwordx2 v[106:107], v[8:9], off
	;; [unrolled: 1-line block ×9, first 2 shown]
	v_add_u32_e32 v78, s17, v78
	v_ashrrev_i32_e32 v79, 31, v78
	v_lshlrev_b64 v[80:81], 3, v[78:79]
	v_add_u32_e32 v78, s17, v78
	v_mov_b32_e32 v82, s5
	v_add_co_u32_e32 v80, vcc, s4, v80
	v_ashrrev_i32_e32 v79, 31, v78
	v_addc_co_u32_e32 v81, vcc, v82, v81, vcc
	v_lshlrev_b64 v[82:83], 3, v[78:79]
	v_add_u32_e32 v78, s17, v78
	v_mov_b32_e32 v84, s5
	v_add_co_u32_e32 v82, vcc, s4, v82
	v_ashrrev_i32_e32 v79, 31, v78
	v_addc_co_u32_e32 v83, vcc, v84, v83, vcc
	;; [unrolled: 6-line block ×6, first 2 shown]
	global_load_dwordx2 v[122:123], v[24:25], off
	v_lshlrev_b64 v[78:79], 3, v[78:79]
	v_mov_b32_e32 v132, s5
	v_add_co_u32_e32 v78, vcc, s4, v78
	global_load_dwordx2 v[124:125], v[26:27], off
	global_load_dwordx2 v[126:127], v[28:29], off
	;; [unrolled: 1-line block ×4, first 2 shown]
	v_addc_co_u32_e32 v79, vcc, v132, v79, vcc
	global_load_dwordx2 v[132:133], v[34:35], off
	global_load_dwordx2 v[134:135], v[78:79], off
	;; [unrolled: 1-line block ×16, first 2 shown]
	s_cmpk_lg_i32 s13, 0x84
	s_waitcnt vmcnt(33)
	buffer_store_dword v97, off, s[0:3], 0 offset:4
	buffer_store_dword v96, off, s[0:3], 0
	global_load_dwordx2 v[96:97], v[40:41], off
	s_cselect_b64 s[8:9], -1, 0
	s_waitcnt vmcnt(32)
	buffer_store_dword v99, off, s[0:3], 0 offset:12
	buffer_store_dword v98, off, s[0:3], 0 offset:8
	global_load_dwordx2 v[98:99], v[44:45], off
	s_cmpk_eq_i32 s13, 0x84
	buffer_store_dword v101, off, s[0:3], 0 offset:20
	buffer_store_dword v100, off, s[0:3], 0 offset:16
	global_load_dwordx2 v[100:101], v[48:49], off
	s_nop 0
	buffer_store_dword v103, off, s[0:3], 0 offset:28
	buffer_store_dword v102, off, s[0:3], 0 offset:24
	global_load_dwordx2 v[102:103], v[52:53], off
	s_nop 0
	buffer_store_dword v105, off, s[0:3], 0 offset:36
	buffer_store_dword v104, off, s[0:3], 0 offset:32
	global_load_dwordx2 v[104:105], v[56:57], off
	s_waitcnt vmcnt(43)
	buffer_store_dword v107, off, s[0:3], 0 offset:44
	buffer_store_dword v106, off, s[0:3], 0 offset:40
	global_load_dwordx2 v[106:107], v[60:61], off
	s_waitcnt vmcnt(45)
	;; [unrolled: 4-line block ×5, first 2 shown]
	buffer_store_dword v114, off, s[0:3], 0 offset:72
	buffer_store_dword v115, off, s[0:3], 0 offset:76
	global_load_dwordx2 v[114:115], v[76:77], off
	s_nop 0
	buffer_store_dword v116, off, s[0:3], 0 offset:80
	buffer_store_dword v117, off, s[0:3], 0 offset:84
	global_load_dwordx2 v[116:117], v[82:83], off
	s_nop 0
	buffer_store_dword v118, off, s[0:3], 0 offset:88
	buffer_store_dword v119, off, s[0:3], 0 offset:92
	global_load_dwordx2 v[118:119], v[86:87], off
	s_nop 0
	buffer_store_dword v120, off, s[0:3], 0 offset:96
	buffer_store_dword v121, off, s[0:3], 0 offset:100
	global_load_dwordx2 v[120:121], v[90:91], off
	s_waitcnt vmcnt(59)
	buffer_store_dword v122, off, s[0:3], 0 offset:104
	buffer_store_dword v123, off, s[0:3], 0 offset:108
	s_waitcnt vmcnt(60)
	buffer_store_dword v125, off, s[0:3], 0 offset:116
	buffer_store_dword v124, off, s[0:3], 0 offset:112
	;; [unrolled: 3-line block ×5, first 2 shown]
	buffer_store_dword v132, off, s[0:3], 0 offset:144
	buffer_store_dword v133, off, s[0:3], 0 offset:148
	s_waitcnt vmcnt(62)
	buffer_store_dword v137, off, s[0:3], 0 offset:156
	buffer_store_dword v136, off, s[0:3], 0 offset:152
	buffer_store_dword v139, off, s[0:3], 0 offset:164
	buffer_store_dword v138, off, s[0:3], 0 offset:160
	s_waitcnt vmcnt(52)
	buffer_store_dword v96, off, s[0:3], 0 offset:168
	buffer_store_dword v97, off, s[0:3], 0 offset:172
	;; [unrolled: 5-line block ×14, first 2 shown]
	buffer_store_dword v134, off, s[0:3], 0 offset:368
	buffer_store_dword v135, off, s[0:3], 0 offset:372
	v_mov_b32_e32 v96, 0
	v_mov_b32_e32 v143, 0
	;; [unrolled: 1-line block ×3, first 2 shown]
	s_cbranch_scc1 .LBB46_3
; %bb.2:
	v_lshl_add_u32 v106, v0, 3, v143
	buffer_load_dword v96, v106, s[0:3], 0 offen
	buffer_load_dword v97, v106, s[0:3], 0 offen offset:4
	s_waitcnt vmcnt(0)
	v_div_scale_f64 v[98:99], s[4:5], v[96:97], v[96:97], 1.0
	v_rcp_f64_e32 v[100:101], v[98:99]
	v_div_scale_f64 v[102:103], vcc, 1.0, v[96:97], 1.0
	v_fma_f64 v[104:105], -v[98:99], v[100:101], 1.0
	v_fmac_f64_e32 v[100:101], v[100:101], v[104:105]
	v_fma_f64 v[104:105], -v[98:99], v[100:101], 1.0
	v_fmac_f64_e32 v[100:101], v[100:101], v[104:105]
	v_mul_f64 v[104:105], v[102:103], v[100:101]
	v_fma_f64 v[98:99], -v[98:99], v[104:105], v[102:103]
	v_div_fmas_f64 v[98:99], v[98:99], v[100:101], v[104:105]
	v_div_fixup_f64 v[96:97], v[98:99], v[96:97], 1.0
	buffer_store_dword v96, v106, s[0:3], 0 offen
	buffer_store_dword v97, v106, s[0:3], 0 offen offset:4
	v_xor_b32_e32 v97, 0x80000000, v97
.LBB46_3:
	s_cmpk_eq_i32 s12, 0x79
	v_add_u32_e32 v98, 0x180, v1
	v_add_u32_e32 v99, 0, v1
	s_mov_b64 s[4:5], -1
	ds_write_b64 v1, v[96:97]
	s_cbranch_scc1 .LBB46_457
; %bb.4:
	buffer_load_dword v96, off, s[0:3], 0 offset:360
	buffer_load_dword v97, off, s[0:3], 0 offset:364
	v_cmp_eq_u32_e64 s[4:5], 46, v0
	s_waitcnt vmcnt(0)
	ds_write_b64 v98, v[96:97]
	s_waitcnt lgkmcnt(0)
	; wave barrier
	s_waitcnt lgkmcnt(0)
	s_and_saveexec_b64 s[6:7], s[4:5]
	s_cbranch_execz .LBB46_10
; %bb.5:
	s_and_b64 vcc, exec, s[8:9]
	s_cbranch_vccz .LBB46_7
; %bb.6:
	buffer_load_dword v96, v99, s[0:3], 0 offen
	buffer_load_dword v97, v99, s[0:3], 0 offen offset:4
	ds_read_b64 v[100:101], v98
	s_waitcnt vmcnt(0) lgkmcnt(0)
	v_mul_f64 v[96:97], v[96:97], v[100:101]
	s_cbranch_execz .LBB46_8
	s_branch .LBB46_9
.LBB46_7:
                                        ; implicit-def: $vgpr96_vgpr97
.LBB46_8:
	ds_read_b64 v[96:97], v98
.LBB46_9:
	v_mov_b32_e32 v100, 0
	ds_read_b64 v[100:101], v100 offset:360
	s_waitcnt lgkmcnt(0)
	v_mul_f64 v[96:97], v[96:97], v[100:101]
	buffer_store_dword v97, off, s[0:3], 0 offset:364
	buffer_store_dword v96, off, s[0:3], 0 offset:360
.LBB46_10:
	s_or_b64 exec, exec, s[6:7]
	buffer_load_dword v96, off, s[0:3], 0 offset:352
	buffer_load_dword v97, off, s[0:3], 0 offset:356
	v_or_b32_e32 v100, 8, v143
	v_add_u32_e32 v101, 16, v143
	v_add_u32_e32 v102, 24, v143
	;; [unrolled: 1-line block ×43, first 2 shown]
	v_cmp_lt_u32_e64 s[6:7], 44, v0
	s_waitcnt vmcnt(0)
	ds_write_b64 v98, v[96:97]
	s_waitcnt lgkmcnt(0)
	; wave barrier
	s_waitcnt lgkmcnt(0)
	s_and_saveexec_b64 s[10:11], s[6:7]
	s_cbranch_execz .LBB46_16
; %bb.11:
	s_andn2_b64 vcc, exec, s[8:9]
	s_cbranch_vccnz .LBB46_13
; %bb.12:
	buffer_load_dword v96, v99, s[0:3], 0 offen
	buffer_load_dword v97, v99, s[0:3], 0 offen offset:4
	ds_read_b64 v[144:145], v98
	s_waitcnt vmcnt(0) lgkmcnt(0)
	v_mul_f64 v[96:97], v[96:97], v[144:145]
	s_cbranch_execz .LBB46_14
	s_branch .LBB46_15
.LBB46_13:
                                        ; implicit-def: $vgpr96_vgpr97
.LBB46_14:
	ds_read_b64 v[96:97], v98
.LBB46_15:
	buffer_load_dword v148, off, s[0:3], 0 offset:360
	buffer_load_dword v149, off, s[0:3], 0 offset:364
	v_mov_b32_e32 v144, 0
	ds_read2_b64 v[144:147], v144 offset0:44 offset1:93
	s_waitcnt vmcnt(0) lgkmcnt(0)
	v_fma_f64 v[146:147], v[148:149], v[146:147], v[96:97]
	v_cndmask_b32_e64 v97, v97, v147, s[4:5]
	v_cndmask_b32_e64 v96, v96, v146, s[4:5]
	v_mul_f64 v[96:97], v[96:97], v[144:145]
	buffer_store_dword v97, off, s[0:3], 0 offset:356
	buffer_store_dword v96, off, s[0:3], 0 offset:352
.LBB46_16:
	s_or_b64 exec, exec, s[10:11]
	buffer_load_dword v96, off, s[0:3], 0 offset:344
	buffer_load_dword v97, off, s[0:3], 0 offset:348
	v_cmp_lt_u32_e64 s[4:5], 43, v0
	s_waitcnt vmcnt(0)
	ds_write_b64 v98, v[96:97]
	s_waitcnt lgkmcnt(0)
	; wave barrier
	s_waitcnt lgkmcnt(0)
	s_and_saveexec_b64 s[10:11], s[4:5]
	s_cbranch_execz .LBB46_26
; %bb.17:
	s_andn2_b64 vcc, exec, s[8:9]
	s_cbranch_vccnz .LBB46_19
; %bb.18:
	buffer_load_dword v96, v99, s[0:3], 0 offen
	buffer_load_dword v97, v99, s[0:3], 0 offen offset:4
	ds_read_b64 v[144:145], v98
	s_waitcnt vmcnt(0) lgkmcnt(0)
	v_mul_f64 v[96:97], v[96:97], v[144:145]
	s_cbranch_execz .LBB46_20
	s_branch .LBB46_21
.LBB46_19:
                                        ; implicit-def: $vgpr96_vgpr97
.LBB46_20:
	ds_read_b64 v[96:97], v98
.LBB46_21:
	s_and_saveexec_b64 s[12:13], s[6:7]
	s_cbranch_execz .LBB46_25
; %bb.22:
	v_subrev_u32_e32 v144, 44, v0
	s_movk_i32 s14, 0x2e0
	s_mov_b64 s[6:7], 0
.LBB46_23:                              ; =>This Inner Loop Header: Depth=1
	buffer_load_dword v146, v143, s[0:3], 0 offen
	buffer_load_dword v147, v143, s[0:3], 0 offen offset:4
	v_mov_b32_e32 v145, s14
	ds_read_b64 v[148:149], v145
	v_add_u32_e32 v144, -1, v144
	s_add_i32 s14, s14, 8
	v_cmp_eq_u32_e32 vcc, 0, v144
	v_add_u32_e32 v143, 8, v143
	s_or_b64 s[6:7], vcc, s[6:7]
	s_waitcnt vmcnt(0) lgkmcnt(0)
	v_fmac_f64_e32 v[96:97], v[146:147], v[148:149]
	s_andn2_b64 exec, exec, s[6:7]
	s_cbranch_execnz .LBB46_23
; %bb.24:
	s_or_b64 exec, exec, s[6:7]
.LBB46_25:
	s_or_b64 exec, exec, s[12:13]
	v_mov_b32_e32 v143, 0
	ds_read_b64 v[144:145], v143 offset:344
	s_waitcnt lgkmcnt(0)
	v_mul_f64 v[96:97], v[96:97], v[144:145]
	buffer_store_dword v97, off, s[0:3], 0 offset:348
	buffer_store_dword v96, off, s[0:3], 0 offset:344
.LBB46_26:
	s_or_b64 exec, exec, s[10:11]
	buffer_load_dword v96, off, s[0:3], 0 offset:336
	buffer_load_dword v97, off, s[0:3], 0 offset:340
	v_cmp_lt_u32_e64 s[6:7], 42, v0
	s_waitcnt vmcnt(0)
	ds_write_b64 v98, v[96:97]
	s_waitcnt lgkmcnt(0)
	; wave barrier
	s_waitcnt lgkmcnt(0)
	s_and_saveexec_b64 s[10:11], s[6:7]
	s_cbranch_execz .LBB46_36
; %bb.27:
	s_andn2_b64 vcc, exec, s[8:9]
	s_cbranch_vccnz .LBB46_29
; %bb.28:
	buffer_load_dword v96, v99, s[0:3], 0 offen
	buffer_load_dword v97, v99, s[0:3], 0 offen offset:4
	ds_read_b64 v[144:145], v98
	s_waitcnt vmcnt(0) lgkmcnt(0)
	v_mul_f64 v[96:97], v[96:97], v[144:145]
	s_cbranch_execz .LBB46_30
	s_branch .LBB46_31
.LBB46_29:
                                        ; implicit-def: $vgpr96_vgpr97
.LBB46_30:
	ds_read_b64 v[96:97], v98
.LBB46_31:
	s_and_saveexec_b64 s[12:13], s[4:5]
	s_cbranch_execz .LBB46_35
; %bb.32:
	v_subrev_u32_e32 v143, 43, v0
	s_movk_i32 s14, 0x2d8
	s_mov_b64 s[4:5], 0
.LBB46_33:                              ; =>This Inner Loop Header: Depth=1
	buffer_load_dword v144, v142, s[0:3], 0 offen
	buffer_load_dword v145, v142, s[0:3], 0 offen offset:4
	v_mov_b32_e32 v146, s14
	ds_read_b64 v[146:147], v146
	v_add_u32_e32 v143, -1, v143
	s_add_i32 s14, s14, 8
	v_cmp_eq_u32_e32 vcc, 0, v143
	v_add_u32_e32 v142, 8, v142
	s_or_b64 s[4:5], vcc, s[4:5]
	s_waitcnt vmcnt(0) lgkmcnt(0)
	v_fmac_f64_e32 v[96:97], v[144:145], v[146:147]
	s_andn2_b64 exec, exec, s[4:5]
	s_cbranch_execnz .LBB46_33
; %bb.34:
	s_or_b64 exec, exec, s[4:5]
.LBB46_35:
	s_or_b64 exec, exec, s[12:13]
	v_mov_b32_e32 v142, 0
	ds_read_b64 v[142:143], v142 offset:336
	s_waitcnt lgkmcnt(0)
	v_mul_f64 v[96:97], v[96:97], v[142:143]
	buffer_store_dword v97, off, s[0:3], 0 offset:340
	buffer_store_dword v96, off, s[0:3], 0 offset:336
.LBB46_36:
	;; [unrolled: 58-line block ×8, first 2 shown]
	s_or_b64 exec, exec, s[10:11]
	buffer_load_dword v96, off, s[0:3], 0 offset:280
	buffer_load_dword v97, off, s[0:3], 0 offset:284
	v_cmp_lt_u32_e64 s[4:5], 35, v0
	s_waitcnt vmcnt(0)
	ds_write_b64 v98, v[96:97]
	s_waitcnt lgkmcnt(0)
	; wave barrier
	s_waitcnt lgkmcnt(0)
	s_and_saveexec_b64 s[10:11], s[4:5]
	s_cbranch_execz .LBB46_106
; %bb.97:
	s_andn2_b64 vcc, exec, s[8:9]
	s_cbranch_vccnz .LBB46_99
; %bb.98:
	buffer_load_dword v96, v99, s[0:3], 0 offen
	buffer_load_dword v97, v99, s[0:3], 0 offen offset:4
	ds_read_b64 v[136:137], v98
	s_waitcnt vmcnt(0) lgkmcnt(0)
	v_mul_f64 v[96:97], v[96:97], v[136:137]
	s_cbranch_execz .LBB46_100
	s_branch .LBB46_101
.LBB46_99:
                                        ; implicit-def: $vgpr96_vgpr97
.LBB46_100:
	ds_read_b64 v[96:97], v98
.LBB46_101:
	s_and_saveexec_b64 s[12:13], s[6:7]
	s_cbranch_execz .LBB46_105
; %bb.102:
	v_subrev_u32_e32 v136, 36, v0
	s_movk_i32 s14, 0x2a0
	s_mov_b64 s[6:7], 0
.LBB46_103:                             ; =>This Inner Loop Header: Depth=1
	buffer_load_dword v138, v135, s[0:3], 0 offen
	buffer_load_dword v139, v135, s[0:3], 0 offen offset:4
	v_mov_b32_e32 v137, s14
	ds_read_b64 v[140:141], v137
	v_add_u32_e32 v136, -1, v136
	s_add_i32 s14, s14, 8
	v_cmp_eq_u32_e32 vcc, 0, v136
	v_add_u32_e32 v135, 8, v135
	s_or_b64 s[6:7], vcc, s[6:7]
	s_waitcnt vmcnt(0) lgkmcnt(0)
	v_fmac_f64_e32 v[96:97], v[138:139], v[140:141]
	s_andn2_b64 exec, exec, s[6:7]
	s_cbranch_execnz .LBB46_103
; %bb.104:
	s_or_b64 exec, exec, s[6:7]
.LBB46_105:
	s_or_b64 exec, exec, s[12:13]
	v_mov_b32_e32 v135, 0
	ds_read_b64 v[136:137], v135 offset:280
	s_waitcnt lgkmcnt(0)
	v_mul_f64 v[96:97], v[96:97], v[136:137]
	buffer_store_dword v97, off, s[0:3], 0 offset:284
	buffer_store_dword v96, off, s[0:3], 0 offset:280
.LBB46_106:
	s_or_b64 exec, exec, s[10:11]
	buffer_load_dword v96, off, s[0:3], 0 offset:272
	buffer_load_dword v97, off, s[0:3], 0 offset:276
	v_cmp_lt_u32_e64 s[6:7], 34, v0
	s_waitcnt vmcnt(0)
	ds_write_b64 v98, v[96:97]
	s_waitcnt lgkmcnt(0)
	; wave barrier
	s_waitcnt lgkmcnt(0)
	s_and_saveexec_b64 s[10:11], s[6:7]
	s_cbranch_execz .LBB46_116
; %bb.107:
	s_andn2_b64 vcc, exec, s[8:9]
	s_cbranch_vccnz .LBB46_109
; %bb.108:
	buffer_load_dword v96, v99, s[0:3], 0 offen
	buffer_load_dword v97, v99, s[0:3], 0 offen offset:4
	ds_read_b64 v[136:137], v98
	s_waitcnt vmcnt(0) lgkmcnt(0)
	v_mul_f64 v[96:97], v[96:97], v[136:137]
	s_cbranch_execz .LBB46_110
	s_branch .LBB46_111
.LBB46_109:
                                        ; implicit-def: $vgpr96_vgpr97
.LBB46_110:
	ds_read_b64 v[96:97], v98
.LBB46_111:
	s_and_saveexec_b64 s[12:13], s[4:5]
	s_cbranch_execz .LBB46_115
; %bb.112:
	v_subrev_u32_e32 v135, 35, v0
	s_movk_i32 s14, 0x298
	s_mov_b64 s[4:5], 0
.LBB46_113:                             ; =>This Inner Loop Header: Depth=1
	buffer_load_dword v136, v134, s[0:3], 0 offen
	buffer_load_dword v137, v134, s[0:3], 0 offen offset:4
	v_mov_b32_e32 v138, s14
	ds_read_b64 v[138:139], v138
	v_add_u32_e32 v135, -1, v135
	s_add_i32 s14, s14, 8
	v_cmp_eq_u32_e32 vcc, 0, v135
	v_add_u32_e32 v134, 8, v134
	s_or_b64 s[4:5], vcc, s[4:5]
	s_waitcnt vmcnt(0) lgkmcnt(0)
	v_fmac_f64_e32 v[96:97], v[136:137], v[138:139]
	s_andn2_b64 exec, exec, s[4:5]
	s_cbranch_execnz .LBB46_113
; %bb.114:
	s_or_b64 exec, exec, s[4:5]
.LBB46_115:
	s_or_b64 exec, exec, s[12:13]
	v_mov_b32_e32 v134, 0
	ds_read_b64 v[134:135], v134 offset:272
	s_waitcnt lgkmcnt(0)
	v_mul_f64 v[96:97], v[96:97], v[134:135]
	buffer_store_dword v97, off, s[0:3], 0 offset:276
	buffer_store_dword v96, off, s[0:3], 0 offset:272
.LBB46_116:
	;; [unrolled: 58-line block ×20, first 2 shown]
	s_or_b64 exec, exec, s[10:11]
	buffer_load_dword v96, off, s[0:3], 0 offset:120
	buffer_load_dword v97, off, s[0:3], 0 offset:124
	v_cmp_lt_u32_e64 s[4:5], 15, v0
	s_waitcnt vmcnt(0)
	ds_write_b64 v98, v[96:97]
	s_waitcnt lgkmcnt(0)
	; wave barrier
	s_waitcnt lgkmcnt(0)
	s_and_saveexec_b64 s[10:11], s[4:5]
	s_cbranch_execz .LBB46_306
; %bb.297:
	s_andn2_b64 vcc, exec, s[8:9]
	s_cbranch_vccnz .LBB46_299
; %bb.298:
	buffer_load_dword v96, v99, s[0:3], 0 offen
	buffer_load_dword v97, v99, s[0:3], 0 offen offset:4
	ds_read_b64 v[116:117], v98
	s_waitcnt vmcnt(0) lgkmcnt(0)
	v_mul_f64 v[96:97], v[96:97], v[116:117]
	s_cbranch_execz .LBB46_300
	s_branch .LBB46_301
.LBB46_299:
                                        ; implicit-def: $vgpr96_vgpr97
.LBB46_300:
	ds_read_b64 v[96:97], v98
.LBB46_301:
	s_and_saveexec_b64 s[12:13], s[6:7]
	s_cbranch_execz .LBB46_305
; %bb.302:
	v_add_u32_e32 v116, -16, v0
	s_movk_i32 s14, 0x200
	s_mov_b64 s[6:7], 0
.LBB46_303:                             ; =>This Inner Loop Header: Depth=1
	buffer_load_dword v118, v115, s[0:3], 0 offen
	buffer_load_dword v119, v115, s[0:3], 0 offen offset:4
	v_mov_b32_e32 v117, s14
	ds_read_b64 v[120:121], v117
	v_add_u32_e32 v116, -1, v116
	s_add_i32 s14, s14, 8
	v_cmp_eq_u32_e32 vcc, 0, v116
	v_add_u32_e32 v115, 8, v115
	s_or_b64 s[6:7], vcc, s[6:7]
	s_waitcnt vmcnt(0) lgkmcnt(0)
	v_fmac_f64_e32 v[96:97], v[118:119], v[120:121]
	s_andn2_b64 exec, exec, s[6:7]
	s_cbranch_execnz .LBB46_303
; %bb.304:
	s_or_b64 exec, exec, s[6:7]
.LBB46_305:
	s_or_b64 exec, exec, s[12:13]
	v_mov_b32_e32 v115, 0
	ds_read_b64 v[116:117], v115 offset:120
	s_waitcnt lgkmcnt(0)
	v_mul_f64 v[96:97], v[96:97], v[116:117]
	buffer_store_dword v97, off, s[0:3], 0 offset:124
	buffer_store_dword v96, off, s[0:3], 0 offset:120
.LBB46_306:
	s_or_b64 exec, exec, s[10:11]
	buffer_load_dword v96, off, s[0:3], 0 offset:112
	buffer_load_dword v97, off, s[0:3], 0 offset:116
	v_cmp_lt_u32_e64 s[6:7], 14, v0
	s_waitcnt vmcnt(0)
	ds_write_b64 v98, v[96:97]
	s_waitcnt lgkmcnt(0)
	; wave barrier
	s_waitcnt lgkmcnt(0)
	s_and_saveexec_b64 s[10:11], s[6:7]
	s_cbranch_execz .LBB46_316
; %bb.307:
	s_andn2_b64 vcc, exec, s[8:9]
	s_cbranch_vccnz .LBB46_309
; %bb.308:
	buffer_load_dword v96, v99, s[0:3], 0 offen
	buffer_load_dword v97, v99, s[0:3], 0 offen offset:4
	ds_read_b64 v[116:117], v98
	s_waitcnt vmcnt(0) lgkmcnt(0)
	v_mul_f64 v[96:97], v[96:97], v[116:117]
	s_cbranch_execz .LBB46_310
	s_branch .LBB46_311
.LBB46_309:
                                        ; implicit-def: $vgpr96_vgpr97
.LBB46_310:
	ds_read_b64 v[96:97], v98
.LBB46_311:
	s_and_saveexec_b64 s[12:13], s[4:5]
	s_cbranch_execz .LBB46_315
; %bb.312:
	v_add_u32_e32 v115, -15, v0
	s_movk_i32 s14, 0x1f8
	s_mov_b64 s[4:5], 0
.LBB46_313:                             ; =>This Inner Loop Header: Depth=1
	buffer_load_dword v116, v114, s[0:3], 0 offen
	buffer_load_dword v117, v114, s[0:3], 0 offen offset:4
	v_mov_b32_e32 v118, s14
	ds_read_b64 v[118:119], v118
	v_add_u32_e32 v115, -1, v115
	s_add_i32 s14, s14, 8
	v_cmp_eq_u32_e32 vcc, 0, v115
	v_add_u32_e32 v114, 8, v114
	s_or_b64 s[4:5], vcc, s[4:5]
	s_waitcnt vmcnt(0) lgkmcnt(0)
	v_fmac_f64_e32 v[96:97], v[116:117], v[118:119]
	s_andn2_b64 exec, exec, s[4:5]
	s_cbranch_execnz .LBB46_313
; %bb.314:
	s_or_b64 exec, exec, s[4:5]
.LBB46_315:
	s_or_b64 exec, exec, s[12:13]
	v_mov_b32_e32 v114, 0
	ds_read_b64 v[114:115], v114 offset:112
	s_waitcnt lgkmcnt(0)
	v_mul_f64 v[96:97], v[96:97], v[114:115]
	buffer_store_dword v97, off, s[0:3], 0 offset:116
	buffer_store_dword v96, off, s[0:3], 0 offset:112
.LBB46_316:
	s_or_b64 exec, exec, s[10:11]
	buffer_load_dword v96, off, s[0:3], 0 offset:104
	buffer_load_dword v97, off, s[0:3], 0 offset:108
	v_cmp_lt_u32_e64 s[4:5], 13, v0
	s_waitcnt vmcnt(0)
	ds_write_b64 v98, v[96:97]
	s_waitcnt lgkmcnt(0)
	; wave barrier
	s_waitcnt lgkmcnt(0)
	s_and_saveexec_b64 s[10:11], s[4:5]
	s_cbranch_execz .LBB46_326
; %bb.317:
	s_andn2_b64 vcc, exec, s[8:9]
	s_cbranch_vccnz .LBB46_319
; %bb.318:
	buffer_load_dword v96, v99, s[0:3], 0 offen
	buffer_load_dword v97, v99, s[0:3], 0 offen offset:4
	ds_read_b64 v[114:115], v98
	s_waitcnt vmcnt(0) lgkmcnt(0)
	v_mul_f64 v[96:97], v[96:97], v[114:115]
	s_cbranch_execz .LBB46_320
	s_branch .LBB46_321
.LBB46_319:
                                        ; implicit-def: $vgpr96_vgpr97
.LBB46_320:
	ds_read_b64 v[96:97], v98
.LBB46_321:
	s_and_saveexec_b64 s[12:13], s[6:7]
	s_cbranch_execz .LBB46_325
; %bb.322:
	v_add_u32_e32 v114, -14, v0
	s_movk_i32 s14, 0x1f0
	s_mov_b64 s[6:7], 0
.LBB46_323:                             ; =>This Inner Loop Header: Depth=1
	buffer_load_dword v116, v113, s[0:3], 0 offen
	buffer_load_dword v117, v113, s[0:3], 0 offen offset:4
	v_mov_b32_e32 v115, s14
	ds_read_b64 v[118:119], v115
	v_add_u32_e32 v114, -1, v114
	s_add_i32 s14, s14, 8
	v_cmp_eq_u32_e32 vcc, 0, v114
	v_add_u32_e32 v113, 8, v113
	s_or_b64 s[6:7], vcc, s[6:7]
	s_waitcnt vmcnt(0) lgkmcnt(0)
	v_fmac_f64_e32 v[96:97], v[116:117], v[118:119]
	s_andn2_b64 exec, exec, s[6:7]
	s_cbranch_execnz .LBB46_323
; %bb.324:
	s_or_b64 exec, exec, s[6:7]
.LBB46_325:
	s_or_b64 exec, exec, s[12:13]
	v_mov_b32_e32 v113, 0
	ds_read_b64 v[114:115], v113 offset:104
	s_waitcnt lgkmcnt(0)
	v_mul_f64 v[96:97], v[96:97], v[114:115]
	buffer_store_dword v97, off, s[0:3], 0 offset:108
	buffer_store_dword v96, off, s[0:3], 0 offset:104
.LBB46_326:
	s_or_b64 exec, exec, s[10:11]
	buffer_load_dword v96, off, s[0:3], 0 offset:96
	buffer_load_dword v97, off, s[0:3], 0 offset:100
	v_cmp_lt_u32_e64 s[6:7], 12, v0
	s_waitcnt vmcnt(0)
	ds_write_b64 v98, v[96:97]
	s_waitcnt lgkmcnt(0)
	; wave barrier
	s_waitcnt lgkmcnt(0)
	s_and_saveexec_b64 s[10:11], s[6:7]
	s_cbranch_execz .LBB46_336
; %bb.327:
	s_andn2_b64 vcc, exec, s[8:9]
	s_cbranch_vccnz .LBB46_329
; %bb.328:
	buffer_load_dword v96, v99, s[0:3], 0 offen
	buffer_load_dword v97, v99, s[0:3], 0 offen offset:4
	ds_read_b64 v[114:115], v98
	s_waitcnt vmcnt(0) lgkmcnt(0)
	v_mul_f64 v[96:97], v[96:97], v[114:115]
	s_cbranch_execz .LBB46_330
	s_branch .LBB46_331
.LBB46_329:
                                        ; implicit-def: $vgpr96_vgpr97
.LBB46_330:
	ds_read_b64 v[96:97], v98
.LBB46_331:
	s_and_saveexec_b64 s[12:13], s[4:5]
	s_cbranch_execz .LBB46_335
; %bb.332:
	v_add_u32_e32 v113, -13, v0
	s_movk_i32 s14, 0x1e8
	s_mov_b64 s[4:5], 0
.LBB46_333:                             ; =>This Inner Loop Header: Depth=1
	buffer_load_dword v114, v112, s[0:3], 0 offen
	buffer_load_dword v115, v112, s[0:3], 0 offen offset:4
	v_mov_b32_e32 v116, s14
	ds_read_b64 v[116:117], v116
	v_add_u32_e32 v113, -1, v113
	s_add_i32 s14, s14, 8
	v_cmp_eq_u32_e32 vcc, 0, v113
	v_add_u32_e32 v112, 8, v112
	s_or_b64 s[4:5], vcc, s[4:5]
	s_waitcnt vmcnt(0) lgkmcnt(0)
	v_fmac_f64_e32 v[96:97], v[114:115], v[116:117]
	s_andn2_b64 exec, exec, s[4:5]
	s_cbranch_execnz .LBB46_333
; %bb.334:
	s_or_b64 exec, exec, s[4:5]
.LBB46_335:
	s_or_b64 exec, exec, s[12:13]
	v_mov_b32_e32 v112, 0
	ds_read_b64 v[112:113], v112 offset:96
	s_waitcnt lgkmcnt(0)
	v_mul_f64 v[96:97], v[96:97], v[112:113]
	buffer_store_dword v97, off, s[0:3], 0 offset:100
	buffer_store_dword v96, off, s[0:3], 0 offset:96
.LBB46_336:
	s_or_b64 exec, exec, s[10:11]
	buffer_load_dword v96, off, s[0:3], 0 offset:88
	buffer_load_dword v97, off, s[0:3], 0 offset:92
	v_cmp_lt_u32_e64 s[4:5], 11, v0
	s_waitcnt vmcnt(0)
	ds_write_b64 v98, v[96:97]
	s_waitcnt lgkmcnt(0)
	; wave barrier
	s_waitcnt lgkmcnt(0)
	s_and_saveexec_b64 s[10:11], s[4:5]
	s_cbranch_execz .LBB46_346
; %bb.337:
	s_andn2_b64 vcc, exec, s[8:9]
	s_cbranch_vccnz .LBB46_339
; %bb.338:
	buffer_load_dword v96, v99, s[0:3], 0 offen
	buffer_load_dword v97, v99, s[0:3], 0 offen offset:4
	ds_read_b64 v[112:113], v98
	s_waitcnt vmcnt(0) lgkmcnt(0)
	v_mul_f64 v[96:97], v[96:97], v[112:113]
	s_cbranch_execz .LBB46_340
	s_branch .LBB46_341
.LBB46_339:
                                        ; implicit-def: $vgpr96_vgpr97
.LBB46_340:
	ds_read_b64 v[96:97], v98
.LBB46_341:
	s_and_saveexec_b64 s[12:13], s[6:7]
	s_cbranch_execz .LBB46_345
; %bb.342:
	v_add_u32_e32 v112, -12, v0
	s_movk_i32 s14, 0x1e0
	s_mov_b64 s[6:7], 0
.LBB46_343:                             ; =>This Inner Loop Header: Depth=1
	buffer_load_dword v114, v111, s[0:3], 0 offen
	buffer_load_dword v115, v111, s[0:3], 0 offen offset:4
	v_mov_b32_e32 v113, s14
	ds_read_b64 v[116:117], v113
	v_add_u32_e32 v112, -1, v112
	s_add_i32 s14, s14, 8
	v_cmp_eq_u32_e32 vcc, 0, v112
	v_add_u32_e32 v111, 8, v111
	s_or_b64 s[6:7], vcc, s[6:7]
	s_waitcnt vmcnt(0) lgkmcnt(0)
	v_fmac_f64_e32 v[96:97], v[114:115], v[116:117]
	s_andn2_b64 exec, exec, s[6:7]
	s_cbranch_execnz .LBB46_343
; %bb.344:
	s_or_b64 exec, exec, s[6:7]
.LBB46_345:
	s_or_b64 exec, exec, s[12:13]
	v_mov_b32_e32 v111, 0
	ds_read_b64 v[112:113], v111 offset:88
	s_waitcnt lgkmcnt(0)
	v_mul_f64 v[96:97], v[96:97], v[112:113]
	buffer_store_dword v97, off, s[0:3], 0 offset:92
	buffer_store_dword v96, off, s[0:3], 0 offset:88
.LBB46_346:
	s_or_b64 exec, exec, s[10:11]
	buffer_load_dword v96, off, s[0:3], 0 offset:80
	buffer_load_dword v97, off, s[0:3], 0 offset:84
	v_cmp_lt_u32_e64 s[6:7], 10, v0
	s_waitcnt vmcnt(0)
	ds_write_b64 v98, v[96:97]
	s_waitcnt lgkmcnt(0)
	; wave barrier
	s_waitcnt lgkmcnt(0)
	s_and_saveexec_b64 s[10:11], s[6:7]
	s_cbranch_execz .LBB46_356
; %bb.347:
	s_andn2_b64 vcc, exec, s[8:9]
	s_cbranch_vccnz .LBB46_349
; %bb.348:
	buffer_load_dword v96, v99, s[0:3], 0 offen
	buffer_load_dword v97, v99, s[0:3], 0 offen offset:4
	ds_read_b64 v[112:113], v98
	s_waitcnt vmcnt(0) lgkmcnt(0)
	v_mul_f64 v[96:97], v[96:97], v[112:113]
	s_cbranch_execz .LBB46_350
	s_branch .LBB46_351
.LBB46_349:
                                        ; implicit-def: $vgpr96_vgpr97
.LBB46_350:
	ds_read_b64 v[96:97], v98
.LBB46_351:
	s_and_saveexec_b64 s[12:13], s[4:5]
	s_cbranch_execz .LBB46_355
; %bb.352:
	v_add_u32_e32 v111, -11, v0
	s_movk_i32 s14, 0x1d8
	s_mov_b64 s[4:5], 0
.LBB46_353:                             ; =>This Inner Loop Header: Depth=1
	buffer_load_dword v112, v110, s[0:3], 0 offen
	buffer_load_dword v113, v110, s[0:3], 0 offen offset:4
	v_mov_b32_e32 v114, s14
	ds_read_b64 v[114:115], v114
	v_add_u32_e32 v111, -1, v111
	s_add_i32 s14, s14, 8
	v_cmp_eq_u32_e32 vcc, 0, v111
	v_add_u32_e32 v110, 8, v110
	s_or_b64 s[4:5], vcc, s[4:5]
	s_waitcnt vmcnt(0) lgkmcnt(0)
	v_fmac_f64_e32 v[96:97], v[112:113], v[114:115]
	s_andn2_b64 exec, exec, s[4:5]
	s_cbranch_execnz .LBB46_353
; %bb.354:
	s_or_b64 exec, exec, s[4:5]
.LBB46_355:
	s_or_b64 exec, exec, s[12:13]
	v_mov_b32_e32 v110, 0
	ds_read_b64 v[110:111], v110 offset:80
	s_waitcnt lgkmcnt(0)
	v_mul_f64 v[96:97], v[96:97], v[110:111]
	buffer_store_dword v97, off, s[0:3], 0 offset:84
	buffer_store_dword v96, off, s[0:3], 0 offset:80
.LBB46_356:
	s_or_b64 exec, exec, s[10:11]
	buffer_load_dword v96, off, s[0:3], 0 offset:72
	buffer_load_dword v97, off, s[0:3], 0 offset:76
	v_cmp_lt_u32_e64 s[4:5], 9, v0
	s_waitcnt vmcnt(0)
	ds_write_b64 v98, v[96:97]
	s_waitcnt lgkmcnt(0)
	; wave barrier
	s_waitcnt lgkmcnt(0)
	s_and_saveexec_b64 s[10:11], s[4:5]
	s_cbranch_execz .LBB46_366
; %bb.357:
	s_andn2_b64 vcc, exec, s[8:9]
	s_cbranch_vccnz .LBB46_359
; %bb.358:
	buffer_load_dword v96, v99, s[0:3], 0 offen
	buffer_load_dword v97, v99, s[0:3], 0 offen offset:4
	ds_read_b64 v[110:111], v98
	s_waitcnt vmcnt(0) lgkmcnt(0)
	v_mul_f64 v[96:97], v[96:97], v[110:111]
	s_cbranch_execz .LBB46_360
	s_branch .LBB46_361
.LBB46_359:
                                        ; implicit-def: $vgpr96_vgpr97
.LBB46_360:
	ds_read_b64 v[96:97], v98
.LBB46_361:
	s_and_saveexec_b64 s[12:13], s[6:7]
	s_cbranch_execz .LBB46_365
; %bb.362:
	v_add_u32_e32 v110, -10, v0
	s_movk_i32 s14, 0x1d0
	s_mov_b64 s[6:7], 0
.LBB46_363:                             ; =>This Inner Loop Header: Depth=1
	buffer_load_dword v112, v109, s[0:3], 0 offen
	buffer_load_dword v113, v109, s[0:3], 0 offen offset:4
	v_mov_b32_e32 v111, s14
	ds_read_b64 v[114:115], v111
	v_add_u32_e32 v110, -1, v110
	s_add_i32 s14, s14, 8
	v_cmp_eq_u32_e32 vcc, 0, v110
	v_add_u32_e32 v109, 8, v109
	s_or_b64 s[6:7], vcc, s[6:7]
	s_waitcnt vmcnt(0) lgkmcnt(0)
	v_fmac_f64_e32 v[96:97], v[112:113], v[114:115]
	s_andn2_b64 exec, exec, s[6:7]
	s_cbranch_execnz .LBB46_363
; %bb.364:
	s_or_b64 exec, exec, s[6:7]
.LBB46_365:
	s_or_b64 exec, exec, s[12:13]
	v_mov_b32_e32 v109, 0
	ds_read_b64 v[110:111], v109 offset:72
	s_waitcnt lgkmcnt(0)
	v_mul_f64 v[96:97], v[96:97], v[110:111]
	buffer_store_dword v97, off, s[0:3], 0 offset:76
	buffer_store_dword v96, off, s[0:3], 0 offset:72
.LBB46_366:
	s_or_b64 exec, exec, s[10:11]
	buffer_load_dword v96, off, s[0:3], 0 offset:64
	buffer_load_dword v97, off, s[0:3], 0 offset:68
	v_cmp_lt_u32_e64 s[6:7], 8, v0
	s_waitcnt vmcnt(0)
	ds_write_b64 v98, v[96:97]
	s_waitcnt lgkmcnt(0)
	; wave barrier
	s_waitcnt lgkmcnt(0)
	s_and_saveexec_b64 s[10:11], s[6:7]
	s_cbranch_execz .LBB46_376
; %bb.367:
	s_andn2_b64 vcc, exec, s[8:9]
	s_cbranch_vccnz .LBB46_369
; %bb.368:
	buffer_load_dword v96, v99, s[0:3], 0 offen
	buffer_load_dword v97, v99, s[0:3], 0 offen offset:4
	ds_read_b64 v[110:111], v98
	s_waitcnt vmcnt(0) lgkmcnt(0)
	v_mul_f64 v[96:97], v[96:97], v[110:111]
	s_cbranch_execz .LBB46_370
	s_branch .LBB46_371
.LBB46_369:
                                        ; implicit-def: $vgpr96_vgpr97
.LBB46_370:
	ds_read_b64 v[96:97], v98
.LBB46_371:
	s_and_saveexec_b64 s[12:13], s[4:5]
	s_cbranch_execz .LBB46_375
; %bb.372:
	v_add_u32_e32 v109, -9, v0
	s_movk_i32 s14, 0x1c8
	s_mov_b64 s[4:5], 0
.LBB46_373:                             ; =>This Inner Loop Header: Depth=1
	buffer_load_dword v110, v108, s[0:3], 0 offen
	buffer_load_dword v111, v108, s[0:3], 0 offen offset:4
	v_mov_b32_e32 v112, s14
	ds_read_b64 v[112:113], v112
	v_add_u32_e32 v109, -1, v109
	s_add_i32 s14, s14, 8
	v_cmp_eq_u32_e32 vcc, 0, v109
	v_add_u32_e32 v108, 8, v108
	s_or_b64 s[4:5], vcc, s[4:5]
	s_waitcnt vmcnt(0) lgkmcnt(0)
	v_fmac_f64_e32 v[96:97], v[110:111], v[112:113]
	s_andn2_b64 exec, exec, s[4:5]
	s_cbranch_execnz .LBB46_373
; %bb.374:
	s_or_b64 exec, exec, s[4:5]
.LBB46_375:
	s_or_b64 exec, exec, s[12:13]
	v_mov_b32_e32 v108, 0
	ds_read_b64 v[108:109], v108 offset:64
	s_waitcnt lgkmcnt(0)
	v_mul_f64 v[96:97], v[96:97], v[108:109]
	buffer_store_dword v97, off, s[0:3], 0 offset:68
	buffer_store_dword v96, off, s[0:3], 0 offset:64
.LBB46_376:
	s_or_b64 exec, exec, s[10:11]
	buffer_load_dword v96, off, s[0:3], 0 offset:56
	buffer_load_dword v97, off, s[0:3], 0 offset:60
	v_cmp_lt_u32_e64 s[4:5], 7, v0
	s_waitcnt vmcnt(0)
	ds_write_b64 v98, v[96:97]
	s_waitcnt lgkmcnt(0)
	; wave barrier
	s_waitcnt lgkmcnt(0)
	s_and_saveexec_b64 s[10:11], s[4:5]
	s_cbranch_execz .LBB46_386
; %bb.377:
	s_andn2_b64 vcc, exec, s[8:9]
	s_cbranch_vccnz .LBB46_379
; %bb.378:
	buffer_load_dword v96, v99, s[0:3], 0 offen
	buffer_load_dword v97, v99, s[0:3], 0 offen offset:4
	ds_read_b64 v[108:109], v98
	s_waitcnt vmcnt(0) lgkmcnt(0)
	v_mul_f64 v[96:97], v[96:97], v[108:109]
	s_cbranch_execz .LBB46_380
	s_branch .LBB46_381
.LBB46_379:
                                        ; implicit-def: $vgpr96_vgpr97
.LBB46_380:
	ds_read_b64 v[96:97], v98
.LBB46_381:
	s_and_saveexec_b64 s[12:13], s[6:7]
	s_cbranch_execz .LBB46_385
; %bb.382:
	v_add_u32_e32 v108, -8, v0
	s_movk_i32 s14, 0x1c0
	s_mov_b64 s[6:7], 0
.LBB46_383:                             ; =>This Inner Loop Header: Depth=1
	buffer_load_dword v110, v107, s[0:3], 0 offen
	buffer_load_dword v111, v107, s[0:3], 0 offen offset:4
	v_mov_b32_e32 v109, s14
	ds_read_b64 v[112:113], v109
	v_add_u32_e32 v108, -1, v108
	s_add_i32 s14, s14, 8
	v_cmp_eq_u32_e32 vcc, 0, v108
	v_add_u32_e32 v107, 8, v107
	s_or_b64 s[6:7], vcc, s[6:7]
	s_waitcnt vmcnt(0) lgkmcnt(0)
	v_fmac_f64_e32 v[96:97], v[110:111], v[112:113]
	s_andn2_b64 exec, exec, s[6:7]
	s_cbranch_execnz .LBB46_383
; %bb.384:
	s_or_b64 exec, exec, s[6:7]
.LBB46_385:
	s_or_b64 exec, exec, s[12:13]
	v_mov_b32_e32 v107, 0
	ds_read_b64 v[108:109], v107 offset:56
	s_waitcnt lgkmcnt(0)
	v_mul_f64 v[96:97], v[96:97], v[108:109]
	buffer_store_dword v97, off, s[0:3], 0 offset:60
	buffer_store_dword v96, off, s[0:3], 0 offset:56
.LBB46_386:
	s_or_b64 exec, exec, s[10:11]
	buffer_load_dword v96, off, s[0:3], 0 offset:48
	buffer_load_dword v97, off, s[0:3], 0 offset:52
	v_cmp_lt_u32_e64 s[6:7], 6, v0
	s_waitcnt vmcnt(0)
	ds_write_b64 v98, v[96:97]
	s_waitcnt lgkmcnt(0)
	; wave barrier
	s_waitcnt lgkmcnt(0)
	s_and_saveexec_b64 s[10:11], s[6:7]
	s_cbranch_execz .LBB46_396
; %bb.387:
	s_andn2_b64 vcc, exec, s[8:9]
	s_cbranch_vccnz .LBB46_389
; %bb.388:
	buffer_load_dword v96, v99, s[0:3], 0 offen
	buffer_load_dword v97, v99, s[0:3], 0 offen offset:4
	ds_read_b64 v[108:109], v98
	s_waitcnt vmcnt(0) lgkmcnt(0)
	v_mul_f64 v[96:97], v[96:97], v[108:109]
	s_cbranch_execz .LBB46_390
	s_branch .LBB46_391
.LBB46_389:
                                        ; implicit-def: $vgpr96_vgpr97
.LBB46_390:
	ds_read_b64 v[96:97], v98
.LBB46_391:
	s_and_saveexec_b64 s[12:13], s[4:5]
	s_cbranch_execz .LBB46_395
; %bb.392:
	v_add_u32_e32 v107, -7, v0
	s_movk_i32 s14, 0x1b8
	s_mov_b64 s[4:5], 0
.LBB46_393:                             ; =>This Inner Loop Header: Depth=1
	buffer_load_dword v108, v106, s[0:3], 0 offen
	buffer_load_dword v109, v106, s[0:3], 0 offen offset:4
	v_mov_b32_e32 v110, s14
	ds_read_b64 v[110:111], v110
	v_add_u32_e32 v107, -1, v107
	s_add_i32 s14, s14, 8
	v_cmp_eq_u32_e32 vcc, 0, v107
	v_add_u32_e32 v106, 8, v106
	s_or_b64 s[4:5], vcc, s[4:5]
	s_waitcnt vmcnt(0) lgkmcnt(0)
	v_fmac_f64_e32 v[96:97], v[108:109], v[110:111]
	s_andn2_b64 exec, exec, s[4:5]
	s_cbranch_execnz .LBB46_393
; %bb.394:
	s_or_b64 exec, exec, s[4:5]
.LBB46_395:
	s_or_b64 exec, exec, s[12:13]
	v_mov_b32_e32 v106, 0
	ds_read_b64 v[106:107], v106 offset:48
	s_waitcnt lgkmcnt(0)
	v_mul_f64 v[96:97], v[96:97], v[106:107]
	buffer_store_dword v97, off, s[0:3], 0 offset:52
	buffer_store_dword v96, off, s[0:3], 0 offset:48
.LBB46_396:
	s_or_b64 exec, exec, s[10:11]
	buffer_load_dword v96, off, s[0:3], 0 offset:40
	buffer_load_dword v97, off, s[0:3], 0 offset:44
	v_cmp_lt_u32_e64 s[4:5], 5, v0
	s_waitcnt vmcnt(0)
	ds_write_b64 v98, v[96:97]
	s_waitcnt lgkmcnt(0)
	; wave barrier
	s_waitcnt lgkmcnt(0)
	s_and_saveexec_b64 s[10:11], s[4:5]
	s_cbranch_execz .LBB46_406
; %bb.397:
	s_andn2_b64 vcc, exec, s[8:9]
	s_cbranch_vccnz .LBB46_399
; %bb.398:
	buffer_load_dword v96, v99, s[0:3], 0 offen
	buffer_load_dword v97, v99, s[0:3], 0 offen offset:4
	ds_read_b64 v[106:107], v98
	s_waitcnt vmcnt(0) lgkmcnt(0)
	v_mul_f64 v[96:97], v[96:97], v[106:107]
	s_cbranch_execz .LBB46_400
	s_branch .LBB46_401
.LBB46_399:
                                        ; implicit-def: $vgpr96_vgpr97
.LBB46_400:
	ds_read_b64 v[96:97], v98
.LBB46_401:
	s_and_saveexec_b64 s[12:13], s[6:7]
	s_cbranch_execz .LBB46_405
; %bb.402:
	v_add_u32_e32 v106, -6, v0
	s_movk_i32 s14, 0x1b0
	s_mov_b64 s[6:7], 0
.LBB46_403:                             ; =>This Inner Loop Header: Depth=1
	buffer_load_dword v108, v105, s[0:3], 0 offen
	buffer_load_dword v109, v105, s[0:3], 0 offen offset:4
	v_mov_b32_e32 v107, s14
	ds_read_b64 v[110:111], v107
	v_add_u32_e32 v106, -1, v106
	s_add_i32 s14, s14, 8
	v_cmp_eq_u32_e32 vcc, 0, v106
	v_add_u32_e32 v105, 8, v105
	s_or_b64 s[6:7], vcc, s[6:7]
	s_waitcnt vmcnt(0) lgkmcnt(0)
	v_fmac_f64_e32 v[96:97], v[108:109], v[110:111]
	s_andn2_b64 exec, exec, s[6:7]
	s_cbranch_execnz .LBB46_403
; %bb.404:
	s_or_b64 exec, exec, s[6:7]
.LBB46_405:
	s_or_b64 exec, exec, s[12:13]
	v_mov_b32_e32 v105, 0
	ds_read_b64 v[106:107], v105 offset:40
	s_waitcnt lgkmcnt(0)
	v_mul_f64 v[96:97], v[96:97], v[106:107]
	buffer_store_dword v97, off, s[0:3], 0 offset:44
	buffer_store_dword v96, off, s[0:3], 0 offset:40
.LBB46_406:
	s_or_b64 exec, exec, s[10:11]
	buffer_load_dword v96, off, s[0:3], 0 offset:32
	buffer_load_dword v97, off, s[0:3], 0 offset:36
	v_cmp_lt_u32_e64 s[6:7], 4, v0
	s_waitcnt vmcnt(0)
	ds_write_b64 v98, v[96:97]
	s_waitcnt lgkmcnt(0)
	; wave barrier
	s_waitcnt lgkmcnt(0)
	s_and_saveexec_b64 s[10:11], s[6:7]
	s_cbranch_execz .LBB46_416
; %bb.407:
	s_andn2_b64 vcc, exec, s[8:9]
	s_cbranch_vccnz .LBB46_409
; %bb.408:
	buffer_load_dword v96, v99, s[0:3], 0 offen
	buffer_load_dword v97, v99, s[0:3], 0 offen offset:4
	ds_read_b64 v[106:107], v98
	s_waitcnt vmcnt(0) lgkmcnt(0)
	v_mul_f64 v[96:97], v[96:97], v[106:107]
	s_cbranch_execz .LBB46_410
	s_branch .LBB46_411
.LBB46_409:
                                        ; implicit-def: $vgpr96_vgpr97
.LBB46_410:
	ds_read_b64 v[96:97], v98
.LBB46_411:
	s_and_saveexec_b64 s[12:13], s[4:5]
	s_cbranch_execz .LBB46_415
; %bb.412:
	v_add_u32_e32 v105, -5, v0
	s_movk_i32 s14, 0x1a8
	s_mov_b64 s[4:5], 0
.LBB46_413:                             ; =>This Inner Loop Header: Depth=1
	buffer_load_dword v106, v104, s[0:3], 0 offen
	buffer_load_dword v107, v104, s[0:3], 0 offen offset:4
	v_mov_b32_e32 v108, s14
	ds_read_b64 v[108:109], v108
	v_add_u32_e32 v105, -1, v105
	s_add_i32 s14, s14, 8
	v_cmp_eq_u32_e32 vcc, 0, v105
	v_add_u32_e32 v104, 8, v104
	s_or_b64 s[4:5], vcc, s[4:5]
	s_waitcnt vmcnt(0) lgkmcnt(0)
	v_fmac_f64_e32 v[96:97], v[106:107], v[108:109]
	s_andn2_b64 exec, exec, s[4:5]
	s_cbranch_execnz .LBB46_413
; %bb.414:
	s_or_b64 exec, exec, s[4:5]
.LBB46_415:
	s_or_b64 exec, exec, s[12:13]
	v_mov_b32_e32 v104, 0
	ds_read_b64 v[104:105], v104 offset:32
	s_waitcnt lgkmcnt(0)
	v_mul_f64 v[96:97], v[96:97], v[104:105]
	buffer_store_dword v97, off, s[0:3], 0 offset:36
	buffer_store_dword v96, off, s[0:3], 0 offset:32
.LBB46_416:
	s_or_b64 exec, exec, s[10:11]
	buffer_load_dword v96, off, s[0:3], 0 offset:24
	buffer_load_dword v97, off, s[0:3], 0 offset:28
	v_cmp_lt_u32_e64 s[4:5], 3, v0
	s_waitcnt vmcnt(0)
	ds_write_b64 v98, v[96:97]
	s_waitcnt lgkmcnt(0)
	; wave barrier
	s_waitcnt lgkmcnt(0)
	s_and_saveexec_b64 s[10:11], s[4:5]
	s_cbranch_execz .LBB46_426
; %bb.417:
	s_andn2_b64 vcc, exec, s[8:9]
	s_cbranch_vccnz .LBB46_419
; %bb.418:
	buffer_load_dword v96, v99, s[0:3], 0 offen
	buffer_load_dword v97, v99, s[0:3], 0 offen offset:4
	ds_read_b64 v[104:105], v98
	s_waitcnt vmcnt(0) lgkmcnt(0)
	v_mul_f64 v[96:97], v[96:97], v[104:105]
	s_cbranch_execz .LBB46_420
	s_branch .LBB46_421
.LBB46_419:
                                        ; implicit-def: $vgpr96_vgpr97
.LBB46_420:
	ds_read_b64 v[96:97], v98
.LBB46_421:
	s_and_saveexec_b64 s[12:13], s[6:7]
	s_cbranch_execz .LBB46_425
; %bb.422:
	v_add_u32_e32 v104, -4, v0
	s_movk_i32 s14, 0x1a0
	s_mov_b64 s[6:7], 0
.LBB46_423:                             ; =>This Inner Loop Header: Depth=1
	buffer_load_dword v106, v103, s[0:3], 0 offen
	buffer_load_dword v107, v103, s[0:3], 0 offen offset:4
	v_mov_b32_e32 v105, s14
	ds_read_b64 v[108:109], v105
	v_add_u32_e32 v104, -1, v104
	s_add_i32 s14, s14, 8
	v_cmp_eq_u32_e32 vcc, 0, v104
	v_add_u32_e32 v103, 8, v103
	s_or_b64 s[6:7], vcc, s[6:7]
	s_waitcnt vmcnt(0) lgkmcnt(0)
	v_fmac_f64_e32 v[96:97], v[106:107], v[108:109]
	s_andn2_b64 exec, exec, s[6:7]
	s_cbranch_execnz .LBB46_423
; %bb.424:
	s_or_b64 exec, exec, s[6:7]
.LBB46_425:
	s_or_b64 exec, exec, s[12:13]
	v_mov_b32_e32 v103, 0
	ds_read_b64 v[104:105], v103 offset:24
	s_waitcnt lgkmcnt(0)
	v_mul_f64 v[96:97], v[96:97], v[104:105]
	buffer_store_dword v97, off, s[0:3], 0 offset:28
	buffer_store_dword v96, off, s[0:3], 0 offset:24
.LBB46_426:
	s_or_b64 exec, exec, s[10:11]
	buffer_load_dword v96, off, s[0:3], 0 offset:16
	buffer_load_dword v97, off, s[0:3], 0 offset:20
	v_cmp_lt_u32_e64 s[6:7], 2, v0
	s_waitcnt vmcnt(0)
	ds_write_b64 v98, v[96:97]
	s_waitcnt lgkmcnt(0)
	; wave barrier
	s_waitcnt lgkmcnt(0)
	s_and_saveexec_b64 s[10:11], s[6:7]
	s_cbranch_execz .LBB46_436
; %bb.427:
	s_andn2_b64 vcc, exec, s[8:9]
	s_cbranch_vccnz .LBB46_429
; %bb.428:
	buffer_load_dword v96, v99, s[0:3], 0 offen
	buffer_load_dword v97, v99, s[0:3], 0 offen offset:4
	ds_read_b64 v[104:105], v98
	s_waitcnt vmcnt(0) lgkmcnt(0)
	v_mul_f64 v[96:97], v[96:97], v[104:105]
	s_cbranch_execz .LBB46_430
	s_branch .LBB46_431
.LBB46_429:
                                        ; implicit-def: $vgpr96_vgpr97
.LBB46_430:
	ds_read_b64 v[96:97], v98
.LBB46_431:
	s_and_saveexec_b64 s[12:13], s[4:5]
	s_cbranch_execz .LBB46_435
; %bb.432:
	v_add_u32_e32 v103, -3, v0
	s_movk_i32 s14, 0x198
	s_mov_b64 s[4:5], 0
.LBB46_433:                             ; =>This Inner Loop Header: Depth=1
	buffer_load_dword v104, v102, s[0:3], 0 offen
	buffer_load_dword v105, v102, s[0:3], 0 offen offset:4
	v_mov_b32_e32 v106, s14
	ds_read_b64 v[106:107], v106
	v_add_u32_e32 v103, -1, v103
	s_add_i32 s14, s14, 8
	v_cmp_eq_u32_e32 vcc, 0, v103
	v_add_u32_e32 v102, 8, v102
	s_or_b64 s[4:5], vcc, s[4:5]
	s_waitcnt vmcnt(0) lgkmcnt(0)
	v_fmac_f64_e32 v[96:97], v[104:105], v[106:107]
	s_andn2_b64 exec, exec, s[4:5]
	s_cbranch_execnz .LBB46_433
; %bb.434:
	s_or_b64 exec, exec, s[4:5]
.LBB46_435:
	s_or_b64 exec, exec, s[12:13]
	v_mov_b32_e32 v102, 0
	ds_read_b64 v[102:103], v102 offset:16
	s_waitcnt lgkmcnt(0)
	v_mul_f64 v[96:97], v[96:97], v[102:103]
	buffer_store_dword v97, off, s[0:3], 0 offset:20
	buffer_store_dword v96, off, s[0:3], 0 offset:16
.LBB46_436:
	s_or_b64 exec, exec, s[10:11]
	buffer_load_dword v96, off, s[0:3], 0 offset:8
	buffer_load_dword v97, off, s[0:3], 0 offset:12
	v_cmp_lt_u32_e64 s[4:5], 1, v0
	s_waitcnt vmcnt(0)
	ds_write_b64 v98, v[96:97]
	s_waitcnt lgkmcnt(0)
	; wave barrier
	s_waitcnt lgkmcnt(0)
	s_and_saveexec_b64 s[10:11], s[4:5]
	s_cbranch_execz .LBB46_446
; %bb.437:
	s_andn2_b64 vcc, exec, s[8:9]
	s_cbranch_vccnz .LBB46_439
; %bb.438:
	buffer_load_dword v96, v99, s[0:3], 0 offen
	buffer_load_dword v97, v99, s[0:3], 0 offen offset:4
	ds_read_b64 v[102:103], v98
	s_waitcnt vmcnt(0) lgkmcnt(0)
	v_mul_f64 v[96:97], v[96:97], v[102:103]
	s_cbranch_execz .LBB46_440
	s_branch .LBB46_441
.LBB46_439:
                                        ; implicit-def: $vgpr96_vgpr97
.LBB46_440:
	ds_read_b64 v[96:97], v98
.LBB46_441:
	s_and_saveexec_b64 s[12:13], s[6:7]
	s_cbranch_execz .LBB46_445
; %bb.442:
	v_add_u32_e32 v102, -2, v0
	s_movk_i32 s14, 0x190
	s_mov_b64 s[6:7], 0
.LBB46_443:                             ; =>This Inner Loop Header: Depth=1
	buffer_load_dword v104, v101, s[0:3], 0 offen
	buffer_load_dword v105, v101, s[0:3], 0 offen offset:4
	v_mov_b32_e32 v103, s14
	ds_read_b64 v[106:107], v103
	v_add_u32_e32 v102, -1, v102
	s_add_i32 s14, s14, 8
	v_cmp_eq_u32_e32 vcc, 0, v102
	v_add_u32_e32 v101, 8, v101
	s_or_b64 s[6:7], vcc, s[6:7]
	s_waitcnt vmcnt(0) lgkmcnt(0)
	v_fmac_f64_e32 v[96:97], v[104:105], v[106:107]
	s_andn2_b64 exec, exec, s[6:7]
	s_cbranch_execnz .LBB46_443
; %bb.444:
	s_or_b64 exec, exec, s[6:7]
.LBB46_445:
	s_or_b64 exec, exec, s[12:13]
	v_mov_b32_e32 v101, 0
	ds_read_b64 v[102:103], v101 offset:8
	s_waitcnt lgkmcnt(0)
	v_mul_f64 v[96:97], v[96:97], v[102:103]
	buffer_store_dword v97, off, s[0:3], 0 offset:12
	buffer_store_dword v96, off, s[0:3], 0 offset:8
.LBB46_446:
	s_or_b64 exec, exec, s[10:11]
	buffer_load_dword v96, off, s[0:3], 0
	buffer_load_dword v97, off, s[0:3], 0 offset:4
	v_cmp_ne_u32_e32 vcc, 0, v0
	s_waitcnt vmcnt(0)
	ds_write_b64 v98, v[96:97]
	s_waitcnt lgkmcnt(0)
	; wave barrier
	s_waitcnt lgkmcnt(0)
	s_and_saveexec_b64 s[6:7], vcc
	s_cbranch_execz .LBB46_456
; %bb.447:
	s_andn2_b64 vcc, exec, s[8:9]
	s_cbranch_vccnz .LBB46_449
; %bb.448:
	buffer_load_dword v96, v99, s[0:3], 0 offen
	buffer_load_dword v97, v99, s[0:3], 0 offen offset:4
	ds_read_b64 v[102:103], v98
	s_waitcnt vmcnt(0) lgkmcnt(0)
	v_mul_f64 v[96:97], v[96:97], v[102:103]
	s_cbranch_execz .LBB46_450
	s_branch .LBB46_451
.LBB46_449:
                                        ; implicit-def: $vgpr96_vgpr97
.LBB46_450:
	ds_read_b64 v[96:97], v98
.LBB46_451:
	s_and_saveexec_b64 s[10:11], s[4:5]
	s_cbranch_execz .LBB46_455
; %bb.452:
	v_add_u32_e32 v101, -1, v0
	s_movk_i32 s12, 0x188
	s_mov_b64 s[4:5], 0
.LBB46_453:                             ; =>This Inner Loop Header: Depth=1
	buffer_load_dword v102, v100, s[0:3], 0 offen
	buffer_load_dword v103, v100, s[0:3], 0 offen offset:4
	v_mov_b32_e32 v104, s12
	ds_read_b64 v[104:105], v104
	v_add_u32_e32 v101, -1, v101
	s_add_i32 s12, s12, 8
	v_cmp_eq_u32_e32 vcc, 0, v101
	v_add_u32_e32 v100, 8, v100
	s_or_b64 s[4:5], vcc, s[4:5]
	s_waitcnt vmcnt(0) lgkmcnt(0)
	v_fmac_f64_e32 v[96:97], v[102:103], v[104:105]
	s_andn2_b64 exec, exec, s[4:5]
	s_cbranch_execnz .LBB46_453
; %bb.454:
	s_or_b64 exec, exec, s[4:5]
.LBB46_455:
	s_or_b64 exec, exec, s[10:11]
	v_mov_b32_e32 v100, 0
	ds_read_b64 v[100:101], v100
	s_waitcnt lgkmcnt(0)
	v_mul_f64 v[96:97], v[96:97], v[100:101]
	buffer_store_dword v97, off, s[0:3], 0 offset:4
	buffer_store_dword v96, off, s[0:3], 0
.LBB46_456:
	s_or_b64 exec, exec, s[6:7]
	s_mov_b64 s[4:5], 0
.LBB46_457:
	s_and_b64 vcc, exec, s[4:5]
	s_cbranch_vccz .LBB46_911
; %bb.458:
	buffer_load_dword v96, off, s[0:3], 0 offset:8
	buffer_load_dword v97, off, s[0:3], 0 offset:12
	v_cmp_eq_u32_e64 s[6:7], 0, v0
	s_waitcnt vmcnt(0)
	ds_write_b64 v98, v[96:97]
	s_waitcnt lgkmcnt(0)
	; wave barrier
	s_waitcnt lgkmcnt(0)
	s_and_saveexec_b64 s[4:5], s[6:7]
	s_cbranch_execz .LBB46_464
; %bb.459:
	s_and_b64 vcc, exec, s[8:9]
	s_cbranch_vccz .LBB46_461
; %bb.460:
	buffer_load_dword v96, v99, s[0:3], 0 offen
	buffer_load_dword v97, v99, s[0:3], 0 offen offset:4
	ds_read_b64 v[100:101], v98
	s_waitcnt vmcnt(0) lgkmcnt(0)
	v_mul_f64 v[96:97], v[96:97], v[100:101]
	s_cbranch_execz .LBB46_462
	s_branch .LBB46_463
.LBB46_461:
                                        ; implicit-def: $vgpr96_vgpr97
.LBB46_462:
	ds_read_b64 v[96:97], v98
.LBB46_463:
	v_mov_b32_e32 v100, 0
	ds_read_b64 v[100:101], v100 offset:8
	s_waitcnt lgkmcnt(0)
	v_mul_f64 v[96:97], v[96:97], v[100:101]
	buffer_store_dword v97, off, s[0:3], 0 offset:12
	buffer_store_dword v96, off, s[0:3], 0 offset:8
.LBB46_464:
	s_or_b64 exec, exec, s[4:5]
	buffer_load_dword v96, off, s[0:3], 0 offset:16
	buffer_load_dword v97, off, s[0:3], 0 offset:20
	v_cndmask_b32_e64 v100, 0, 1, s[8:9]
	v_cmp_gt_u32_e32 vcc, 2, v0
	v_cmp_ne_u32_e64 s[4:5], 1, v100
	s_waitcnt vmcnt(0)
	ds_write_b64 v98, v[96:97]
	s_waitcnt lgkmcnt(0)
	; wave barrier
	s_waitcnt lgkmcnt(0)
	s_and_saveexec_b64 s[8:9], vcc
	s_cbranch_execz .LBB46_472
; %bb.465:
	s_and_b64 vcc, exec, s[4:5]
	s_cbranch_vccnz .LBB46_467
; %bb.466:
	buffer_load_dword v96, v99, s[0:3], 0 offen
	buffer_load_dword v97, v99, s[0:3], 0 offen offset:4
	ds_read_b64 v[100:101], v98
	s_waitcnt vmcnt(0) lgkmcnt(0)
	v_mul_f64 v[96:97], v[96:97], v[100:101]
	s_cbranch_execz .LBB46_468
	s_branch .LBB46_469
.LBB46_467:
                                        ; implicit-def: $vgpr96_vgpr97
.LBB46_468:
	ds_read_b64 v[96:97], v98
.LBB46_469:
	s_and_saveexec_b64 s[10:11], s[6:7]
	s_cbranch_execz .LBB46_471
; %bb.470:
	buffer_load_dword v100, v99, s[0:3], 0 offen offset:8
	buffer_load_dword v101, v99, s[0:3], 0 offen offset:12
	ds_read_b64 v[102:103], v98 offset:8
	s_waitcnt vmcnt(0) lgkmcnt(0)
	v_fmac_f64_e32 v[96:97], v[100:101], v[102:103]
.LBB46_471:
	s_or_b64 exec, exec, s[10:11]
	v_mov_b32_e32 v100, 0
	ds_read_b64 v[100:101], v100 offset:16
	s_waitcnt lgkmcnt(0)
	v_mul_f64 v[96:97], v[96:97], v[100:101]
	buffer_store_dword v97, off, s[0:3], 0 offset:20
	buffer_store_dword v96, off, s[0:3], 0 offset:16
.LBB46_472:
	s_or_b64 exec, exec, s[8:9]
	buffer_load_dword v96, off, s[0:3], 0 offset:24
	buffer_load_dword v97, off, s[0:3], 0 offset:28
	v_cmp_gt_u32_e32 vcc, 3, v0
	s_waitcnt vmcnt(0)
	ds_write_b64 v98, v[96:97]
	s_waitcnt lgkmcnt(0)
	; wave barrier
	s_waitcnt lgkmcnt(0)
	s_and_saveexec_b64 s[8:9], vcc
	s_cbranch_execz .LBB46_480
; %bb.473:
	s_and_b64 vcc, exec, s[4:5]
	s_cbranch_vccnz .LBB46_475
; %bb.474:
	buffer_load_dword v96, v99, s[0:3], 0 offen
	buffer_load_dword v97, v99, s[0:3], 0 offen offset:4
	ds_read_b64 v[100:101], v98
	s_waitcnt vmcnt(0) lgkmcnt(0)
	v_mul_f64 v[96:97], v[96:97], v[100:101]
	s_cbranch_execz .LBB46_476
	s_branch .LBB46_477
.LBB46_475:
                                        ; implicit-def: $vgpr96_vgpr97
.LBB46_476:
	ds_read_b64 v[96:97], v98
.LBB46_477:
	v_cmp_ne_u32_e32 vcc, 2, v0
	s_and_saveexec_b64 s[10:11], vcc
	s_cbranch_execz .LBB46_479
; %bb.478:
	buffer_load_dword v101, v99, s[0:3], 0 offen offset:12
	buffer_load_dword v102, off, s[0:3], 0 offset:16
	buffer_load_dword v100, v99, s[0:3], 0 offen offset:8
	buffer_load_dword v103, off, s[0:3], 0 offset:20
	v_mov_b32_e32 v106, 0
	ds_read_b64 v[104:105], v98 offset:8
	ds_read_b64 v[106:107], v106 offset:400
	s_waitcnt vmcnt(1) lgkmcnt(1)
	v_fmac_f64_e32 v[96:97], v[100:101], v[104:105]
	s_waitcnt vmcnt(0) lgkmcnt(0)
	v_fma_f64 v[100:101], v[102:103], v[106:107], v[96:97]
	v_cndmask_b32_e64 v97, v97, v101, s[6:7]
	v_cndmask_b32_e64 v96, v96, v100, s[6:7]
.LBB46_479:
	s_or_b64 exec, exec, s[10:11]
	v_mov_b32_e32 v100, 0
	ds_read_b64 v[100:101], v100 offset:24
	s_waitcnt lgkmcnt(0)
	v_mul_f64 v[96:97], v[96:97], v[100:101]
	buffer_store_dword v97, off, s[0:3], 0 offset:28
	buffer_store_dword v96, off, s[0:3], 0 offset:24
.LBB46_480:
	s_or_b64 exec, exec, s[8:9]
	buffer_load_dword v96, off, s[0:3], 0 offset:32
	buffer_load_dword v97, off, s[0:3], 0 offset:36
	v_cmp_gt_u32_e32 vcc, 4, v0
	s_waitcnt vmcnt(0)
	ds_write_b64 v98, v[96:97]
	s_waitcnt lgkmcnt(0)
	; wave barrier
	s_waitcnt lgkmcnt(0)
	s_and_saveexec_b64 s[6:7], vcc
	s_cbranch_execz .LBB46_490
; %bb.481:
	s_and_b64 vcc, exec, s[4:5]
	s_cbranch_vccnz .LBB46_483
; %bb.482:
	buffer_load_dword v96, v99, s[0:3], 0 offen
	buffer_load_dword v97, v99, s[0:3], 0 offen offset:4
	ds_read_b64 v[100:101], v98
	s_waitcnt vmcnt(0) lgkmcnt(0)
	v_mul_f64 v[96:97], v[96:97], v[100:101]
	s_cbranch_execz .LBB46_484
	s_branch .LBB46_485
.LBB46_483:
                                        ; implicit-def: $vgpr96_vgpr97
.LBB46_484:
	ds_read_b64 v[96:97], v98
.LBB46_485:
	v_cmp_ne_u32_e32 vcc, 3, v0
	s_and_saveexec_b64 s[8:9], vcc
	s_cbranch_execz .LBB46_489
; %bb.486:
	v_mov_b32_e32 v101, 0
	v_add_u32_e32 v100, 0x188, v1
	v_add3_u32 v101, v1, v101, 8
	s_mov_b64 s[10:11], 0
	v_mov_b32_e32 v102, v0
.LBB46_487:                             ; =>This Inner Loop Header: Depth=1
	buffer_load_dword v104, v101, s[0:3], 0 offen
	buffer_load_dword v105, v101, s[0:3], 0 offen offset:4
	ds_read_b64 v[106:107], v100
	v_add_u32_e32 v102, 1, v102
	v_cmp_lt_u32_e32 vcc, 2, v102
	v_add_u32_e32 v100, 8, v100
	v_add_u32_e32 v101, 8, v101
	s_or_b64 s[10:11], vcc, s[10:11]
	s_waitcnt vmcnt(0) lgkmcnt(0)
	v_fmac_f64_e32 v[96:97], v[104:105], v[106:107]
	s_andn2_b64 exec, exec, s[10:11]
	s_cbranch_execnz .LBB46_487
; %bb.488:
	s_or_b64 exec, exec, s[10:11]
.LBB46_489:
	s_or_b64 exec, exec, s[8:9]
	v_mov_b32_e32 v100, 0
	ds_read_b64 v[100:101], v100 offset:32
	s_waitcnt lgkmcnt(0)
	v_mul_f64 v[96:97], v[96:97], v[100:101]
	buffer_store_dword v97, off, s[0:3], 0 offset:36
	buffer_store_dword v96, off, s[0:3], 0 offset:32
.LBB46_490:
	s_or_b64 exec, exec, s[6:7]
	buffer_load_dword v96, off, s[0:3], 0 offset:40
	buffer_load_dword v97, off, s[0:3], 0 offset:44
	v_cmp_gt_u32_e32 vcc, 5, v0
	s_waitcnt vmcnt(0)
	ds_write_b64 v98, v[96:97]
	s_waitcnt lgkmcnt(0)
	; wave barrier
	s_waitcnt lgkmcnt(0)
	s_and_saveexec_b64 s[6:7], vcc
	s_cbranch_execz .LBB46_500
; %bb.491:
	s_and_b64 vcc, exec, s[4:5]
	s_cbranch_vccnz .LBB46_493
; %bb.492:
	buffer_load_dword v96, v99, s[0:3], 0 offen
	buffer_load_dword v97, v99, s[0:3], 0 offen offset:4
	ds_read_b64 v[100:101], v98
	s_waitcnt vmcnt(0) lgkmcnt(0)
	v_mul_f64 v[96:97], v[96:97], v[100:101]
	s_cbranch_execz .LBB46_494
	s_branch .LBB46_495
.LBB46_493:
                                        ; implicit-def: $vgpr96_vgpr97
.LBB46_494:
	ds_read_b64 v[96:97], v98
.LBB46_495:
	v_cmp_ne_u32_e32 vcc, 4, v0
	s_and_saveexec_b64 s[8:9], vcc
	s_cbranch_execz .LBB46_499
; %bb.496:
	v_mov_b32_e32 v101, 0
	v_add_u32_e32 v100, 0x188, v1
	v_add3_u32 v101, v1, v101, 8
	s_mov_b64 s[10:11], 0
	v_mov_b32_e32 v102, v0
.LBB46_497:                             ; =>This Inner Loop Header: Depth=1
	buffer_load_dword v104, v101, s[0:3], 0 offen
	buffer_load_dword v105, v101, s[0:3], 0 offen offset:4
	ds_read_b64 v[106:107], v100
	v_add_u32_e32 v102, 1, v102
	v_cmp_lt_u32_e32 vcc, 3, v102
	v_add_u32_e32 v100, 8, v100
	v_add_u32_e32 v101, 8, v101
	s_or_b64 s[10:11], vcc, s[10:11]
	s_waitcnt vmcnt(0) lgkmcnt(0)
	v_fmac_f64_e32 v[96:97], v[104:105], v[106:107]
	s_andn2_b64 exec, exec, s[10:11]
	s_cbranch_execnz .LBB46_497
; %bb.498:
	s_or_b64 exec, exec, s[10:11]
.LBB46_499:
	s_or_b64 exec, exec, s[8:9]
	v_mov_b32_e32 v100, 0
	ds_read_b64 v[100:101], v100 offset:40
	s_waitcnt lgkmcnt(0)
	v_mul_f64 v[96:97], v[96:97], v[100:101]
	buffer_store_dword v97, off, s[0:3], 0 offset:44
	buffer_store_dword v96, off, s[0:3], 0 offset:40
.LBB46_500:
	;; [unrolled: 60-line block ×41, first 2 shown]
	s_or_b64 exec, exec, s[6:7]
	buffer_load_dword v96, off, s[0:3], 0 offset:360
	buffer_load_dword v97, off, s[0:3], 0 offset:364
	v_cmp_gt_u32_e64 s[6:7], 45, v0
	s_waitcnt vmcnt(0)
	ds_write_b64 v98, v[96:97]
	s_waitcnt lgkmcnt(0)
	; wave barrier
	s_waitcnt lgkmcnt(0)
	s_and_saveexec_b64 s[8:9], s[6:7]
	s_cbranch_execz .LBB46_900
; %bb.891:
	s_and_b64 vcc, exec, s[4:5]
	s_cbranch_vccnz .LBB46_893
; %bb.892:
	buffer_load_dword v96, v99, s[0:3], 0 offen
	buffer_load_dword v97, v99, s[0:3], 0 offen offset:4
	ds_read_b64 v[100:101], v98
	s_waitcnt vmcnt(0) lgkmcnt(0)
	v_mul_f64 v[96:97], v[96:97], v[100:101]
	s_cbranch_execz .LBB46_894
	s_branch .LBB46_895
.LBB46_893:
                                        ; implicit-def: $vgpr96_vgpr97
.LBB46_894:
	ds_read_b64 v[96:97], v98
.LBB46_895:
	v_cmp_ne_u32_e32 vcc, 44, v0
	s_and_saveexec_b64 s[10:11], vcc
	s_cbranch_execz .LBB46_899
; %bb.896:
	v_mov_b32_e32 v101, 0
	v_add_u32_e32 v100, 0x188, v1
	v_add3_u32 v101, v1, v101, 8
	s_mov_b64 s[12:13], 0
	v_mov_b32_e32 v102, v0
.LBB46_897:                             ; =>This Inner Loop Header: Depth=1
	buffer_load_dword v104, v101, s[0:3], 0 offen
	buffer_load_dword v105, v101, s[0:3], 0 offen offset:4
	ds_read_b64 v[106:107], v100
	v_add_u32_e32 v102, 1, v102
	v_cmp_lt_u32_e32 vcc, 43, v102
	v_add_u32_e32 v100, 8, v100
	v_add_u32_e32 v101, 8, v101
	s_or_b64 s[12:13], vcc, s[12:13]
	s_waitcnt vmcnt(0) lgkmcnt(0)
	v_fmac_f64_e32 v[96:97], v[104:105], v[106:107]
	s_andn2_b64 exec, exec, s[12:13]
	s_cbranch_execnz .LBB46_897
; %bb.898:
	s_or_b64 exec, exec, s[12:13]
.LBB46_899:
	s_or_b64 exec, exec, s[10:11]
	v_mov_b32_e32 v100, 0
	ds_read_b64 v[100:101], v100 offset:360
	s_waitcnt lgkmcnt(0)
	v_mul_f64 v[96:97], v[96:97], v[100:101]
	buffer_store_dword v97, off, s[0:3], 0 offset:364
	buffer_store_dword v96, off, s[0:3], 0 offset:360
.LBB46_900:
	s_or_b64 exec, exec, s[8:9]
	buffer_load_dword v96, off, s[0:3], 0 offset:368
	buffer_load_dword v97, off, s[0:3], 0 offset:372
	v_cmp_ne_u32_e32 vcc, 46, v0
	s_waitcnt vmcnt(0)
	ds_write_b64 v98, v[96:97]
	s_waitcnt lgkmcnt(0)
	; wave barrier
	s_waitcnt lgkmcnt(0)
	s_and_saveexec_b64 s[8:9], vcc
	s_cbranch_execz .LBB46_910
; %bb.901:
	s_and_b64 vcc, exec, s[4:5]
	s_cbranch_vccnz .LBB46_903
; %bb.902:
	buffer_load_dword v96, v99, s[0:3], 0 offen
	buffer_load_dword v97, v99, s[0:3], 0 offen offset:4
	ds_read_b64 v[100:101], v98
	s_waitcnt vmcnt(0) lgkmcnt(0)
	v_mul_f64 v[96:97], v[96:97], v[100:101]
	s_cbranch_execz .LBB46_904
	s_branch .LBB46_905
.LBB46_903:
                                        ; implicit-def: $vgpr96_vgpr97
.LBB46_904:
	ds_read_b64 v[96:97], v98
.LBB46_905:
	s_and_saveexec_b64 s[4:5], s[6:7]
	s_cbranch_execz .LBB46_909
; %bb.906:
	v_mov_b32_e32 v99, 0
	v_add_u32_e32 v98, 0x188, v1
	v_add3_u32 v1, v1, v99, 8
	s_mov_b64 s[6:7], 0
.LBB46_907:                             ; =>This Inner Loop Header: Depth=1
	buffer_load_dword v100, v1, s[0:3], 0 offen
	buffer_load_dword v101, v1, s[0:3], 0 offen offset:4
	ds_read_b64 v[102:103], v98
	v_add_u32_e32 v0, 1, v0
	v_cmp_lt_u32_e32 vcc, 44, v0
	v_add_u32_e32 v98, 8, v98
	v_add_u32_e32 v1, 8, v1
	s_or_b64 s[6:7], vcc, s[6:7]
	s_waitcnt vmcnt(0) lgkmcnt(0)
	v_fmac_f64_e32 v[96:97], v[100:101], v[102:103]
	s_andn2_b64 exec, exec, s[6:7]
	s_cbranch_execnz .LBB46_907
; %bb.908:
	s_or_b64 exec, exec, s[6:7]
.LBB46_909:
	s_or_b64 exec, exec, s[4:5]
	v_mov_b32_e32 v0, 0
	ds_read_b64 v[0:1], v0 offset:368
	s_waitcnt lgkmcnt(0)
	v_mul_f64 v[0:1], v[96:97], v[0:1]
	buffer_store_dword v1, off, s[0:3], 0 offset:372
	buffer_store_dword v0, off, s[0:3], 0 offset:368
.LBB46_910:
	s_or_b64 exec, exec, s[8:9]
.LBB46_911:
	buffer_load_dword v0, off, s[0:3], 0
	buffer_load_dword v1, off, s[0:3], 0 offset:4
	buffer_load_dword v96, off, s[0:3], 0 offset:8
	;; [unrolled: 1-line block ×15, first 2 shown]
	s_waitcnt vmcnt(14)
	global_store_dwordx2 v[92:93], v[0:1], off
	s_waitcnt vmcnt(13)
	global_store_dwordx2 v[94:95], v[96:97], off
	s_waitcnt vmcnt(12)
	global_store_dwordx2 v[2:3], v[98:99], off
	s_waitcnt vmcnt(11)
	global_store_dwordx2 v[4:5], v[100:101], off
	s_waitcnt vmcnt(10)
	global_store_dwordx2 v[6:7], v[102:103], off
	s_waitcnt vmcnt(9)
	global_store_dwordx2 v[8:9], v[104:105], off
	s_waitcnt vmcnt(8)
	global_store_dwordx2 v[10:11], v[106:107], off
	s_waitcnt vmcnt(7)
	global_store_dwordx2 v[14:15], v[108:109], off
	buffer_load_dword v1, off, s[0:3], 0 offset:68
	buffer_load_dword v0, off, s[0:3], 0 offset:64
	s_waitcnt vmcnt(0)
	global_store_dwordx2 v[20:21], v[0:1], off
	buffer_load_dword v0, off, s[0:3], 0 offset:72
	s_nop 0
	buffer_load_dword v1, off, s[0:3], 0 offset:76
	s_waitcnt vmcnt(0)
	global_store_dwordx2 v[12:13], v[0:1], off
	buffer_load_dword v0, off, s[0:3], 0 offset:80
	s_nop 0
	;; [unrolled: 5-line block ×38, first 2 shown]
	buffer_load_dword v1, off, s[0:3], 0 offset:372
	s_waitcnt vmcnt(0)
	global_store_dwordx2 v[78:79], v[0:1], off
.LBB46_912:
	s_endpgm
	.section	.rodata,"a",@progbits
	.p2align	6, 0x0
	.amdhsa_kernel _ZN9rocsolver6v33100L18trti2_kernel_smallILi47EdPdEEv13rocblas_fill_17rocblas_diagonal_T1_iil
		.amdhsa_group_segment_fixed_size 760
		.amdhsa_private_segment_fixed_size 384
		.amdhsa_kernarg_size 32
		.amdhsa_user_sgpr_count 8
		.amdhsa_user_sgpr_private_segment_buffer 1
		.amdhsa_user_sgpr_dispatch_ptr 0
		.amdhsa_user_sgpr_queue_ptr 0
		.amdhsa_user_sgpr_kernarg_segment_ptr 1
		.amdhsa_user_sgpr_dispatch_id 0
		.amdhsa_user_sgpr_flat_scratch_init 1
		.amdhsa_user_sgpr_kernarg_preload_length 0
		.amdhsa_user_sgpr_kernarg_preload_offset 0
		.amdhsa_user_sgpr_private_segment_size 0
		.amdhsa_uses_dynamic_stack 0
		.amdhsa_system_sgpr_private_segment_wavefront_offset 1
		.amdhsa_system_sgpr_workgroup_id_x 1
		.amdhsa_system_sgpr_workgroup_id_y 0
		.amdhsa_system_sgpr_workgroup_id_z 0
		.amdhsa_system_sgpr_workgroup_info 0
		.amdhsa_system_vgpr_workitem_id 0
		.amdhsa_next_free_vgpr 164
		.amdhsa_next_free_sgpr 20
		.amdhsa_accum_offset 164
		.amdhsa_reserve_vcc 1
		.amdhsa_reserve_flat_scratch 0
		.amdhsa_float_round_mode_32 0
		.amdhsa_float_round_mode_16_64 0
		.amdhsa_float_denorm_mode_32 3
		.amdhsa_float_denorm_mode_16_64 3
		.amdhsa_dx10_clamp 1
		.amdhsa_ieee_mode 1
		.amdhsa_fp16_overflow 0
		.amdhsa_tg_split 0
		.amdhsa_exception_fp_ieee_invalid_op 0
		.amdhsa_exception_fp_denorm_src 0
		.amdhsa_exception_fp_ieee_div_zero 0
		.amdhsa_exception_fp_ieee_overflow 0
		.amdhsa_exception_fp_ieee_underflow 0
		.amdhsa_exception_fp_ieee_inexact 0
		.amdhsa_exception_int_div_zero 0
	.end_amdhsa_kernel
	.section	.text._ZN9rocsolver6v33100L18trti2_kernel_smallILi47EdPdEEv13rocblas_fill_17rocblas_diagonal_T1_iil,"axG",@progbits,_ZN9rocsolver6v33100L18trti2_kernel_smallILi47EdPdEEv13rocblas_fill_17rocblas_diagonal_T1_iil,comdat
.Lfunc_end46:
	.size	_ZN9rocsolver6v33100L18trti2_kernel_smallILi47EdPdEEv13rocblas_fill_17rocblas_diagonal_T1_iil, .Lfunc_end46-_ZN9rocsolver6v33100L18trti2_kernel_smallILi47EdPdEEv13rocblas_fill_17rocblas_diagonal_T1_iil
                                        ; -- End function
	.section	.AMDGPU.csdata,"",@progbits
; Kernel info:
; codeLenInByte = 27556
; NumSgprs: 24
; NumVgprs: 164
; NumAgprs: 0
; TotalNumVgprs: 164
; ScratchSize: 384
; MemoryBound: 0
; FloatMode: 240
; IeeeMode: 1
; LDSByteSize: 760 bytes/workgroup (compile time only)
; SGPRBlocks: 2
; VGPRBlocks: 20
; NumSGPRsForWavesPerEU: 24
; NumVGPRsForWavesPerEU: 164
; AccumOffset: 164
; Occupancy: 3
; WaveLimiterHint : 0
; COMPUTE_PGM_RSRC2:SCRATCH_EN: 1
; COMPUTE_PGM_RSRC2:USER_SGPR: 8
; COMPUTE_PGM_RSRC2:TRAP_HANDLER: 0
; COMPUTE_PGM_RSRC2:TGID_X_EN: 1
; COMPUTE_PGM_RSRC2:TGID_Y_EN: 0
; COMPUTE_PGM_RSRC2:TGID_Z_EN: 0
; COMPUTE_PGM_RSRC2:TIDIG_COMP_CNT: 0
; COMPUTE_PGM_RSRC3_GFX90A:ACCUM_OFFSET: 40
; COMPUTE_PGM_RSRC3_GFX90A:TG_SPLIT: 0
	.section	.text._ZN9rocsolver6v33100L18trti2_kernel_smallILi48EdPdEEv13rocblas_fill_17rocblas_diagonal_T1_iil,"axG",@progbits,_ZN9rocsolver6v33100L18trti2_kernel_smallILi48EdPdEEv13rocblas_fill_17rocblas_diagonal_T1_iil,comdat
	.globl	_ZN9rocsolver6v33100L18trti2_kernel_smallILi48EdPdEEv13rocblas_fill_17rocblas_diagonal_T1_iil ; -- Begin function _ZN9rocsolver6v33100L18trti2_kernel_smallILi48EdPdEEv13rocblas_fill_17rocblas_diagonal_T1_iil
	.p2align	8
	.type	_ZN9rocsolver6v33100L18trti2_kernel_smallILi48EdPdEEv13rocblas_fill_17rocblas_diagonal_T1_iil,@function
_ZN9rocsolver6v33100L18trti2_kernel_smallILi48EdPdEEv13rocblas_fill_17rocblas_diagonal_T1_iil: ; @_ZN9rocsolver6v33100L18trti2_kernel_smallILi48EdPdEEv13rocblas_fill_17rocblas_diagonal_T1_iil
; %bb.0:
	s_add_u32 s0, s0, s9
	s_addc_u32 s1, s1, 0
	v_cmp_gt_u32_e32 vcc, 48, v0
	s_and_saveexec_b64 s[6:7], vcc
	s_cbranch_execz .LBB47_932
; %bb.1:
	s_load_dwordx8 s[12:19], s[4:5], 0x0
	s_ashr_i32 s6, s8, 31
	s_waitcnt lgkmcnt(0)
	s_mul_i32 s7, s8, s19
	s_mul_hi_u32 s9, s8, s18
	s_add_i32 s7, s9, s7
	s_mul_i32 s6, s6, s18
	s_add_i32 s7, s7, s6
	s_mul_i32 s6, s8, s18
	s_ashr_i32 s5, s16, 31
	s_lshl_b64 s[6:7], s[6:7], 3
	s_mov_b32 s4, s16
	s_add_u32 s6, s14, s6
	s_addc_u32 s7, s15, s7
	s_lshl_b64 s[4:5], s[4:5], 3
	s_add_u32 s4, s6, s4
	s_addc_u32 s5, s7, s5
	s_add_i32 s6, s17, s17
	v_add_u32_e32 v4, s6, v0
	v_ashrrev_i32_e32 v5, 31, v4
	v_lshlrev_b64 v[2:3], 3, v[4:5]
	v_add_u32_e32 v6, s17, v4
	v_mov_b32_e32 v1, s5
	v_add_co_u32_e32 v2, vcc, s4, v2
	v_ashrrev_i32_e32 v7, 31, v6
	v_addc_co_u32_e32 v3, vcc, v1, v3, vcc
	v_lshlrev_b64 v[4:5], 3, v[6:7]
	v_add_u32_e32 v8, s17, v6
	v_add_co_u32_e32 v4, vcc, s4, v4
	v_ashrrev_i32_e32 v9, 31, v8
	v_addc_co_u32_e32 v5, vcc, v1, v5, vcc
	v_lshlrev_b64 v[6:7], 3, v[8:9]
	v_add_u32_e32 v10, s17, v8
	;; [unrolled: 5-line block ×5, first 2 shown]
	v_add_co_u32_e32 v14, vcc, s4, v14
	v_ashrrev_i32_e32 v13, 31, v12
	v_addc_co_u32_e32 v15, vcc, v1, v15, vcc
	v_lshlrev_b64 v[16:17], 3, v[12:13]
	v_add_co_u32_e32 v20, vcc, s4, v16
	v_add_u32_e32 v16, s17, v12
	v_addc_co_u32_e32 v21, vcc, v1, v17, vcc
	v_ashrrev_i32_e32 v17, 31, v16
	v_lshlrev_b64 v[12:13], 3, v[16:17]
	v_add_u32_e32 v18, s17, v16
	v_add_co_u32_e32 v12, vcc, s4, v12
	v_ashrrev_i32_e32 v19, 31, v18
	v_addc_co_u32_e32 v13, vcc, v1, v13, vcc
	v_lshlrev_b64 v[16:17], 3, v[18:19]
	v_add_u32_e32 v22, s17, v18
	v_add_co_u32_e32 v16, vcc, s4, v16
	v_ashrrev_i32_e32 v23, 31, v22
	v_addc_co_u32_e32 v17, vcc, v1, v17, vcc
	;; [unrolled: 5-line block ×30, first 2 shown]
	v_lshlrev_b64 v[76:77], 3, v[78:79]
	v_add_co_u32_e32 v76, vcc, s4, v76
	v_add_u32_e32 v78, s17, v78
	v_addc_co_u32_e32 v77, vcc, v1, v77, vcc
	v_ashrrev_i32_e32 v79, 31, v78
	v_lshlrev_b32_e32 v1, 3, v0
	v_lshlrev_b64 v[80:81], 3, v[78:79]
	global_load_dwordx2 v[98:99], v1, s[4:5]
	global_load_dwordx2 v[102:103], v[2:3], off
	global_load_dwordx2 v[104:105], v[4:5], off
	;; [unrolled: 1-line block ×3, first 2 shown]
	v_mov_b32_e32 v79, s5
	v_add_co_u32_e32 v94, vcc, s4, v1
	s_ashr_i32 s7, s17, 31
	s_mov_b32 s6, s17
	v_addc_co_u32_e32 v95, vcc, 0, v79, vcc
	s_lshl_b64 s[6:7], s[6:7], 3
	v_mov_b32_e32 v79, s7
	v_add_co_u32_e32 v96, vcc, s6, v94
	v_addc_co_u32_e32 v97, vcc, v95, v79, vcc
	global_load_dwordx2 v[100:101], v[96:97], off
	global_load_dwordx2 v[108:109], v[8:9], off
	;; [unrolled: 1-line block ×11, first 2 shown]
	v_add_u32_e32 v78, s17, v78
	v_mov_b32_e32 v82, s5
	v_add_co_u32_e32 v80, vcc, s4, v80
	v_ashrrev_i32_e32 v79, 31, v78
	v_addc_co_u32_e32 v81, vcc, v82, v81, vcc
	v_lshlrev_b64 v[82:83], 3, v[78:79]
	v_add_u32_e32 v78, s17, v78
	v_mov_b32_e32 v84, s5
	v_add_co_u32_e32 v82, vcc, s4, v82
	v_ashrrev_i32_e32 v79, 31, v78
	v_addc_co_u32_e32 v83, vcc, v84, v83, vcc
	v_lshlrev_b64 v[84:85], 3, v[78:79]
	;; [unrolled: 6-line block ×7, first 2 shown]
	v_add_co_u32_e32 v78, vcc, s4, v78
	v_addc_co_u32_e32 v79, vcc, v128, v79, vcc
	global_load_dwordx2 v[128:129], v[28:29], off
	global_load_dwordx2 v[130:131], v[78:79], off
	;; [unrolled: 1-line block ×18, first 2 shown]
	s_cmpk_lg_i32 s13, 0x84
	s_waitcnt vmcnt(32)
	buffer_store_dword v99, off, s[0:3], 0 offset:4
	buffer_store_dword v98, off, s[0:3], 0
	global_load_dwordx2 v[98:99], v[34:35], off
	s_cselect_b64 s[8:9], -1, 0
	s_waitcnt vmcnt(31)
	buffer_store_dword v101, off, s[0:3], 0 offset:12
	buffer_store_dword v100, off, s[0:3], 0 offset:8
	global_load_dwordx2 v[100:101], v[38:39], off
	s_cmpk_eq_i32 s13, 0x84
	buffer_store_dword v103, off, s[0:3], 0 offset:20
	buffer_store_dword v102, off, s[0:3], 0 offset:16
	global_load_dwordx2 v[102:103], v[42:43], off
	s_nop 0
	buffer_store_dword v105, off, s[0:3], 0 offset:28
	buffer_store_dword v104, off, s[0:3], 0 offset:24
	global_load_dwordx2 v[104:105], v[46:47], off
	s_nop 0
	buffer_store_dword v107, off, s[0:3], 0 offset:36
	buffer_store_dword v106, off, s[0:3], 0 offset:32
	global_load_dwordx2 v[106:107], v[50:51], off
	s_waitcnt vmcnt(42)
	buffer_store_dword v109, off, s[0:3], 0 offset:44
	buffer_store_dword v108, off, s[0:3], 0 offset:40
	global_load_dwordx2 v[108:109], v[54:55], off
	s_waitcnt vmcnt(44)
	;; [unrolled: 4-line block ×6, first 2 shown]
	buffer_store_dword v118, off, s[0:3], 0 offset:80
	buffer_store_dword v119, off, s[0:3], 0 offset:84
	global_load_dwordx2 v[118:119], v[74:75], off
	s_nop 0
	buffer_store_dword v120, off, s[0:3], 0 offset:88
	buffer_store_dword v121, off, s[0:3], 0 offset:92
	global_load_dwordx2 v[120:121], v[80:81], off
	s_waitcnt vmcnt(56)
	buffer_store_dword v122, off, s[0:3], 0 offset:96
	buffer_store_dword v123, off, s[0:3], 0 offset:100
	global_load_dwordx2 v[122:123], v[84:85], off
	s_waitcnt vmcnt(58)
	;; [unrolled: 4-line block ×4, first 2 shown]
	buffer_store_dword v128, off, s[0:3], 0 offset:120
	buffer_store_dword v129, off, s[0:3], 0 offset:124
	s_waitcnt vmcnt(62)
	buffer_store_dword v132, off, s[0:3], 0 offset:128
	buffer_store_dword v133, off, s[0:3], 0 offset:132
	s_waitcnt vmcnt(62)
	;; [unrolled: 3-line block ×3, first 2 shown]
	buffer_store_dword v98, off, s[0:3], 0 offset:144
	buffer_store_dword v99, off, s[0:3], 0 offset:148
	buffer_store_dword v137, off, s[0:3], 0 offset:156
	buffer_store_dword v136, off, s[0:3], 0 offset:152
	s_waitcnt vmcnt(49)
	buffer_store_dword v101, off, s[0:3], 0 offset:164
	buffer_store_dword v100, off, s[0:3], 0 offset:160
	buffer_store_dword v138, off, s[0:3], 0 offset:168
	buffer_store_dword v139, off, s[0:3], 0 offset:172
	s_waitcnt vmcnt(50)
	;; [unrolled: 5-line block ×14, first 2 shown]
	buffer_store_dword v126, off, s[0:3], 0 offset:368
	buffer_store_dword v127, off, s[0:3], 0 offset:372
	;; [unrolled: 1-line block ×4, first 2 shown]
	v_mov_b32_e32 v98, 0
	v_mov_b32_e32 v146, 0
	;; [unrolled: 1-line block ×3, first 2 shown]
	s_cbranch_scc1 .LBB47_3
; %bb.2:
	v_lshl_add_u32 v108, v0, 3, v146
	buffer_load_dword v98, v108, s[0:3], 0 offen
	buffer_load_dword v99, v108, s[0:3], 0 offen offset:4
	s_waitcnt vmcnt(0)
	v_div_scale_f64 v[100:101], s[4:5], v[98:99], v[98:99], 1.0
	v_rcp_f64_e32 v[102:103], v[100:101]
	v_div_scale_f64 v[104:105], vcc, 1.0, v[98:99], 1.0
	v_fma_f64 v[106:107], -v[100:101], v[102:103], 1.0
	v_fmac_f64_e32 v[102:103], v[102:103], v[106:107]
	v_fma_f64 v[106:107], -v[100:101], v[102:103], 1.0
	v_fmac_f64_e32 v[102:103], v[102:103], v[106:107]
	v_mul_f64 v[106:107], v[104:105], v[102:103]
	v_fma_f64 v[100:101], -v[100:101], v[106:107], v[104:105]
	v_div_fmas_f64 v[100:101], v[100:101], v[102:103], v[106:107]
	v_div_fixup_f64 v[98:99], v[100:101], v[98:99], 1.0
	buffer_store_dword v98, v108, s[0:3], 0 offen
	buffer_store_dword v99, v108, s[0:3], 0 offen offset:4
	v_xor_b32_e32 v99, 0x80000000, v99
.LBB47_3:
	s_cmpk_eq_i32 s12, 0x79
	v_add_u32_e32 v100, 0x180, v1
	v_add_u32_e32 v101, 0, v1
	s_mov_b64 s[4:5], -1
	ds_write_b64 v1, v[98:99]
	s_cbranch_scc1 .LBB47_467
; %bb.4:
	buffer_load_dword v98, off, s[0:3], 0 offset:368
	buffer_load_dword v99, off, s[0:3], 0 offset:372
	v_cmp_eq_u32_e64 s[4:5], 47, v0
	s_waitcnt vmcnt(0)
	ds_write_b64 v100, v[98:99]
	s_waitcnt lgkmcnt(0)
	; wave barrier
	s_waitcnt lgkmcnt(0)
	s_and_saveexec_b64 s[6:7], s[4:5]
	s_cbranch_execz .LBB47_10
; %bb.5:
	s_and_b64 vcc, exec, s[8:9]
	s_cbranch_vccz .LBB47_7
; %bb.6:
	buffer_load_dword v98, v101, s[0:3], 0 offen
	buffer_load_dword v99, v101, s[0:3], 0 offen offset:4
	ds_read_b64 v[102:103], v100
	s_waitcnt vmcnt(0) lgkmcnt(0)
	v_mul_f64 v[98:99], v[98:99], v[102:103]
	s_cbranch_execz .LBB47_8
	s_branch .LBB47_9
.LBB47_7:
                                        ; implicit-def: $vgpr98_vgpr99
.LBB47_8:
	ds_read_b64 v[98:99], v100
.LBB47_9:
	v_mov_b32_e32 v102, 0
	ds_read_b64 v[102:103], v102 offset:368
	s_waitcnt lgkmcnt(0)
	v_mul_f64 v[98:99], v[98:99], v[102:103]
	buffer_store_dword v99, off, s[0:3], 0 offset:372
	buffer_store_dword v98, off, s[0:3], 0 offset:368
.LBB47_10:
	s_or_b64 exec, exec, s[6:7]
	buffer_load_dword v98, off, s[0:3], 0 offset:360
	buffer_load_dword v99, off, s[0:3], 0 offset:364
	v_or_b32_e32 v102, 8, v146
	v_add_u32_e32 v103, 16, v146
	v_add_u32_e32 v104, 24, v146
	;; [unrolled: 1-line block ×44, first 2 shown]
	v_cmp_lt_u32_e64 s[6:7], 45, v0
	s_waitcnt vmcnt(0)
	ds_write_b64 v100, v[98:99]
	s_waitcnt lgkmcnt(0)
	; wave barrier
	s_waitcnt lgkmcnt(0)
	s_and_saveexec_b64 s[10:11], s[6:7]
	s_cbranch_execz .LBB47_16
; %bb.11:
	s_andn2_b64 vcc, exec, s[8:9]
	s_cbranch_vccnz .LBB47_13
; %bb.12:
	buffer_load_dword v98, v101, s[0:3], 0 offen
	buffer_load_dword v99, v101, s[0:3], 0 offen offset:4
	ds_read_b64 v[148:149], v100
	s_waitcnt vmcnt(0) lgkmcnt(0)
	v_mul_f64 v[98:99], v[98:99], v[148:149]
	s_cbranch_execz .LBB47_14
	s_branch .LBB47_15
.LBB47_13:
                                        ; implicit-def: $vgpr98_vgpr99
.LBB47_14:
	ds_read_b64 v[98:99], v100
.LBB47_15:
	buffer_load_dword v152, off, s[0:3], 0 offset:368
	buffer_load_dword v153, off, s[0:3], 0 offset:372
	v_mov_b32_e32 v147, 0
	ds_read2_b64 v[148:151], v147 offset0:45 offset1:94
	s_waitcnt vmcnt(0) lgkmcnt(0)
	v_fma_f64 v[150:151], v[152:153], v[150:151], v[98:99]
	v_cndmask_b32_e64 v99, v99, v151, s[4:5]
	v_cndmask_b32_e64 v98, v98, v150, s[4:5]
	v_mul_f64 v[98:99], v[98:99], v[148:149]
	buffer_store_dword v99, off, s[0:3], 0 offset:364
	buffer_store_dword v98, off, s[0:3], 0 offset:360
.LBB47_16:
	s_or_b64 exec, exec, s[10:11]
	buffer_load_dword v98, off, s[0:3], 0 offset:352
	buffer_load_dword v99, off, s[0:3], 0 offset:356
	v_cmp_lt_u32_e64 s[4:5], 44, v0
	s_waitcnt vmcnt(0)
	ds_write_b64 v100, v[98:99]
	s_waitcnt lgkmcnt(0)
	; wave barrier
	s_waitcnt lgkmcnt(0)
	s_and_saveexec_b64 s[10:11], s[4:5]
	s_cbranch_execz .LBB47_26
; %bb.17:
	s_andn2_b64 vcc, exec, s[8:9]
	s_cbranch_vccnz .LBB47_19
; %bb.18:
	buffer_load_dword v98, v101, s[0:3], 0 offen
	buffer_load_dword v99, v101, s[0:3], 0 offen offset:4
	ds_read_b64 v[148:149], v100
	s_waitcnt vmcnt(0) lgkmcnt(0)
	v_mul_f64 v[98:99], v[98:99], v[148:149]
	s_cbranch_execz .LBB47_20
	s_branch .LBB47_21
.LBB47_19:
                                        ; implicit-def: $vgpr98_vgpr99
.LBB47_20:
	ds_read_b64 v[98:99], v100
.LBB47_21:
	s_and_saveexec_b64 s[12:13], s[6:7]
	s_cbranch_execz .LBB47_25
; %bb.22:
	v_subrev_u32_e32 v147, 45, v0
	s_movk_i32 s14, 0x2e8
	s_mov_b64 s[6:7], 0
.LBB47_23:                              ; =>This Inner Loop Header: Depth=1
	buffer_load_dword v148, v146, s[0:3], 0 offen
	buffer_load_dword v149, v146, s[0:3], 0 offen offset:4
	v_mov_b32_e32 v150, s14
	ds_read_b64 v[150:151], v150
	v_add_u32_e32 v147, -1, v147
	s_add_i32 s14, s14, 8
	v_cmp_eq_u32_e32 vcc, 0, v147
	v_add_u32_e32 v146, 8, v146
	s_or_b64 s[6:7], vcc, s[6:7]
	s_waitcnt vmcnt(0) lgkmcnt(0)
	v_fmac_f64_e32 v[98:99], v[148:149], v[150:151]
	s_andn2_b64 exec, exec, s[6:7]
	s_cbranch_execnz .LBB47_23
; %bb.24:
	s_or_b64 exec, exec, s[6:7]
.LBB47_25:
	s_or_b64 exec, exec, s[12:13]
	v_mov_b32_e32 v146, 0
	ds_read_b64 v[146:147], v146 offset:352
	s_waitcnt lgkmcnt(0)
	v_mul_f64 v[98:99], v[98:99], v[146:147]
	buffer_store_dword v99, off, s[0:3], 0 offset:356
	buffer_store_dword v98, off, s[0:3], 0 offset:352
.LBB47_26:
	s_or_b64 exec, exec, s[10:11]
	buffer_load_dword v98, off, s[0:3], 0 offset:344
	buffer_load_dword v99, off, s[0:3], 0 offset:348
	v_cmp_lt_u32_e64 s[6:7], 43, v0
	s_waitcnt vmcnt(0)
	ds_write_b64 v100, v[98:99]
	s_waitcnt lgkmcnt(0)
	; wave barrier
	s_waitcnt lgkmcnt(0)
	s_and_saveexec_b64 s[10:11], s[6:7]
	s_cbranch_execz .LBB47_36
; %bb.27:
	s_andn2_b64 vcc, exec, s[8:9]
	s_cbranch_vccnz .LBB47_29
; %bb.28:
	buffer_load_dword v98, v101, s[0:3], 0 offen
	buffer_load_dword v99, v101, s[0:3], 0 offen offset:4
	ds_read_b64 v[146:147], v100
	s_waitcnt vmcnt(0) lgkmcnt(0)
	v_mul_f64 v[98:99], v[98:99], v[146:147]
	s_cbranch_execz .LBB47_30
	s_branch .LBB47_31
.LBB47_29:
                                        ; implicit-def: $vgpr98_vgpr99
.LBB47_30:
	ds_read_b64 v[98:99], v100
.LBB47_31:
	s_and_saveexec_b64 s[12:13], s[4:5]
	s_cbranch_execz .LBB47_35
; %bb.32:
	v_subrev_u32_e32 v146, 44, v0
	s_movk_i32 s14, 0x2e0
	s_mov_b64 s[4:5], 0
.LBB47_33:                              ; =>This Inner Loop Header: Depth=1
	buffer_load_dword v148, v145, s[0:3], 0 offen
	buffer_load_dword v149, v145, s[0:3], 0 offen offset:4
	v_mov_b32_e32 v147, s14
	ds_read_b64 v[150:151], v147
	v_add_u32_e32 v146, -1, v146
	s_add_i32 s14, s14, 8
	v_cmp_eq_u32_e32 vcc, 0, v146
	v_add_u32_e32 v145, 8, v145
	s_or_b64 s[4:5], vcc, s[4:5]
	s_waitcnt vmcnt(0) lgkmcnt(0)
	v_fmac_f64_e32 v[98:99], v[148:149], v[150:151]
	s_andn2_b64 exec, exec, s[4:5]
	s_cbranch_execnz .LBB47_33
; %bb.34:
	s_or_b64 exec, exec, s[4:5]
.LBB47_35:
	s_or_b64 exec, exec, s[12:13]
	v_mov_b32_e32 v145, 0
	ds_read_b64 v[146:147], v145 offset:344
	s_waitcnt lgkmcnt(0)
	v_mul_f64 v[98:99], v[98:99], v[146:147]
	buffer_store_dword v99, off, s[0:3], 0 offset:348
	buffer_store_dword v98, off, s[0:3], 0 offset:344
.LBB47_36:
	s_or_b64 exec, exec, s[10:11]
	buffer_load_dword v98, off, s[0:3], 0 offset:336
	buffer_load_dword v99, off, s[0:3], 0 offset:340
	v_cmp_lt_u32_e64 s[4:5], 42, v0
	s_waitcnt vmcnt(0)
	ds_write_b64 v100, v[98:99]
	s_waitcnt lgkmcnt(0)
	; wave barrier
	s_waitcnt lgkmcnt(0)
	s_and_saveexec_b64 s[10:11], s[4:5]
	s_cbranch_execz .LBB47_46
; %bb.37:
	s_andn2_b64 vcc, exec, s[8:9]
	s_cbranch_vccnz .LBB47_39
; %bb.38:
	buffer_load_dword v98, v101, s[0:3], 0 offen
	buffer_load_dword v99, v101, s[0:3], 0 offen offset:4
	ds_read_b64 v[146:147], v100
	s_waitcnt vmcnt(0) lgkmcnt(0)
	v_mul_f64 v[98:99], v[98:99], v[146:147]
	s_cbranch_execz .LBB47_40
	s_branch .LBB47_41
.LBB47_39:
                                        ; implicit-def: $vgpr98_vgpr99
.LBB47_40:
	ds_read_b64 v[98:99], v100
.LBB47_41:
	s_and_saveexec_b64 s[12:13], s[6:7]
	s_cbranch_execz .LBB47_45
; %bb.42:
	v_subrev_u32_e32 v145, 43, v0
	s_movk_i32 s14, 0x2d8
	s_mov_b64 s[6:7], 0
.LBB47_43:                              ; =>This Inner Loop Header: Depth=1
	buffer_load_dword v146, v144, s[0:3], 0 offen
	buffer_load_dword v147, v144, s[0:3], 0 offen offset:4
	v_mov_b32_e32 v148, s14
	ds_read_b64 v[148:149], v148
	v_add_u32_e32 v145, -1, v145
	s_add_i32 s14, s14, 8
	v_cmp_eq_u32_e32 vcc, 0, v145
	v_add_u32_e32 v144, 8, v144
	s_or_b64 s[6:7], vcc, s[6:7]
	s_waitcnt vmcnt(0) lgkmcnt(0)
	v_fmac_f64_e32 v[98:99], v[146:147], v[148:149]
	s_andn2_b64 exec, exec, s[6:7]
	s_cbranch_execnz .LBB47_43
; %bb.44:
	s_or_b64 exec, exec, s[6:7]
.LBB47_45:
	s_or_b64 exec, exec, s[12:13]
	v_mov_b32_e32 v144, 0
	ds_read_b64 v[144:145], v144 offset:336
	s_waitcnt lgkmcnt(0)
	v_mul_f64 v[98:99], v[98:99], v[144:145]
	buffer_store_dword v99, off, s[0:3], 0 offset:340
	buffer_store_dword v98, off, s[0:3], 0 offset:336
.LBB47_46:
	s_or_b64 exec, exec, s[10:11]
	buffer_load_dword v98, off, s[0:3], 0 offset:328
	buffer_load_dword v99, off, s[0:3], 0 offset:332
	v_cmp_lt_u32_e64 s[6:7], 41, v0
	s_waitcnt vmcnt(0)
	ds_write_b64 v100, v[98:99]
	s_waitcnt lgkmcnt(0)
	; wave barrier
	s_waitcnt lgkmcnt(0)
	s_and_saveexec_b64 s[10:11], s[6:7]
	s_cbranch_execz .LBB47_56
; %bb.47:
	s_andn2_b64 vcc, exec, s[8:9]
	s_cbranch_vccnz .LBB47_49
; %bb.48:
	buffer_load_dword v98, v101, s[0:3], 0 offen
	buffer_load_dword v99, v101, s[0:3], 0 offen offset:4
	ds_read_b64 v[144:145], v100
	s_waitcnt vmcnt(0) lgkmcnt(0)
	v_mul_f64 v[98:99], v[98:99], v[144:145]
	s_cbranch_execz .LBB47_50
	s_branch .LBB47_51
.LBB47_49:
                                        ; implicit-def: $vgpr98_vgpr99
.LBB47_50:
	ds_read_b64 v[98:99], v100
.LBB47_51:
	s_and_saveexec_b64 s[12:13], s[4:5]
	s_cbranch_execz .LBB47_55
; %bb.52:
	v_subrev_u32_e32 v144, 42, v0
	s_movk_i32 s14, 0x2d0
	s_mov_b64 s[4:5], 0
.LBB47_53:                              ; =>This Inner Loop Header: Depth=1
	buffer_load_dword v146, v143, s[0:3], 0 offen
	buffer_load_dword v147, v143, s[0:3], 0 offen offset:4
	v_mov_b32_e32 v145, s14
	ds_read_b64 v[148:149], v145
	v_add_u32_e32 v144, -1, v144
	s_add_i32 s14, s14, 8
	v_cmp_eq_u32_e32 vcc, 0, v144
	v_add_u32_e32 v143, 8, v143
	s_or_b64 s[4:5], vcc, s[4:5]
	s_waitcnt vmcnt(0) lgkmcnt(0)
	v_fmac_f64_e32 v[98:99], v[146:147], v[148:149]
	s_andn2_b64 exec, exec, s[4:5]
	s_cbranch_execnz .LBB47_53
; %bb.54:
	s_or_b64 exec, exec, s[4:5]
.LBB47_55:
	s_or_b64 exec, exec, s[12:13]
	v_mov_b32_e32 v143, 0
	ds_read_b64 v[144:145], v143 offset:328
	s_waitcnt lgkmcnt(0)
	v_mul_f64 v[98:99], v[98:99], v[144:145]
	buffer_store_dword v99, off, s[0:3], 0 offset:332
	buffer_store_dword v98, off, s[0:3], 0 offset:328
.LBB47_56:
	s_or_b64 exec, exec, s[10:11]
	buffer_load_dword v98, off, s[0:3], 0 offset:320
	buffer_load_dword v99, off, s[0:3], 0 offset:324
	v_cmp_lt_u32_e64 s[4:5], 40, v0
	s_waitcnt vmcnt(0)
	ds_write_b64 v100, v[98:99]
	s_waitcnt lgkmcnt(0)
	; wave barrier
	s_waitcnt lgkmcnt(0)
	s_and_saveexec_b64 s[10:11], s[4:5]
	s_cbranch_execz .LBB47_66
; %bb.57:
	s_andn2_b64 vcc, exec, s[8:9]
	s_cbranch_vccnz .LBB47_59
; %bb.58:
	buffer_load_dword v98, v101, s[0:3], 0 offen
	buffer_load_dword v99, v101, s[0:3], 0 offen offset:4
	ds_read_b64 v[144:145], v100
	s_waitcnt vmcnt(0) lgkmcnt(0)
	v_mul_f64 v[98:99], v[98:99], v[144:145]
	s_cbranch_execz .LBB47_60
	s_branch .LBB47_61
.LBB47_59:
                                        ; implicit-def: $vgpr98_vgpr99
.LBB47_60:
	ds_read_b64 v[98:99], v100
.LBB47_61:
	s_and_saveexec_b64 s[12:13], s[6:7]
	s_cbranch_execz .LBB47_65
; %bb.62:
	v_subrev_u32_e32 v143, 41, v0
	s_movk_i32 s14, 0x2c8
	s_mov_b64 s[6:7], 0
.LBB47_63:                              ; =>This Inner Loop Header: Depth=1
	buffer_load_dword v144, v142, s[0:3], 0 offen
	buffer_load_dword v145, v142, s[0:3], 0 offen offset:4
	v_mov_b32_e32 v146, s14
	ds_read_b64 v[146:147], v146
	v_add_u32_e32 v143, -1, v143
	s_add_i32 s14, s14, 8
	v_cmp_eq_u32_e32 vcc, 0, v143
	v_add_u32_e32 v142, 8, v142
	s_or_b64 s[6:7], vcc, s[6:7]
	s_waitcnt vmcnt(0) lgkmcnt(0)
	v_fmac_f64_e32 v[98:99], v[144:145], v[146:147]
	s_andn2_b64 exec, exec, s[6:7]
	s_cbranch_execnz .LBB47_63
; %bb.64:
	s_or_b64 exec, exec, s[6:7]
.LBB47_65:
	s_or_b64 exec, exec, s[12:13]
	v_mov_b32_e32 v142, 0
	ds_read_b64 v[142:143], v142 offset:320
	s_waitcnt lgkmcnt(0)
	v_mul_f64 v[98:99], v[98:99], v[142:143]
	buffer_store_dword v99, off, s[0:3], 0 offset:324
	buffer_store_dword v98, off, s[0:3], 0 offset:320
.LBB47_66:
	s_or_b64 exec, exec, s[10:11]
	buffer_load_dword v98, off, s[0:3], 0 offset:312
	buffer_load_dword v99, off, s[0:3], 0 offset:316
	v_cmp_lt_u32_e64 s[6:7], 39, v0
	s_waitcnt vmcnt(0)
	ds_write_b64 v100, v[98:99]
	s_waitcnt lgkmcnt(0)
	; wave barrier
	s_waitcnt lgkmcnt(0)
	s_and_saveexec_b64 s[10:11], s[6:7]
	s_cbranch_execz .LBB47_76
; %bb.67:
	s_andn2_b64 vcc, exec, s[8:9]
	s_cbranch_vccnz .LBB47_69
; %bb.68:
	buffer_load_dword v98, v101, s[0:3], 0 offen
	buffer_load_dword v99, v101, s[0:3], 0 offen offset:4
	ds_read_b64 v[142:143], v100
	s_waitcnt vmcnt(0) lgkmcnt(0)
	v_mul_f64 v[98:99], v[98:99], v[142:143]
	s_cbranch_execz .LBB47_70
	s_branch .LBB47_71
.LBB47_69:
                                        ; implicit-def: $vgpr98_vgpr99
.LBB47_70:
	ds_read_b64 v[98:99], v100
.LBB47_71:
	s_and_saveexec_b64 s[12:13], s[4:5]
	s_cbranch_execz .LBB47_75
; %bb.72:
	v_subrev_u32_e32 v142, 40, v0
	s_movk_i32 s14, 0x2c0
	s_mov_b64 s[4:5], 0
.LBB47_73:                              ; =>This Inner Loop Header: Depth=1
	buffer_load_dword v144, v141, s[0:3], 0 offen
	buffer_load_dword v145, v141, s[0:3], 0 offen offset:4
	v_mov_b32_e32 v143, s14
	ds_read_b64 v[146:147], v143
	v_add_u32_e32 v142, -1, v142
	s_add_i32 s14, s14, 8
	v_cmp_eq_u32_e32 vcc, 0, v142
	v_add_u32_e32 v141, 8, v141
	s_or_b64 s[4:5], vcc, s[4:5]
	s_waitcnt vmcnt(0) lgkmcnt(0)
	v_fmac_f64_e32 v[98:99], v[144:145], v[146:147]
	s_andn2_b64 exec, exec, s[4:5]
	s_cbranch_execnz .LBB47_73
; %bb.74:
	s_or_b64 exec, exec, s[4:5]
.LBB47_75:
	s_or_b64 exec, exec, s[12:13]
	v_mov_b32_e32 v141, 0
	ds_read_b64 v[142:143], v141 offset:312
	s_waitcnt lgkmcnt(0)
	v_mul_f64 v[98:99], v[98:99], v[142:143]
	buffer_store_dword v99, off, s[0:3], 0 offset:316
	buffer_store_dword v98, off, s[0:3], 0 offset:312
.LBB47_76:
	s_or_b64 exec, exec, s[10:11]
	buffer_load_dword v98, off, s[0:3], 0 offset:304
	buffer_load_dword v99, off, s[0:3], 0 offset:308
	v_cmp_lt_u32_e64 s[4:5], 38, v0
	s_waitcnt vmcnt(0)
	ds_write_b64 v100, v[98:99]
	s_waitcnt lgkmcnt(0)
	; wave barrier
	s_waitcnt lgkmcnt(0)
	s_and_saveexec_b64 s[10:11], s[4:5]
	s_cbranch_execz .LBB47_86
; %bb.77:
	s_andn2_b64 vcc, exec, s[8:9]
	s_cbranch_vccnz .LBB47_79
; %bb.78:
	buffer_load_dword v98, v101, s[0:3], 0 offen
	buffer_load_dword v99, v101, s[0:3], 0 offen offset:4
	ds_read_b64 v[142:143], v100
	s_waitcnt vmcnt(0) lgkmcnt(0)
	v_mul_f64 v[98:99], v[98:99], v[142:143]
	s_cbranch_execz .LBB47_80
	s_branch .LBB47_81
.LBB47_79:
                                        ; implicit-def: $vgpr98_vgpr99
.LBB47_80:
	ds_read_b64 v[98:99], v100
.LBB47_81:
	s_and_saveexec_b64 s[12:13], s[6:7]
	s_cbranch_execz .LBB47_85
; %bb.82:
	v_subrev_u32_e32 v141, 39, v0
	s_movk_i32 s14, 0x2b8
	s_mov_b64 s[6:7], 0
.LBB47_83:                              ; =>This Inner Loop Header: Depth=1
	buffer_load_dword v142, v140, s[0:3], 0 offen
	buffer_load_dword v143, v140, s[0:3], 0 offen offset:4
	v_mov_b32_e32 v144, s14
	ds_read_b64 v[144:145], v144
	v_add_u32_e32 v141, -1, v141
	s_add_i32 s14, s14, 8
	v_cmp_eq_u32_e32 vcc, 0, v141
	v_add_u32_e32 v140, 8, v140
	s_or_b64 s[6:7], vcc, s[6:7]
	s_waitcnt vmcnt(0) lgkmcnt(0)
	v_fmac_f64_e32 v[98:99], v[142:143], v[144:145]
	s_andn2_b64 exec, exec, s[6:7]
	s_cbranch_execnz .LBB47_83
; %bb.84:
	s_or_b64 exec, exec, s[6:7]
.LBB47_85:
	s_or_b64 exec, exec, s[12:13]
	v_mov_b32_e32 v140, 0
	ds_read_b64 v[140:141], v140 offset:304
	s_waitcnt lgkmcnt(0)
	v_mul_f64 v[98:99], v[98:99], v[140:141]
	buffer_store_dword v99, off, s[0:3], 0 offset:308
	buffer_store_dword v98, off, s[0:3], 0 offset:304
.LBB47_86:
	s_or_b64 exec, exec, s[10:11]
	buffer_load_dword v98, off, s[0:3], 0 offset:296
	buffer_load_dword v99, off, s[0:3], 0 offset:300
	v_cmp_lt_u32_e64 s[6:7], 37, v0
	s_waitcnt vmcnt(0)
	ds_write_b64 v100, v[98:99]
	s_waitcnt lgkmcnt(0)
	; wave barrier
	s_waitcnt lgkmcnt(0)
	s_and_saveexec_b64 s[10:11], s[6:7]
	s_cbranch_execz .LBB47_96
; %bb.87:
	s_andn2_b64 vcc, exec, s[8:9]
	s_cbranch_vccnz .LBB47_89
; %bb.88:
	buffer_load_dword v98, v101, s[0:3], 0 offen
	buffer_load_dword v99, v101, s[0:3], 0 offen offset:4
	ds_read_b64 v[140:141], v100
	s_waitcnt vmcnt(0) lgkmcnt(0)
	v_mul_f64 v[98:99], v[98:99], v[140:141]
	s_cbranch_execz .LBB47_90
	s_branch .LBB47_91
.LBB47_89:
                                        ; implicit-def: $vgpr98_vgpr99
.LBB47_90:
	ds_read_b64 v[98:99], v100
.LBB47_91:
	s_and_saveexec_b64 s[12:13], s[4:5]
	s_cbranch_execz .LBB47_95
; %bb.92:
	v_subrev_u32_e32 v140, 38, v0
	s_movk_i32 s14, 0x2b0
	s_mov_b64 s[4:5], 0
.LBB47_93:                              ; =>This Inner Loop Header: Depth=1
	buffer_load_dword v142, v139, s[0:3], 0 offen
	buffer_load_dword v143, v139, s[0:3], 0 offen offset:4
	v_mov_b32_e32 v141, s14
	ds_read_b64 v[144:145], v141
	v_add_u32_e32 v140, -1, v140
	s_add_i32 s14, s14, 8
	v_cmp_eq_u32_e32 vcc, 0, v140
	v_add_u32_e32 v139, 8, v139
	s_or_b64 s[4:5], vcc, s[4:5]
	s_waitcnt vmcnt(0) lgkmcnt(0)
	v_fmac_f64_e32 v[98:99], v[142:143], v[144:145]
	s_andn2_b64 exec, exec, s[4:5]
	s_cbranch_execnz .LBB47_93
; %bb.94:
	s_or_b64 exec, exec, s[4:5]
.LBB47_95:
	s_or_b64 exec, exec, s[12:13]
	v_mov_b32_e32 v139, 0
	ds_read_b64 v[140:141], v139 offset:296
	s_waitcnt lgkmcnt(0)
	v_mul_f64 v[98:99], v[98:99], v[140:141]
	buffer_store_dword v99, off, s[0:3], 0 offset:300
	buffer_store_dword v98, off, s[0:3], 0 offset:296
.LBB47_96:
	s_or_b64 exec, exec, s[10:11]
	buffer_load_dword v98, off, s[0:3], 0 offset:288
	buffer_load_dword v99, off, s[0:3], 0 offset:292
	v_cmp_lt_u32_e64 s[4:5], 36, v0
	s_waitcnt vmcnt(0)
	ds_write_b64 v100, v[98:99]
	s_waitcnt lgkmcnt(0)
	; wave barrier
	s_waitcnt lgkmcnt(0)
	s_and_saveexec_b64 s[10:11], s[4:5]
	s_cbranch_execz .LBB47_106
; %bb.97:
	s_andn2_b64 vcc, exec, s[8:9]
	s_cbranch_vccnz .LBB47_99
; %bb.98:
	buffer_load_dword v98, v101, s[0:3], 0 offen
	buffer_load_dword v99, v101, s[0:3], 0 offen offset:4
	ds_read_b64 v[140:141], v100
	s_waitcnt vmcnt(0) lgkmcnt(0)
	v_mul_f64 v[98:99], v[98:99], v[140:141]
	s_cbranch_execz .LBB47_100
	s_branch .LBB47_101
.LBB47_99:
                                        ; implicit-def: $vgpr98_vgpr99
.LBB47_100:
	ds_read_b64 v[98:99], v100
.LBB47_101:
	s_and_saveexec_b64 s[12:13], s[6:7]
	s_cbranch_execz .LBB47_105
; %bb.102:
	v_subrev_u32_e32 v139, 37, v0
	s_movk_i32 s14, 0x2a8
	s_mov_b64 s[6:7], 0
.LBB47_103:                             ; =>This Inner Loop Header: Depth=1
	buffer_load_dword v140, v138, s[0:3], 0 offen
	buffer_load_dword v141, v138, s[0:3], 0 offen offset:4
	v_mov_b32_e32 v142, s14
	ds_read_b64 v[142:143], v142
	v_add_u32_e32 v139, -1, v139
	s_add_i32 s14, s14, 8
	v_cmp_eq_u32_e32 vcc, 0, v139
	v_add_u32_e32 v138, 8, v138
	s_or_b64 s[6:7], vcc, s[6:7]
	s_waitcnt vmcnt(0) lgkmcnt(0)
	v_fmac_f64_e32 v[98:99], v[140:141], v[142:143]
	s_andn2_b64 exec, exec, s[6:7]
	s_cbranch_execnz .LBB47_103
; %bb.104:
	s_or_b64 exec, exec, s[6:7]
.LBB47_105:
	s_or_b64 exec, exec, s[12:13]
	v_mov_b32_e32 v138, 0
	ds_read_b64 v[138:139], v138 offset:288
	s_waitcnt lgkmcnt(0)
	v_mul_f64 v[98:99], v[98:99], v[138:139]
	buffer_store_dword v99, off, s[0:3], 0 offset:292
	buffer_store_dword v98, off, s[0:3], 0 offset:288
.LBB47_106:
	s_or_b64 exec, exec, s[10:11]
	buffer_load_dword v98, off, s[0:3], 0 offset:280
	buffer_load_dword v99, off, s[0:3], 0 offset:284
	v_cmp_lt_u32_e64 s[6:7], 35, v0
	s_waitcnt vmcnt(0)
	ds_write_b64 v100, v[98:99]
	s_waitcnt lgkmcnt(0)
	; wave barrier
	s_waitcnt lgkmcnt(0)
	s_and_saveexec_b64 s[10:11], s[6:7]
	s_cbranch_execz .LBB47_116
; %bb.107:
	s_andn2_b64 vcc, exec, s[8:9]
	s_cbranch_vccnz .LBB47_109
; %bb.108:
	buffer_load_dword v98, v101, s[0:3], 0 offen
	buffer_load_dword v99, v101, s[0:3], 0 offen offset:4
	ds_read_b64 v[138:139], v100
	s_waitcnt vmcnt(0) lgkmcnt(0)
	v_mul_f64 v[98:99], v[98:99], v[138:139]
	s_cbranch_execz .LBB47_110
	s_branch .LBB47_111
.LBB47_109:
                                        ; implicit-def: $vgpr98_vgpr99
.LBB47_110:
	ds_read_b64 v[98:99], v100
.LBB47_111:
	s_and_saveexec_b64 s[12:13], s[4:5]
	s_cbranch_execz .LBB47_115
; %bb.112:
	v_subrev_u32_e32 v138, 36, v0
	s_movk_i32 s14, 0x2a0
	s_mov_b64 s[4:5], 0
.LBB47_113:                             ; =>This Inner Loop Header: Depth=1
	buffer_load_dword v140, v137, s[0:3], 0 offen
	buffer_load_dword v141, v137, s[0:3], 0 offen offset:4
	v_mov_b32_e32 v139, s14
	ds_read_b64 v[142:143], v139
	v_add_u32_e32 v138, -1, v138
	s_add_i32 s14, s14, 8
	v_cmp_eq_u32_e32 vcc, 0, v138
	v_add_u32_e32 v137, 8, v137
	s_or_b64 s[4:5], vcc, s[4:5]
	s_waitcnt vmcnt(0) lgkmcnt(0)
	v_fmac_f64_e32 v[98:99], v[140:141], v[142:143]
	s_andn2_b64 exec, exec, s[4:5]
	s_cbranch_execnz .LBB47_113
; %bb.114:
	s_or_b64 exec, exec, s[4:5]
.LBB47_115:
	s_or_b64 exec, exec, s[12:13]
	v_mov_b32_e32 v137, 0
	ds_read_b64 v[138:139], v137 offset:280
	s_waitcnt lgkmcnt(0)
	v_mul_f64 v[98:99], v[98:99], v[138:139]
	buffer_store_dword v99, off, s[0:3], 0 offset:284
	buffer_store_dword v98, off, s[0:3], 0 offset:280
.LBB47_116:
	;; [unrolled: 58-line block ×21, first 2 shown]
	s_or_b64 exec, exec, s[10:11]
	buffer_load_dword v98, off, s[0:3], 0 offset:120
	buffer_load_dword v99, off, s[0:3], 0 offset:124
	v_cmp_lt_u32_e64 s[6:7], 15, v0
	s_waitcnt vmcnt(0)
	ds_write_b64 v100, v[98:99]
	s_waitcnt lgkmcnt(0)
	; wave barrier
	s_waitcnt lgkmcnt(0)
	s_and_saveexec_b64 s[10:11], s[6:7]
	s_cbranch_execz .LBB47_316
; %bb.307:
	s_andn2_b64 vcc, exec, s[8:9]
	s_cbranch_vccnz .LBB47_309
; %bb.308:
	buffer_load_dword v98, v101, s[0:3], 0 offen
	buffer_load_dword v99, v101, s[0:3], 0 offen offset:4
	ds_read_b64 v[118:119], v100
	s_waitcnt vmcnt(0) lgkmcnt(0)
	v_mul_f64 v[98:99], v[98:99], v[118:119]
	s_cbranch_execz .LBB47_310
	s_branch .LBB47_311
.LBB47_309:
                                        ; implicit-def: $vgpr98_vgpr99
.LBB47_310:
	ds_read_b64 v[98:99], v100
.LBB47_311:
	s_and_saveexec_b64 s[12:13], s[4:5]
	s_cbranch_execz .LBB47_315
; %bb.312:
	v_add_u32_e32 v118, -16, v0
	s_movk_i32 s14, 0x200
	s_mov_b64 s[4:5], 0
.LBB47_313:                             ; =>This Inner Loop Header: Depth=1
	buffer_load_dword v120, v117, s[0:3], 0 offen
	buffer_load_dword v121, v117, s[0:3], 0 offen offset:4
	v_mov_b32_e32 v119, s14
	ds_read_b64 v[122:123], v119
	v_add_u32_e32 v118, -1, v118
	s_add_i32 s14, s14, 8
	v_cmp_eq_u32_e32 vcc, 0, v118
	v_add_u32_e32 v117, 8, v117
	s_or_b64 s[4:5], vcc, s[4:5]
	s_waitcnt vmcnt(0) lgkmcnt(0)
	v_fmac_f64_e32 v[98:99], v[120:121], v[122:123]
	s_andn2_b64 exec, exec, s[4:5]
	s_cbranch_execnz .LBB47_313
; %bb.314:
	s_or_b64 exec, exec, s[4:5]
.LBB47_315:
	s_or_b64 exec, exec, s[12:13]
	v_mov_b32_e32 v117, 0
	ds_read_b64 v[118:119], v117 offset:120
	s_waitcnt lgkmcnt(0)
	v_mul_f64 v[98:99], v[98:99], v[118:119]
	buffer_store_dword v99, off, s[0:3], 0 offset:124
	buffer_store_dword v98, off, s[0:3], 0 offset:120
.LBB47_316:
	s_or_b64 exec, exec, s[10:11]
	buffer_load_dword v98, off, s[0:3], 0 offset:112
	buffer_load_dword v99, off, s[0:3], 0 offset:116
	v_cmp_lt_u32_e64 s[4:5], 14, v0
	s_waitcnt vmcnt(0)
	ds_write_b64 v100, v[98:99]
	s_waitcnt lgkmcnt(0)
	; wave barrier
	s_waitcnt lgkmcnt(0)
	s_and_saveexec_b64 s[10:11], s[4:5]
	s_cbranch_execz .LBB47_326
; %bb.317:
	s_andn2_b64 vcc, exec, s[8:9]
	s_cbranch_vccnz .LBB47_319
; %bb.318:
	buffer_load_dword v98, v101, s[0:3], 0 offen
	buffer_load_dword v99, v101, s[0:3], 0 offen offset:4
	ds_read_b64 v[118:119], v100
	s_waitcnt vmcnt(0) lgkmcnt(0)
	v_mul_f64 v[98:99], v[98:99], v[118:119]
	s_cbranch_execz .LBB47_320
	s_branch .LBB47_321
.LBB47_319:
                                        ; implicit-def: $vgpr98_vgpr99
.LBB47_320:
	ds_read_b64 v[98:99], v100
.LBB47_321:
	s_and_saveexec_b64 s[12:13], s[6:7]
	s_cbranch_execz .LBB47_325
; %bb.322:
	v_add_u32_e32 v117, -15, v0
	s_movk_i32 s14, 0x1f8
	s_mov_b64 s[6:7], 0
.LBB47_323:                             ; =>This Inner Loop Header: Depth=1
	buffer_load_dword v118, v116, s[0:3], 0 offen
	buffer_load_dword v119, v116, s[0:3], 0 offen offset:4
	v_mov_b32_e32 v120, s14
	ds_read_b64 v[120:121], v120
	v_add_u32_e32 v117, -1, v117
	s_add_i32 s14, s14, 8
	v_cmp_eq_u32_e32 vcc, 0, v117
	v_add_u32_e32 v116, 8, v116
	s_or_b64 s[6:7], vcc, s[6:7]
	s_waitcnt vmcnt(0) lgkmcnt(0)
	v_fmac_f64_e32 v[98:99], v[118:119], v[120:121]
	s_andn2_b64 exec, exec, s[6:7]
	s_cbranch_execnz .LBB47_323
; %bb.324:
	s_or_b64 exec, exec, s[6:7]
.LBB47_325:
	s_or_b64 exec, exec, s[12:13]
	v_mov_b32_e32 v116, 0
	ds_read_b64 v[116:117], v116 offset:112
	s_waitcnt lgkmcnt(0)
	v_mul_f64 v[98:99], v[98:99], v[116:117]
	buffer_store_dword v99, off, s[0:3], 0 offset:116
	buffer_store_dword v98, off, s[0:3], 0 offset:112
.LBB47_326:
	;; [unrolled: 58-line block ×15, first 2 shown]
	s_or_b64 exec, exec, s[10:11]
	buffer_load_dword v98, off, s[0:3], 0
	buffer_load_dword v99, off, s[0:3], 0 offset:4
	v_cmp_ne_u32_e32 vcc, 0, v0
	s_waitcnt vmcnt(0)
	ds_write_b64 v100, v[98:99]
	s_waitcnt lgkmcnt(0)
	; wave barrier
	s_waitcnt lgkmcnt(0)
	s_and_saveexec_b64 s[4:5], vcc
	s_cbranch_execz .LBB47_466
; %bb.457:
	s_andn2_b64 vcc, exec, s[8:9]
	s_cbranch_vccnz .LBB47_459
; %bb.458:
	buffer_load_dword v98, v101, s[0:3], 0 offen
	buffer_load_dword v99, v101, s[0:3], 0 offen offset:4
	ds_read_b64 v[104:105], v100
	s_waitcnt vmcnt(0) lgkmcnt(0)
	v_mul_f64 v[98:99], v[98:99], v[104:105]
	s_cbranch_execz .LBB47_460
	s_branch .LBB47_461
.LBB47_459:
                                        ; implicit-def: $vgpr98_vgpr99
.LBB47_460:
	ds_read_b64 v[98:99], v100
.LBB47_461:
	s_and_saveexec_b64 s[10:11], s[6:7]
	s_cbranch_execz .LBB47_465
; %bb.462:
	v_add_u32_e32 v103, -1, v0
	s_movk_i32 s12, 0x188
	s_mov_b64 s[6:7], 0
.LBB47_463:                             ; =>This Inner Loop Header: Depth=1
	buffer_load_dword v104, v102, s[0:3], 0 offen
	buffer_load_dword v105, v102, s[0:3], 0 offen offset:4
	v_mov_b32_e32 v106, s12
	ds_read_b64 v[106:107], v106
	v_add_u32_e32 v103, -1, v103
	s_add_i32 s12, s12, 8
	v_cmp_eq_u32_e32 vcc, 0, v103
	v_add_u32_e32 v102, 8, v102
	s_or_b64 s[6:7], vcc, s[6:7]
	s_waitcnt vmcnt(0) lgkmcnt(0)
	v_fmac_f64_e32 v[98:99], v[104:105], v[106:107]
	s_andn2_b64 exec, exec, s[6:7]
	s_cbranch_execnz .LBB47_463
; %bb.464:
	s_or_b64 exec, exec, s[6:7]
.LBB47_465:
	s_or_b64 exec, exec, s[10:11]
	v_mov_b32_e32 v102, 0
	ds_read_b64 v[102:103], v102
	s_waitcnt lgkmcnt(0)
	v_mul_f64 v[98:99], v[98:99], v[102:103]
	buffer_store_dword v99, off, s[0:3], 0 offset:4
	buffer_store_dword v98, off, s[0:3], 0
.LBB47_466:
	s_or_b64 exec, exec, s[4:5]
	s_mov_b64 s[4:5], 0
.LBB47_467:
	s_and_b64 vcc, exec, s[4:5]
	s_cbranch_vccz .LBB47_931
; %bb.468:
	buffer_load_dword v98, off, s[0:3], 0 offset:8
	buffer_load_dword v99, off, s[0:3], 0 offset:12
	v_cmp_eq_u32_e64 s[6:7], 0, v0
	s_waitcnt vmcnt(0)
	ds_write_b64 v100, v[98:99]
	s_waitcnt lgkmcnt(0)
	; wave barrier
	s_waitcnt lgkmcnt(0)
	s_and_saveexec_b64 s[4:5], s[6:7]
	s_cbranch_execz .LBB47_474
; %bb.469:
	s_and_b64 vcc, exec, s[8:9]
	s_cbranch_vccz .LBB47_471
; %bb.470:
	buffer_load_dword v98, v101, s[0:3], 0 offen
	buffer_load_dword v99, v101, s[0:3], 0 offen offset:4
	ds_read_b64 v[102:103], v100
	s_waitcnt vmcnt(0) lgkmcnt(0)
	v_mul_f64 v[98:99], v[98:99], v[102:103]
	s_cbranch_execz .LBB47_472
	s_branch .LBB47_473
.LBB47_471:
                                        ; implicit-def: $vgpr98_vgpr99
.LBB47_472:
	ds_read_b64 v[98:99], v100
.LBB47_473:
	v_mov_b32_e32 v102, 0
	ds_read_b64 v[102:103], v102 offset:8
	s_waitcnt lgkmcnt(0)
	v_mul_f64 v[98:99], v[98:99], v[102:103]
	buffer_store_dword v99, off, s[0:3], 0 offset:12
	buffer_store_dword v98, off, s[0:3], 0 offset:8
.LBB47_474:
	s_or_b64 exec, exec, s[4:5]
	buffer_load_dword v98, off, s[0:3], 0 offset:16
	buffer_load_dword v99, off, s[0:3], 0 offset:20
	v_cndmask_b32_e64 v102, 0, 1, s[8:9]
	v_cmp_gt_u32_e32 vcc, 2, v0
	v_cmp_ne_u32_e64 s[4:5], 1, v102
	s_waitcnt vmcnt(0)
	ds_write_b64 v100, v[98:99]
	s_waitcnt lgkmcnt(0)
	; wave barrier
	s_waitcnt lgkmcnt(0)
	s_and_saveexec_b64 s[8:9], vcc
	s_cbranch_execz .LBB47_482
; %bb.475:
	s_and_b64 vcc, exec, s[4:5]
	s_cbranch_vccnz .LBB47_477
; %bb.476:
	buffer_load_dword v98, v101, s[0:3], 0 offen
	buffer_load_dword v99, v101, s[0:3], 0 offen offset:4
	ds_read_b64 v[102:103], v100
	s_waitcnt vmcnt(0) lgkmcnt(0)
	v_mul_f64 v[98:99], v[98:99], v[102:103]
	s_cbranch_execz .LBB47_478
	s_branch .LBB47_479
.LBB47_477:
                                        ; implicit-def: $vgpr98_vgpr99
.LBB47_478:
	ds_read_b64 v[98:99], v100
.LBB47_479:
	s_and_saveexec_b64 s[10:11], s[6:7]
	s_cbranch_execz .LBB47_481
; %bb.480:
	buffer_load_dword v102, v101, s[0:3], 0 offen offset:8
	buffer_load_dword v103, v101, s[0:3], 0 offen offset:12
	ds_read_b64 v[104:105], v100 offset:8
	s_waitcnt vmcnt(0) lgkmcnt(0)
	v_fmac_f64_e32 v[98:99], v[102:103], v[104:105]
.LBB47_481:
	s_or_b64 exec, exec, s[10:11]
	v_mov_b32_e32 v102, 0
	ds_read_b64 v[102:103], v102 offset:16
	s_waitcnt lgkmcnt(0)
	v_mul_f64 v[98:99], v[98:99], v[102:103]
	buffer_store_dword v99, off, s[0:3], 0 offset:20
	buffer_store_dword v98, off, s[0:3], 0 offset:16
.LBB47_482:
	s_or_b64 exec, exec, s[8:9]
	buffer_load_dword v98, off, s[0:3], 0 offset:24
	buffer_load_dword v99, off, s[0:3], 0 offset:28
	v_cmp_gt_u32_e32 vcc, 3, v0
	s_waitcnt vmcnt(0)
	ds_write_b64 v100, v[98:99]
	s_waitcnt lgkmcnt(0)
	; wave barrier
	s_waitcnt lgkmcnt(0)
	s_and_saveexec_b64 s[8:9], vcc
	s_cbranch_execz .LBB47_490
; %bb.483:
	s_and_b64 vcc, exec, s[4:5]
	s_cbranch_vccnz .LBB47_485
; %bb.484:
	buffer_load_dword v98, v101, s[0:3], 0 offen
	buffer_load_dword v99, v101, s[0:3], 0 offen offset:4
	ds_read_b64 v[102:103], v100
	s_waitcnt vmcnt(0) lgkmcnt(0)
	v_mul_f64 v[98:99], v[98:99], v[102:103]
	s_cbranch_execz .LBB47_486
	s_branch .LBB47_487
.LBB47_485:
                                        ; implicit-def: $vgpr98_vgpr99
.LBB47_486:
	ds_read_b64 v[98:99], v100
.LBB47_487:
	v_cmp_ne_u32_e32 vcc, 2, v0
	s_and_saveexec_b64 s[10:11], vcc
	s_cbranch_execz .LBB47_489
; %bb.488:
	buffer_load_dword v103, v101, s[0:3], 0 offen offset:12
	buffer_load_dword v104, off, s[0:3], 0 offset:16
	buffer_load_dword v102, v101, s[0:3], 0 offen offset:8
	buffer_load_dword v105, off, s[0:3], 0 offset:20
	v_mov_b32_e32 v108, 0
	ds_read_b64 v[106:107], v100 offset:8
	ds_read_b64 v[108:109], v108 offset:400
	s_waitcnt vmcnt(1) lgkmcnt(1)
	v_fmac_f64_e32 v[98:99], v[102:103], v[106:107]
	s_waitcnt vmcnt(0) lgkmcnt(0)
	v_fma_f64 v[102:103], v[104:105], v[108:109], v[98:99]
	v_cndmask_b32_e64 v99, v99, v103, s[6:7]
	v_cndmask_b32_e64 v98, v98, v102, s[6:7]
.LBB47_489:
	s_or_b64 exec, exec, s[10:11]
	v_mov_b32_e32 v102, 0
	ds_read_b64 v[102:103], v102 offset:24
	s_waitcnt lgkmcnt(0)
	v_mul_f64 v[98:99], v[98:99], v[102:103]
	buffer_store_dword v99, off, s[0:3], 0 offset:28
	buffer_store_dword v98, off, s[0:3], 0 offset:24
.LBB47_490:
	s_or_b64 exec, exec, s[8:9]
	buffer_load_dword v98, off, s[0:3], 0 offset:32
	buffer_load_dword v99, off, s[0:3], 0 offset:36
	v_cmp_gt_u32_e32 vcc, 4, v0
	s_waitcnt vmcnt(0)
	ds_write_b64 v100, v[98:99]
	s_waitcnt lgkmcnt(0)
	; wave barrier
	s_waitcnt lgkmcnt(0)
	s_and_saveexec_b64 s[6:7], vcc
	s_cbranch_execz .LBB47_500
; %bb.491:
	s_and_b64 vcc, exec, s[4:5]
	s_cbranch_vccnz .LBB47_493
; %bb.492:
	buffer_load_dword v98, v101, s[0:3], 0 offen
	buffer_load_dword v99, v101, s[0:3], 0 offen offset:4
	ds_read_b64 v[102:103], v100
	s_waitcnt vmcnt(0) lgkmcnt(0)
	v_mul_f64 v[98:99], v[98:99], v[102:103]
	s_cbranch_execz .LBB47_494
	s_branch .LBB47_495
.LBB47_493:
                                        ; implicit-def: $vgpr98_vgpr99
.LBB47_494:
	ds_read_b64 v[98:99], v100
.LBB47_495:
	v_cmp_ne_u32_e32 vcc, 3, v0
	s_and_saveexec_b64 s[8:9], vcc
	s_cbranch_execz .LBB47_499
; %bb.496:
	v_mov_b32_e32 v103, 0
	v_add_u32_e32 v102, 0x188, v1
	v_add3_u32 v103, v1, v103, 8
	s_mov_b64 s[10:11], 0
	v_mov_b32_e32 v104, v0
.LBB47_497:                             ; =>This Inner Loop Header: Depth=1
	buffer_load_dword v106, v103, s[0:3], 0 offen
	buffer_load_dword v107, v103, s[0:3], 0 offen offset:4
	ds_read_b64 v[108:109], v102
	v_add_u32_e32 v104, 1, v104
	v_cmp_lt_u32_e32 vcc, 2, v104
	v_add_u32_e32 v102, 8, v102
	v_add_u32_e32 v103, 8, v103
	s_or_b64 s[10:11], vcc, s[10:11]
	s_waitcnt vmcnt(0) lgkmcnt(0)
	v_fmac_f64_e32 v[98:99], v[106:107], v[108:109]
	s_andn2_b64 exec, exec, s[10:11]
	s_cbranch_execnz .LBB47_497
; %bb.498:
	s_or_b64 exec, exec, s[10:11]
.LBB47_499:
	s_or_b64 exec, exec, s[8:9]
	v_mov_b32_e32 v102, 0
	ds_read_b64 v[102:103], v102 offset:32
	s_waitcnt lgkmcnt(0)
	v_mul_f64 v[98:99], v[98:99], v[102:103]
	buffer_store_dword v99, off, s[0:3], 0 offset:36
	buffer_store_dword v98, off, s[0:3], 0 offset:32
.LBB47_500:
	s_or_b64 exec, exec, s[6:7]
	buffer_load_dword v98, off, s[0:3], 0 offset:40
	buffer_load_dword v99, off, s[0:3], 0 offset:44
	v_cmp_gt_u32_e32 vcc, 5, v0
	s_waitcnt vmcnt(0)
	ds_write_b64 v100, v[98:99]
	s_waitcnt lgkmcnt(0)
	; wave barrier
	s_waitcnt lgkmcnt(0)
	s_and_saveexec_b64 s[6:7], vcc
	s_cbranch_execz .LBB47_510
; %bb.501:
	s_and_b64 vcc, exec, s[4:5]
	s_cbranch_vccnz .LBB47_503
; %bb.502:
	buffer_load_dword v98, v101, s[0:3], 0 offen
	buffer_load_dword v99, v101, s[0:3], 0 offen offset:4
	ds_read_b64 v[102:103], v100
	s_waitcnt vmcnt(0) lgkmcnt(0)
	v_mul_f64 v[98:99], v[98:99], v[102:103]
	s_cbranch_execz .LBB47_504
	s_branch .LBB47_505
.LBB47_503:
                                        ; implicit-def: $vgpr98_vgpr99
.LBB47_504:
	ds_read_b64 v[98:99], v100
.LBB47_505:
	v_cmp_ne_u32_e32 vcc, 4, v0
	s_and_saveexec_b64 s[8:9], vcc
	s_cbranch_execz .LBB47_509
; %bb.506:
	v_mov_b32_e32 v103, 0
	v_add_u32_e32 v102, 0x188, v1
	v_add3_u32 v103, v1, v103, 8
	s_mov_b64 s[10:11], 0
	v_mov_b32_e32 v104, v0
.LBB47_507:                             ; =>This Inner Loop Header: Depth=1
	buffer_load_dword v106, v103, s[0:3], 0 offen
	buffer_load_dword v107, v103, s[0:3], 0 offen offset:4
	ds_read_b64 v[108:109], v102
	v_add_u32_e32 v104, 1, v104
	v_cmp_lt_u32_e32 vcc, 3, v104
	v_add_u32_e32 v102, 8, v102
	v_add_u32_e32 v103, 8, v103
	s_or_b64 s[10:11], vcc, s[10:11]
	s_waitcnt vmcnt(0) lgkmcnt(0)
	v_fmac_f64_e32 v[98:99], v[106:107], v[108:109]
	s_andn2_b64 exec, exec, s[10:11]
	s_cbranch_execnz .LBB47_507
; %bb.508:
	s_or_b64 exec, exec, s[10:11]
.LBB47_509:
	s_or_b64 exec, exec, s[8:9]
	v_mov_b32_e32 v102, 0
	ds_read_b64 v[102:103], v102 offset:40
	s_waitcnt lgkmcnt(0)
	v_mul_f64 v[98:99], v[98:99], v[102:103]
	buffer_store_dword v99, off, s[0:3], 0 offset:44
	buffer_store_dword v98, off, s[0:3], 0 offset:40
.LBB47_510:
	;; [unrolled: 60-line block ×42, first 2 shown]
	s_or_b64 exec, exec, s[6:7]
	buffer_load_dword v98, off, s[0:3], 0 offset:368
	buffer_load_dword v99, off, s[0:3], 0 offset:372
	v_cmp_gt_u32_e64 s[6:7], 46, v0
	s_waitcnt vmcnt(0)
	ds_write_b64 v100, v[98:99]
	s_waitcnt lgkmcnt(0)
	; wave barrier
	s_waitcnt lgkmcnt(0)
	s_and_saveexec_b64 s[8:9], s[6:7]
	s_cbranch_execz .LBB47_920
; %bb.911:
	s_and_b64 vcc, exec, s[4:5]
	s_cbranch_vccnz .LBB47_913
; %bb.912:
	buffer_load_dword v98, v101, s[0:3], 0 offen
	buffer_load_dword v99, v101, s[0:3], 0 offen offset:4
	ds_read_b64 v[102:103], v100
	s_waitcnt vmcnt(0) lgkmcnt(0)
	v_mul_f64 v[98:99], v[98:99], v[102:103]
	s_cbranch_execz .LBB47_914
	s_branch .LBB47_915
.LBB47_913:
                                        ; implicit-def: $vgpr98_vgpr99
.LBB47_914:
	ds_read_b64 v[98:99], v100
.LBB47_915:
	v_cmp_ne_u32_e32 vcc, 45, v0
	s_and_saveexec_b64 s[10:11], vcc
	s_cbranch_execz .LBB47_919
; %bb.916:
	v_mov_b32_e32 v103, 0
	v_add_u32_e32 v102, 0x188, v1
	v_add3_u32 v103, v1, v103, 8
	s_mov_b64 s[12:13], 0
	v_mov_b32_e32 v104, v0
.LBB47_917:                             ; =>This Inner Loop Header: Depth=1
	buffer_load_dword v106, v103, s[0:3], 0 offen
	buffer_load_dword v107, v103, s[0:3], 0 offen offset:4
	ds_read_b64 v[108:109], v102
	v_add_u32_e32 v104, 1, v104
	v_cmp_lt_u32_e32 vcc, 44, v104
	v_add_u32_e32 v102, 8, v102
	v_add_u32_e32 v103, 8, v103
	s_or_b64 s[12:13], vcc, s[12:13]
	s_waitcnt vmcnt(0) lgkmcnt(0)
	v_fmac_f64_e32 v[98:99], v[106:107], v[108:109]
	s_andn2_b64 exec, exec, s[12:13]
	s_cbranch_execnz .LBB47_917
; %bb.918:
	s_or_b64 exec, exec, s[12:13]
.LBB47_919:
	s_or_b64 exec, exec, s[10:11]
	v_mov_b32_e32 v102, 0
	ds_read_b64 v[102:103], v102 offset:368
	s_waitcnt lgkmcnt(0)
	v_mul_f64 v[98:99], v[98:99], v[102:103]
	buffer_store_dword v99, off, s[0:3], 0 offset:372
	buffer_store_dword v98, off, s[0:3], 0 offset:368
.LBB47_920:
	s_or_b64 exec, exec, s[8:9]
	buffer_load_dword v98, off, s[0:3], 0 offset:376
	buffer_load_dword v99, off, s[0:3], 0 offset:380
	v_cmp_ne_u32_e32 vcc, 47, v0
	s_waitcnt vmcnt(0)
	ds_write_b64 v100, v[98:99]
	s_waitcnt lgkmcnt(0)
	; wave barrier
	s_waitcnt lgkmcnt(0)
	s_and_saveexec_b64 s[8:9], vcc
	s_cbranch_execz .LBB47_930
; %bb.921:
	s_and_b64 vcc, exec, s[4:5]
	s_cbranch_vccnz .LBB47_923
; %bb.922:
	buffer_load_dword v98, v101, s[0:3], 0 offen
	buffer_load_dword v99, v101, s[0:3], 0 offen offset:4
	ds_read_b64 v[102:103], v100
	s_waitcnt vmcnt(0) lgkmcnt(0)
	v_mul_f64 v[98:99], v[98:99], v[102:103]
	s_cbranch_execz .LBB47_924
	s_branch .LBB47_925
.LBB47_923:
                                        ; implicit-def: $vgpr98_vgpr99
.LBB47_924:
	ds_read_b64 v[98:99], v100
.LBB47_925:
	s_and_saveexec_b64 s[4:5], s[6:7]
	s_cbranch_execz .LBB47_929
; %bb.926:
	v_mov_b32_e32 v101, 0
	v_add_u32_e32 v100, 0x188, v1
	v_add3_u32 v1, v1, v101, 8
	s_mov_b64 s[6:7], 0
.LBB47_927:                             ; =>This Inner Loop Header: Depth=1
	buffer_load_dword v102, v1, s[0:3], 0 offen
	buffer_load_dword v103, v1, s[0:3], 0 offen offset:4
	ds_read_b64 v[104:105], v100
	v_add_u32_e32 v0, 1, v0
	v_cmp_lt_u32_e32 vcc, 45, v0
	v_add_u32_e32 v100, 8, v100
	v_add_u32_e32 v1, 8, v1
	s_or_b64 s[6:7], vcc, s[6:7]
	s_waitcnt vmcnt(0) lgkmcnt(0)
	v_fmac_f64_e32 v[98:99], v[102:103], v[104:105]
	s_andn2_b64 exec, exec, s[6:7]
	s_cbranch_execnz .LBB47_927
; %bb.928:
	s_or_b64 exec, exec, s[6:7]
.LBB47_929:
	s_or_b64 exec, exec, s[4:5]
	v_mov_b32_e32 v0, 0
	ds_read_b64 v[0:1], v0 offset:376
	s_waitcnt lgkmcnt(0)
	v_mul_f64 v[0:1], v[98:99], v[0:1]
	buffer_store_dword v1, off, s[0:3], 0 offset:380
	buffer_store_dword v0, off, s[0:3], 0 offset:376
.LBB47_930:
	s_or_b64 exec, exec, s[8:9]
.LBB47_931:
	buffer_load_dword v0, off, s[0:3], 0
	buffer_load_dword v1, off, s[0:3], 0 offset:4
	buffer_load_dword v98, off, s[0:3], 0 offset:8
	;; [unrolled: 1-line block ×15, first 2 shown]
	s_waitcnt vmcnt(14)
	global_store_dwordx2 v[94:95], v[0:1], off
	s_waitcnt vmcnt(13)
	global_store_dwordx2 v[96:97], v[98:99], off
	;; [unrolled: 2-line block ×8, first 2 shown]
	buffer_load_dword v1, off, s[0:3], 0 offset:68
	buffer_load_dword v0, off, s[0:3], 0 offset:64
	s_waitcnt vmcnt(0)
	global_store_dwordx2 v[20:21], v[0:1], off
	buffer_load_dword v0, off, s[0:3], 0 offset:72
	s_nop 0
	buffer_load_dword v1, off, s[0:3], 0 offset:76
	s_waitcnt vmcnt(0)
	global_store_dwordx2 v[12:13], v[0:1], off
	buffer_load_dword v0, off, s[0:3], 0 offset:80
	s_nop 0
	;; [unrolled: 5-line block ×39, first 2 shown]
	buffer_load_dword v1, off, s[0:3], 0 offset:380
	s_waitcnt vmcnt(0)
	global_store_dwordx2 v[78:79], v[0:1], off
.LBB47_932:
	s_endpgm
	.section	.rodata,"a",@progbits
	.p2align	6, 0x0
	.amdhsa_kernel _ZN9rocsolver6v33100L18trti2_kernel_smallILi48EdPdEEv13rocblas_fill_17rocblas_diagonal_T1_iil
		.amdhsa_group_segment_fixed_size 768
		.amdhsa_private_segment_fixed_size 400
		.amdhsa_kernarg_size 32
		.amdhsa_user_sgpr_count 8
		.amdhsa_user_sgpr_private_segment_buffer 1
		.amdhsa_user_sgpr_dispatch_ptr 0
		.amdhsa_user_sgpr_queue_ptr 0
		.amdhsa_user_sgpr_kernarg_segment_ptr 1
		.amdhsa_user_sgpr_dispatch_id 0
		.amdhsa_user_sgpr_flat_scratch_init 1
		.amdhsa_user_sgpr_kernarg_preload_length 0
		.amdhsa_user_sgpr_kernarg_preload_offset 0
		.amdhsa_user_sgpr_private_segment_size 0
		.amdhsa_uses_dynamic_stack 0
		.amdhsa_system_sgpr_private_segment_wavefront_offset 1
		.amdhsa_system_sgpr_workgroup_id_x 1
		.amdhsa_system_sgpr_workgroup_id_y 0
		.amdhsa_system_sgpr_workgroup_id_z 0
		.amdhsa_system_sgpr_workgroup_info 0
		.amdhsa_system_vgpr_workitem_id 0
		.amdhsa_next_free_vgpr 164
		.amdhsa_next_free_sgpr 20
		.amdhsa_accum_offset 164
		.amdhsa_reserve_vcc 1
		.amdhsa_reserve_flat_scratch 0
		.amdhsa_float_round_mode_32 0
		.amdhsa_float_round_mode_16_64 0
		.amdhsa_float_denorm_mode_32 3
		.amdhsa_float_denorm_mode_16_64 3
		.amdhsa_dx10_clamp 1
		.amdhsa_ieee_mode 1
		.amdhsa_fp16_overflow 0
		.amdhsa_tg_split 0
		.amdhsa_exception_fp_ieee_invalid_op 0
		.amdhsa_exception_fp_denorm_src 0
		.amdhsa_exception_fp_ieee_div_zero 0
		.amdhsa_exception_fp_ieee_overflow 0
		.amdhsa_exception_fp_ieee_underflow 0
		.amdhsa_exception_fp_ieee_inexact 0
		.amdhsa_exception_int_div_zero 0
	.end_amdhsa_kernel
	.section	.text._ZN9rocsolver6v33100L18trti2_kernel_smallILi48EdPdEEv13rocblas_fill_17rocblas_diagonal_T1_iil,"axG",@progbits,_ZN9rocsolver6v33100L18trti2_kernel_smallILi48EdPdEEv13rocblas_fill_17rocblas_diagonal_T1_iil,comdat
.Lfunc_end47:
	.size	_ZN9rocsolver6v33100L18trti2_kernel_smallILi48EdPdEEv13rocblas_fill_17rocblas_diagonal_T1_iil, .Lfunc_end47-_ZN9rocsolver6v33100L18trti2_kernel_smallILi48EdPdEEv13rocblas_fill_17rocblas_diagonal_T1_iil
                                        ; -- End function
	.section	.AMDGPU.csdata,"",@progbits
; Kernel info:
; codeLenInByte = 28156
; NumSgprs: 24
; NumVgprs: 164
; NumAgprs: 0
; TotalNumVgprs: 164
; ScratchSize: 400
; MemoryBound: 0
; FloatMode: 240
; IeeeMode: 1
; LDSByteSize: 768 bytes/workgroup (compile time only)
; SGPRBlocks: 2
; VGPRBlocks: 20
; NumSGPRsForWavesPerEU: 24
; NumVGPRsForWavesPerEU: 164
; AccumOffset: 164
; Occupancy: 3
; WaveLimiterHint : 0
; COMPUTE_PGM_RSRC2:SCRATCH_EN: 1
; COMPUTE_PGM_RSRC2:USER_SGPR: 8
; COMPUTE_PGM_RSRC2:TRAP_HANDLER: 0
; COMPUTE_PGM_RSRC2:TGID_X_EN: 1
; COMPUTE_PGM_RSRC2:TGID_Y_EN: 0
; COMPUTE_PGM_RSRC2:TGID_Z_EN: 0
; COMPUTE_PGM_RSRC2:TIDIG_COMP_CNT: 0
; COMPUTE_PGM_RSRC3_GFX90A:ACCUM_OFFSET: 40
; COMPUTE_PGM_RSRC3_GFX90A:TG_SPLIT: 0
	.section	.text._ZN9rocsolver6v33100L18trti2_kernel_smallILi49EdPdEEv13rocblas_fill_17rocblas_diagonal_T1_iil,"axG",@progbits,_ZN9rocsolver6v33100L18trti2_kernel_smallILi49EdPdEEv13rocblas_fill_17rocblas_diagonal_T1_iil,comdat
	.globl	_ZN9rocsolver6v33100L18trti2_kernel_smallILi49EdPdEEv13rocblas_fill_17rocblas_diagonal_T1_iil ; -- Begin function _ZN9rocsolver6v33100L18trti2_kernel_smallILi49EdPdEEv13rocblas_fill_17rocblas_diagonal_T1_iil
	.p2align	8
	.type	_ZN9rocsolver6v33100L18trti2_kernel_smallILi49EdPdEEv13rocblas_fill_17rocblas_diagonal_T1_iil,@function
_ZN9rocsolver6v33100L18trti2_kernel_smallILi49EdPdEEv13rocblas_fill_17rocblas_diagonal_T1_iil: ; @_ZN9rocsolver6v33100L18trti2_kernel_smallILi49EdPdEEv13rocblas_fill_17rocblas_diagonal_T1_iil
; %bb.0:
	s_add_u32 s0, s0, s9
	s_addc_u32 s1, s1, 0
	v_cmp_gt_u32_e32 vcc, 49, v0
	s_and_saveexec_b64 s[6:7], vcc
	s_cbranch_execz .LBB48_952
; %bb.1:
	s_load_dwordx8 s[12:19], s[4:5], 0x0
	s_ashr_i32 s6, s8, 31
	s_waitcnt lgkmcnt(0)
	s_mul_i32 s7, s8, s19
	s_mul_hi_u32 s9, s8, s18
	s_add_i32 s7, s9, s7
	s_mul_i32 s6, s6, s18
	s_add_i32 s7, s7, s6
	s_mul_i32 s6, s8, s18
	s_ashr_i32 s5, s16, 31
	s_lshl_b64 s[6:7], s[6:7], 3
	s_mov_b32 s4, s16
	s_add_u32 s6, s14, s6
	s_addc_u32 s7, s15, s7
	s_lshl_b64 s[4:5], s[4:5], 3
	s_add_u32 s4, s6, s4
	s_addc_u32 s5, s7, s5
	s_add_i32 s6, s17, s17
	v_add_u32_e32 v4, s6, v0
	v_ashrrev_i32_e32 v5, 31, v4
	v_lshlrev_b64 v[2:3], 3, v[4:5]
	v_add_u32_e32 v6, s17, v4
	v_mov_b32_e32 v1, s5
	v_add_co_u32_e32 v2, vcc, s4, v2
	v_ashrrev_i32_e32 v7, 31, v6
	v_addc_co_u32_e32 v3, vcc, v1, v3, vcc
	v_lshlrev_b64 v[4:5], 3, v[6:7]
	v_add_u32_e32 v8, s17, v6
	v_add_co_u32_e32 v4, vcc, s4, v4
	v_ashrrev_i32_e32 v9, 31, v8
	v_addc_co_u32_e32 v5, vcc, v1, v5, vcc
	v_lshlrev_b64 v[6:7], 3, v[8:9]
	v_add_u32_e32 v10, s17, v8
	;; [unrolled: 5-line block ×5, first 2 shown]
	v_add_co_u32_e32 v14, vcc, s4, v14
	v_ashrrev_i32_e32 v13, 31, v12
	v_addc_co_u32_e32 v15, vcc, v1, v15, vcc
	v_lshlrev_b64 v[16:17], 3, v[12:13]
	v_add_co_u32_e32 v20, vcc, s4, v16
	v_add_u32_e32 v16, s17, v12
	v_addc_co_u32_e32 v21, vcc, v1, v17, vcc
	v_ashrrev_i32_e32 v17, 31, v16
	v_lshlrev_b64 v[12:13], 3, v[16:17]
	v_add_u32_e32 v18, s17, v16
	v_add_co_u32_e32 v12, vcc, s4, v12
	v_ashrrev_i32_e32 v19, 31, v18
	v_addc_co_u32_e32 v13, vcc, v1, v13, vcc
	v_lshlrev_b64 v[16:17], 3, v[18:19]
	v_add_u32_e32 v22, s17, v18
	v_add_co_u32_e32 v16, vcc, s4, v16
	v_ashrrev_i32_e32 v23, 31, v22
	v_addc_co_u32_e32 v17, vcc, v1, v17, vcc
	;; [unrolled: 5-line block ×31, first 2 shown]
	v_lshlrev_b64 v[78:79], 3, v[80:81]
	v_add_co_u32_e32 v78, vcc, s4, v78
	v_addc_co_u32_e32 v79, vcc, v1, v79, vcc
	v_lshlrev_b32_e32 v1, 3, v0
	v_mov_b32_e32 v82, s5
	v_add_co_u32_e32 v96, vcc, s4, v1
	s_ashr_i32 s7, s17, 31
	s_mov_b32 s6, s17
	v_addc_co_u32_e32 v97, vcc, 0, v82, vcc
	s_lshl_b64 s[6:7], s[6:7], 3
	global_load_dwordx2 v[100:101], v1, s[4:5]
	global_load_dwordx2 v[104:105], v[2:3], off
	global_load_dwordx2 v[106:107], v[4:5], off
	;; [unrolled: 1-line block ×3, first 2 shown]
	v_mov_b32_e32 v82, s7
	v_add_co_u32_e32 v98, vcc, s6, v96
	v_addc_co_u32_e32 v99, vcc, v97, v82, vcc
	global_load_dwordx2 v[102:103], v[98:99], off
	global_load_dwordx2 v[112:113], v[10:11], off
	;; [unrolled: 1-line block ×13, first 2 shown]
	v_add_u32_e32 v80, s17, v80
	v_ashrrev_i32_e32 v81, 31, v80
	v_lshlrev_b64 v[82:83], 3, v[80:81]
	v_add_u32_e32 v80, s17, v80
	v_mov_b32_e32 v84, s5
	v_add_co_u32_e32 v82, vcc, s4, v82
	v_ashrrev_i32_e32 v81, 31, v80
	v_addc_co_u32_e32 v83, vcc, v84, v83, vcc
	v_lshlrev_b64 v[84:85], 3, v[80:81]
	v_add_u32_e32 v80, s17, v80
	v_mov_b32_e32 v86, s5
	v_add_co_u32_e32 v84, vcc, s4, v84
	v_ashrrev_i32_e32 v81, 31, v80
	v_addc_co_u32_e32 v85, vcc, v86, v85, vcc
	;; [unrolled: 6-line block ×5, first 2 shown]
	v_lshlrev_b64 v[92:93], 3, v[80:81]
	v_add_u32_e32 v80, s17, v80
	v_mov_b32_e32 v94, s5
	v_add_co_u32_e32 v92, vcc, s4, v92
	v_ashrrev_i32_e32 v81, 31, v80
	s_waitcnt vmcnt(16)
	buffer_store_dword v101, off, s[0:3], 0 offset:4
	buffer_store_dword v100, off, s[0:3], 0
	s_waitcnt vmcnt(14)
	buffer_store_dword v103, off, s[0:3], 0 offset:12
	v_addc_co_u32_e32 v93, vcc, v94, v93, vcc
	v_lshlrev_b64 v[94:95], 3, v[80:81]
	v_add_u32_e32 v80, s17, v80
	global_load_dwordx2 v[100:101], v[32:33], off
	v_mov_b32_e32 v134, s5
	v_add_co_u32_e32 v94, vcc, s4, v94
	v_ashrrev_i32_e32 v81, 31, v80
	v_addc_co_u32_e32 v95, vcc, v134, v95, vcc
	v_lshlrev_b64 v[80:81], 3, v[80:81]
	buffer_store_dword v102, off, s[0:3], 0 offset:8
	global_load_dwordx2 v[102:103], v[34:35], off
	v_add_co_u32_e32 v80, vcc, s4, v80
	v_addc_co_u32_e32 v81, vcc, v134, v81, vcc
	global_load_dwordx2 v[134:135], v[36:37], off
	global_load_dwordx2 v[136:137], v[40:41], off
	;; [unrolled: 1-line block ×15, first 2 shown]
	s_cmpk_lg_i32 s13, 0x84
	buffer_store_dword v105, off, s[0:3], 0 offset:20
	buffer_store_dword v104, off, s[0:3], 0 offset:16
	global_load_dwordx2 v[104:105], v[38:39], off
	s_cselect_b64 s[8:9], -1, 0
	buffer_store_dword v107, off, s[0:3], 0 offset:28
	buffer_store_dword v106, off, s[0:3], 0 offset:24
	global_load_dwordx2 v[106:107], v[42:43], off
	s_cmpk_eq_i32 s13, 0x84
	buffer_store_dword v109, off, s[0:3], 0 offset:36
	buffer_store_dword v108, off, s[0:3], 0 offset:32
	global_load_dwordx2 v[108:109], v[46:47], off
	s_waitcnt vmcnt(40)
	buffer_store_dword v111, off, s[0:3], 0 offset:44
	buffer_store_dword v110, off, s[0:3], 0 offset:40
	global_load_dwordx2 v[110:111], v[50:51], off
	s_nop 0
	buffer_store_dword v113, off, s[0:3], 0 offset:52
	buffer_store_dword v112, off, s[0:3], 0 offset:48
	global_load_dwordx2 v[112:113], v[54:55], off
	s_waitcnt vmcnt(45)
	buffer_store_dword v115, off, s[0:3], 0 offset:60
	buffer_store_dword v114, off, s[0:3], 0 offset:56
	global_load_dwordx2 v[114:115], v[58:59], off
	s_waitcnt vmcnt(47)
	;; [unrolled: 4-line block ×11, first 2 shown]
	buffer_store_dword v100, off, s[0:3], 0 offset:136
	buffer_store_dword v101, off, s[0:3], 0 offset:140
	s_waitcnt vmcnt(62)
	buffer_store_dword v102, off, s[0:3], 0 offset:144
	buffer_store_dword v103, off, s[0:3], 0 offset:148
	s_waitcnt vmcnt(62)
	;; [unrolled: 3-line block ×3, first 2 shown]
	buffer_store_dword v105, off, s[0:3], 0 offset:164
	buffer_store_dword v104, off, s[0:3], 0 offset:160
	buffer_store_dword v136, off, s[0:3], 0 offset:168
	buffer_store_dword v137, off, s[0:3], 0 offset:172
	s_waitcnt vmcnt(49)
	buffer_store_dword v106, off, s[0:3], 0 offset:176
	buffer_store_dword v107, off, s[0:3], 0 offset:180
	buffer_store_dword v138, off, s[0:3], 0 offset:184
	buffer_store_dword v139, off, s[0:3], 0 offset:188
	s_waitcnt vmcnt(50)
	;; [unrolled: 5-line block ×14, first 2 shown]
	buffer_store_dword v132, off, s[0:3], 0 offset:384
	buffer_store_dword v133, off, s[0:3], 0 offset:388
	v_mov_b32_e32 v100, 0
	v_mov_b32_e32 v149, 0
	;; [unrolled: 1-line block ×3, first 2 shown]
	s_cbranch_scc1 .LBB48_3
; %bb.2:
	v_lshl_add_u32 v110, v0, 3, v149
	buffer_load_dword v100, v110, s[0:3], 0 offen
	buffer_load_dword v101, v110, s[0:3], 0 offen offset:4
	s_waitcnt vmcnt(0)
	v_div_scale_f64 v[102:103], s[4:5], v[100:101], v[100:101], 1.0
	v_rcp_f64_e32 v[104:105], v[102:103]
	v_div_scale_f64 v[106:107], vcc, 1.0, v[100:101], 1.0
	v_fma_f64 v[108:109], -v[102:103], v[104:105], 1.0
	v_fmac_f64_e32 v[104:105], v[104:105], v[108:109]
	v_fma_f64 v[108:109], -v[102:103], v[104:105], 1.0
	v_fmac_f64_e32 v[104:105], v[104:105], v[108:109]
	v_mul_f64 v[108:109], v[106:107], v[104:105]
	v_fma_f64 v[102:103], -v[102:103], v[108:109], v[106:107]
	v_div_fmas_f64 v[102:103], v[102:103], v[104:105], v[108:109]
	v_div_fixup_f64 v[100:101], v[102:103], v[100:101], 1.0
	buffer_store_dword v100, v110, s[0:3], 0 offen
	buffer_store_dword v101, v110, s[0:3], 0 offen offset:4
	v_xor_b32_e32 v101, 0x80000000, v101
.LBB48_3:
	s_cmpk_eq_i32 s12, 0x79
	v_add_u32_e32 v102, 0x190, v1
	v_add_u32_e32 v103, 0, v1
	s_mov_b64 s[4:5], -1
	ds_write_b64 v1, v[100:101]
	s_cbranch_scc1 .LBB48_477
; %bb.4:
	buffer_load_dword v100, off, s[0:3], 0 offset:376
	buffer_load_dword v101, off, s[0:3], 0 offset:380
	v_cmp_eq_u32_e64 s[4:5], 48, v0
	s_waitcnt vmcnt(0)
	ds_write_b64 v102, v[100:101]
	s_waitcnt lgkmcnt(0)
	; wave barrier
	s_waitcnt lgkmcnt(0)
	s_and_saveexec_b64 s[6:7], s[4:5]
	s_cbranch_execz .LBB48_10
; %bb.5:
	s_and_b64 vcc, exec, s[8:9]
	s_cbranch_vccz .LBB48_7
; %bb.6:
	buffer_load_dword v100, v103, s[0:3], 0 offen
	buffer_load_dword v101, v103, s[0:3], 0 offen offset:4
	ds_read_b64 v[104:105], v102
	s_waitcnt vmcnt(0) lgkmcnt(0)
	v_mul_f64 v[100:101], v[100:101], v[104:105]
	s_cbranch_execz .LBB48_8
	s_branch .LBB48_9
.LBB48_7:
                                        ; implicit-def: $vgpr100_vgpr101
.LBB48_8:
	ds_read_b64 v[100:101], v102
.LBB48_9:
	v_mov_b32_e32 v104, 0
	ds_read_b64 v[104:105], v104 offset:376
	s_waitcnt lgkmcnt(0)
	v_mul_f64 v[100:101], v[100:101], v[104:105]
	buffer_store_dword v101, off, s[0:3], 0 offset:380
	buffer_store_dword v100, off, s[0:3], 0 offset:376
.LBB48_10:
	s_or_b64 exec, exec, s[6:7]
	buffer_load_dword v100, off, s[0:3], 0 offset:368
	buffer_load_dword v101, off, s[0:3], 0 offset:372
	v_or_b32_e32 v104, 8, v149
	v_add_u32_e32 v105, 16, v149
	v_add_u32_e32 v106, 24, v149
	;; [unrolled: 1-line block ×45, first 2 shown]
	v_cmp_lt_u32_e64 s[6:7], 46, v0
	s_waitcnt vmcnt(0)
	ds_write_b64 v102, v[100:101]
	s_waitcnt lgkmcnt(0)
	; wave barrier
	s_waitcnt lgkmcnt(0)
	s_and_saveexec_b64 s[10:11], s[6:7]
	s_cbranch_execz .LBB48_16
; %bb.11:
	s_andn2_b64 vcc, exec, s[8:9]
	s_cbranch_vccnz .LBB48_13
; %bb.12:
	buffer_load_dword v100, v103, s[0:3], 0 offen
	buffer_load_dword v101, v103, s[0:3], 0 offen offset:4
	ds_read_b64 v[150:151], v102
	s_waitcnt vmcnt(0) lgkmcnt(0)
	v_mul_f64 v[100:101], v[100:101], v[150:151]
	s_cbranch_execz .LBB48_14
	s_branch .LBB48_15
.LBB48_13:
                                        ; implicit-def: $vgpr100_vgpr101
.LBB48_14:
	ds_read_b64 v[100:101], v102
.LBB48_15:
	buffer_load_dword v154, off, s[0:3], 0 offset:376
	buffer_load_dword v155, off, s[0:3], 0 offset:380
	v_mov_b32_e32 v150, 0
	ds_read2_b64 v[150:153], v150 offset0:46 offset1:97
	s_waitcnt vmcnt(0) lgkmcnt(0)
	v_fma_f64 v[152:153], v[154:155], v[152:153], v[100:101]
	v_cndmask_b32_e64 v101, v101, v153, s[4:5]
	v_cndmask_b32_e64 v100, v100, v152, s[4:5]
	v_mul_f64 v[100:101], v[100:101], v[150:151]
	buffer_store_dword v101, off, s[0:3], 0 offset:372
	buffer_store_dword v100, off, s[0:3], 0 offset:368
.LBB48_16:
	s_or_b64 exec, exec, s[10:11]
	buffer_load_dword v100, off, s[0:3], 0 offset:360
	buffer_load_dword v101, off, s[0:3], 0 offset:364
	v_cmp_lt_u32_e64 s[4:5], 45, v0
	s_waitcnt vmcnt(0)
	ds_write_b64 v102, v[100:101]
	s_waitcnt lgkmcnt(0)
	; wave barrier
	s_waitcnt lgkmcnt(0)
	s_and_saveexec_b64 s[10:11], s[4:5]
	s_cbranch_execz .LBB48_26
; %bb.17:
	s_andn2_b64 vcc, exec, s[8:9]
	s_cbranch_vccnz .LBB48_19
; %bb.18:
	buffer_load_dword v100, v103, s[0:3], 0 offen
	buffer_load_dword v101, v103, s[0:3], 0 offen offset:4
	ds_read_b64 v[150:151], v102
	s_waitcnt vmcnt(0) lgkmcnt(0)
	v_mul_f64 v[100:101], v[100:101], v[150:151]
	s_cbranch_execz .LBB48_20
	s_branch .LBB48_21
.LBB48_19:
                                        ; implicit-def: $vgpr100_vgpr101
.LBB48_20:
	ds_read_b64 v[100:101], v102
.LBB48_21:
	s_and_saveexec_b64 s[12:13], s[6:7]
	s_cbranch_execz .LBB48_25
; %bb.22:
	v_subrev_u32_e32 v150, 46, v0
	s_movk_i32 s14, 0x300
	s_mov_b64 s[6:7], 0
.LBB48_23:                              ; =>This Inner Loop Header: Depth=1
	buffer_load_dword v152, v149, s[0:3], 0 offen
	buffer_load_dword v153, v149, s[0:3], 0 offen offset:4
	v_mov_b32_e32 v151, s14
	ds_read_b64 v[154:155], v151
	v_add_u32_e32 v150, -1, v150
	s_add_i32 s14, s14, 8
	v_cmp_eq_u32_e32 vcc, 0, v150
	v_add_u32_e32 v149, 8, v149
	s_or_b64 s[6:7], vcc, s[6:7]
	s_waitcnt vmcnt(0) lgkmcnt(0)
	v_fmac_f64_e32 v[100:101], v[152:153], v[154:155]
	s_andn2_b64 exec, exec, s[6:7]
	s_cbranch_execnz .LBB48_23
; %bb.24:
	s_or_b64 exec, exec, s[6:7]
.LBB48_25:
	s_or_b64 exec, exec, s[12:13]
	v_mov_b32_e32 v149, 0
	ds_read_b64 v[150:151], v149 offset:360
	s_waitcnt lgkmcnt(0)
	v_mul_f64 v[100:101], v[100:101], v[150:151]
	buffer_store_dword v101, off, s[0:3], 0 offset:364
	buffer_store_dword v100, off, s[0:3], 0 offset:360
.LBB48_26:
	s_or_b64 exec, exec, s[10:11]
	buffer_load_dword v100, off, s[0:3], 0 offset:352
	buffer_load_dword v101, off, s[0:3], 0 offset:356
	v_cmp_lt_u32_e64 s[6:7], 44, v0
	s_waitcnt vmcnt(0)
	ds_write_b64 v102, v[100:101]
	s_waitcnt lgkmcnt(0)
	; wave barrier
	s_waitcnt lgkmcnt(0)
	s_and_saveexec_b64 s[10:11], s[6:7]
	s_cbranch_execz .LBB48_36
; %bb.27:
	s_andn2_b64 vcc, exec, s[8:9]
	s_cbranch_vccnz .LBB48_29
; %bb.28:
	buffer_load_dword v100, v103, s[0:3], 0 offen
	buffer_load_dword v101, v103, s[0:3], 0 offen offset:4
	ds_read_b64 v[150:151], v102
	s_waitcnt vmcnt(0) lgkmcnt(0)
	v_mul_f64 v[100:101], v[100:101], v[150:151]
	s_cbranch_execz .LBB48_30
	s_branch .LBB48_31
.LBB48_29:
                                        ; implicit-def: $vgpr100_vgpr101
.LBB48_30:
	ds_read_b64 v[100:101], v102
.LBB48_31:
	s_and_saveexec_b64 s[12:13], s[4:5]
	s_cbranch_execz .LBB48_35
; %bb.32:
	v_subrev_u32_e32 v149, 45, v0
	s_movk_i32 s14, 0x2f8
	s_mov_b64 s[4:5], 0
.LBB48_33:                              ; =>This Inner Loop Header: Depth=1
	buffer_load_dword v150, v148, s[0:3], 0 offen
	buffer_load_dword v151, v148, s[0:3], 0 offen offset:4
	v_mov_b32_e32 v152, s14
	ds_read_b64 v[152:153], v152
	v_add_u32_e32 v149, -1, v149
	s_add_i32 s14, s14, 8
	v_cmp_eq_u32_e32 vcc, 0, v149
	v_add_u32_e32 v148, 8, v148
	s_or_b64 s[4:5], vcc, s[4:5]
	s_waitcnt vmcnt(0) lgkmcnt(0)
	v_fmac_f64_e32 v[100:101], v[150:151], v[152:153]
	s_andn2_b64 exec, exec, s[4:5]
	s_cbranch_execnz .LBB48_33
; %bb.34:
	s_or_b64 exec, exec, s[4:5]
.LBB48_35:
	s_or_b64 exec, exec, s[12:13]
	v_mov_b32_e32 v148, 0
	ds_read_b64 v[148:149], v148 offset:352
	s_waitcnt lgkmcnt(0)
	v_mul_f64 v[100:101], v[100:101], v[148:149]
	buffer_store_dword v101, off, s[0:3], 0 offset:356
	buffer_store_dword v100, off, s[0:3], 0 offset:352
.LBB48_36:
	;; [unrolled: 58-line block ×8, first 2 shown]
	s_or_b64 exec, exec, s[10:11]
	buffer_load_dword v100, off, s[0:3], 0 offset:296
	buffer_load_dword v101, off, s[0:3], 0 offset:300
	v_cmp_lt_u32_e64 s[4:5], 37, v0
	s_waitcnt vmcnt(0)
	ds_write_b64 v102, v[100:101]
	s_waitcnt lgkmcnt(0)
	; wave barrier
	s_waitcnt lgkmcnt(0)
	s_and_saveexec_b64 s[10:11], s[4:5]
	s_cbranch_execz .LBB48_106
; %bb.97:
	s_andn2_b64 vcc, exec, s[8:9]
	s_cbranch_vccnz .LBB48_99
; %bb.98:
	buffer_load_dword v100, v103, s[0:3], 0 offen
	buffer_load_dword v101, v103, s[0:3], 0 offen offset:4
	ds_read_b64 v[142:143], v102
	s_waitcnt vmcnt(0) lgkmcnt(0)
	v_mul_f64 v[100:101], v[100:101], v[142:143]
	s_cbranch_execz .LBB48_100
	s_branch .LBB48_101
.LBB48_99:
                                        ; implicit-def: $vgpr100_vgpr101
.LBB48_100:
	ds_read_b64 v[100:101], v102
.LBB48_101:
	s_and_saveexec_b64 s[12:13], s[6:7]
	s_cbranch_execz .LBB48_105
; %bb.102:
	v_subrev_u32_e32 v142, 38, v0
	s_movk_i32 s14, 0x2c0
	s_mov_b64 s[6:7], 0
.LBB48_103:                             ; =>This Inner Loop Header: Depth=1
	buffer_load_dword v144, v141, s[0:3], 0 offen
	buffer_load_dword v145, v141, s[0:3], 0 offen offset:4
	v_mov_b32_e32 v143, s14
	ds_read_b64 v[146:147], v143
	v_add_u32_e32 v142, -1, v142
	s_add_i32 s14, s14, 8
	v_cmp_eq_u32_e32 vcc, 0, v142
	v_add_u32_e32 v141, 8, v141
	s_or_b64 s[6:7], vcc, s[6:7]
	s_waitcnt vmcnt(0) lgkmcnt(0)
	v_fmac_f64_e32 v[100:101], v[144:145], v[146:147]
	s_andn2_b64 exec, exec, s[6:7]
	s_cbranch_execnz .LBB48_103
; %bb.104:
	s_or_b64 exec, exec, s[6:7]
.LBB48_105:
	s_or_b64 exec, exec, s[12:13]
	v_mov_b32_e32 v141, 0
	ds_read_b64 v[142:143], v141 offset:296
	s_waitcnt lgkmcnt(0)
	v_mul_f64 v[100:101], v[100:101], v[142:143]
	buffer_store_dword v101, off, s[0:3], 0 offset:300
	buffer_store_dword v100, off, s[0:3], 0 offset:296
.LBB48_106:
	s_or_b64 exec, exec, s[10:11]
	buffer_load_dword v100, off, s[0:3], 0 offset:288
	buffer_load_dword v101, off, s[0:3], 0 offset:292
	v_cmp_lt_u32_e64 s[6:7], 36, v0
	s_waitcnt vmcnt(0)
	ds_write_b64 v102, v[100:101]
	s_waitcnt lgkmcnt(0)
	; wave barrier
	s_waitcnt lgkmcnt(0)
	s_and_saveexec_b64 s[10:11], s[6:7]
	s_cbranch_execz .LBB48_116
; %bb.107:
	s_andn2_b64 vcc, exec, s[8:9]
	s_cbranch_vccnz .LBB48_109
; %bb.108:
	buffer_load_dword v100, v103, s[0:3], 0 offen
	buffer_load_dword v101, v103, s[0:3], 0 offen offset:4
	ds_read_b64 v[142:143], v102
	s_waitcnt vmcnt(0) lgkmcnt(0)
	v_mul_f64 v[100:101], v[100:101], v[142:143]
	s_cbranch_execz .LBB48_110
	s_branch .LBB48_111
.LBB48_109:
                                        ; implicit-def: $vgpr100_vgpr101
.LBB48_110:
	ds_read_b64 v[100:101], v102
.LBB48_111:
	s_and_saveexec_b64 s[12:13], s[4:5]
	s_cbranch_execz .LBB48_115
; %bb.112:
	v_subrev_u32_e32 v141, 37, v0
	s_movk_i32 s14, 0x2b8
	s_mov_b64 s[4:5], 0
.LBB48_113:                             ; =>This Inner Loop Header: Depth=1
	buffer_load_dword v142, v140, s[0:3], 0 offen
	buffer_load_dword v143, v140, s[0:3], 0 offen offset:4
	v_mov_b32_e32 v144, s14
	ds_read_b64 v[144:145], v144
	v_add_u32_e32 v141, -1, v141
	s_add_i32 s14, s14, 8
	v_cmp_eq_u32_e32 vcc, 0, v141
	v_add_u32_e32 v140, 8, v140
	s_or_b64 s[4:5], vcc, s[4:5]
	s_waitcnt vmcnt(0) lgkmcnt(0)
	v_fmac_f64_e32 v[100:101], v[142:143], v[144:145]
	s_andn2_b64 exec, exec, s[4:5]
	s_cbranch_execnz .LBB48_113
; %bb.114:
	s_or_b64 exec, exec, s[4:5]
.LBB48_115:
	s_or_b64 exec, exec, s[12:13]
	v_mov_b32_e32 v140, 0
	ds_read_b64 v[140:141], v140 offset:288
	s_waitcnt lgkmcnt(0)
	v_mul_f64 v[100:101], v[100:101], v[140:141]
	buffer_store_dword v101, off, s[0:3], 0 offset:292
	buffer_store_dword v100, off, s[0:3], 0 offset:288
.LBB48_116:
	;; [unrolled: 58-line block ×22, first 2 shown]
	s_or_b64 exec, exec, s[10:11]
	buffer_load_dword v100, off, s[0:3], 0 offset:120
	buffer_load_dword v101, off, s[0:3], 0 offset:124
	v_cmp_lt_u32_e64 s[4:5], 15, v0
	s_waitcnt vmcnt(0)
	ds_write_b64 v102, v[100:101]
	s_waitcnt lgkmcnt(0)
	; wave barrier
	s_waitcnt lgkmcnt(0)
	s_and_saveexec_b64 s[10:11], s[4:5]
	s_cbranch_execz .LBB48_326
; %bb.317:
	s_andn2_b64 vcc, exec, s[8:9]
	s_cbranch_vccnz .LBB48_319
; %bb.318:
	buffer_load_dword v100, v103, s[0:3], 0 offen
	buffer_load_dword v101, v103, s[0:3], 0 offen offset:4
	ds_read_b64 v[120:121], v102
	s_waitcnt vmcnt(0) lgkmcnt(0)
	v_mul_f64 v[100:101], v[100:101], v[120:121]
	s_cbranch_execz .LBB48_320
	s_branch .LBB48_321
.LBB48_319:
                                        ; implicit-def: $vgpr100_vgpr101
.LBB48_320:
	ds_read_b64 v[100:101], v102
.LBB48_321:
	s_and_saveexec_b64 s[12:13], s[6:7]
	s_cbranch_execz .LBB48_325
; %bb.322:
	v_add_u32_e32 v120, -16, v0
	s_movk_i32 s14, 0x210
	s_mov_b64 s[6:7], 0
.LBB48_323:                             ; =>This Inner Loop Header: Depth=1
	buffer_load_dword v122, v119, s[0:3], 0 offen
	buffer_load_dword v123, v119, s[0:3], 0 offen offset:4
	v_mov_b32_e32 v121, s14
	ds_read_b64 v[124:125], v121
	v_add_u32_e32 v120, -1, v120
	s_add_i32 s14, s14, 8
	v_cmp_eq_u32_e32 vcc, 0, v120
	v_add_u32_e32 v119, 8, v119
	s_or_b64 s[6:7], vcc, s[6:7]
	s_waitcnt vmcnt(0) lgkmcnt(0)
	v_fmac_f64_e32 v[100:101], v[122:123], v[124:125]
	s_andn2_b64 exec, exec, s[6:7]
	s_cbranch_execnz .LBB48_323
; %bb.324:
	s_or_b64 exec, exec, s[6:7]
.LBB48_325:
	s_or_b64 exec, exec, s[12:13]
	v_mov_b32_e32 v119, 0
	ds_read_b64 v[120:121], v119 offset:120
	s_waitcnt lgkmcnt(0)
	v_mul_f64 v[100:101], v[100:101], v[120:121]
	buffer_store_dword v101, off, s[0:3], 0 offset:124
	buffer_store_dword v100, off, s[0:3], 0 offset:120
.LBB48_326:
	s_or_b64 exec, exec, s[10:11]
	buffer_load_dword v100, off, s[0:3], 0 offset:112
	buffer_load_dword v101, off, s[0:3], 0 offset:116
	v_cmp_lt_u32_e64 s[6:7], 14, v0
	s_waitcnt vmcnt(0)
	ds_write_b64 v102, v[100:101]
	s_waitcnt lgkmcnt(0)
	; wave barrier
	s_waitcnt lgkmcnt(0)
	s_and_saveexec_b64 s[10:11], s[6:7]
	s_cbranch_execz .LBB48_336
; %bb.327:
	s_andn2_b64 vcc, exec, s[8:9]
	s_cbranch_vccnz .LBB48_329
; %bb.328:
	buffer_load_dword v100, v103, s[0:3], 0 offen
	buffer_load_dword v101, v103, s[0:3], 0 offen offset:4
	ds_read_b64 v[120:121], v102
	s_waitcnt vmcnt(0) lgkmcnt(0)
	v_mul_f64 v[100:101], v[100:101], v[120:121]
	s_cbranch_execz .LBB48_330
	s_branch .LBB48_331
.LBB48_329:
                                        ; implicit-def: $vgpr100_vgpr101
.LBB48_330:
	ds_read_b64 v[100:101], v102
.LBB48_331:
	s_and_saveexec_b64 s[12:13], s[4:5]
	s_cbranch_execz .LBB48_335
; %bb.332:
	v_add_u32_e32 v119, -15, v0
	s_movk_i32 s14, 0x208
	s_mov_b64 s[4:5], 0
.LBB48_333:                             ; =>This Inner Loop Header: Depth=1
	buffer_load_dword v120, v118, s[0:3], 0 offen
	buffer_load_dword v121, v118, s[0:3], 0 offen offset:4
	v_mov_b32_e32 v122, s14
	ds_read_b64 v[122:123], v122
	v_add_u32_e32 v119, -1, v119
	s_add_i32 s14, s14, 8
	v_cmp_eq_u32_e32 vcc, 0, v119
	v_add_u32_e32 v118, 8, v118
	s_or_b64 s[4:5], vcc, s[4:5]
	s_waitcnt vmcnt(0) lgkmcnt(0)
	v_fmac_f64_e32 v[100:101], v[120:121], v[122:123]
	s_andn2_b64 exec, exec, s[4:5]
	s_cbranch_execnz .LBB48_333
; %bb.334:
	s_or_b64 exec, exec, s[4:5]
.LBB48_335:
	s_or_b64 exec, exec, s[12:13]
	v_mov_b32_e32 v118, 0
	ds_read_b64 v[118:119], v118 offset:112
	s_waitcnt lgkmcnt(0)
	v_mul_f64 v[100:101], v[100:101], v[118:119]
	buffer_store_dword v101, off, s[0:3], 0 offset:116
	buffer_store_dword v100, off, s[0:3], 0 offset:112
.LBB48_336:
	;; [unrolled: 58-line block ×15, first 2 shown]
	s_or_b64 exec, exec, s[10:11]
	buffer_load_dword v100, off, s[0:3], 0
	buffer_load_dword v101, off, s[0:3], 0 offset:4
	v_cmp_ne_u32_e32 vcc, 0, v0
	s_waitcnt vmcnt(0)
	ds_write_b64 v102, v[100:101]
	s_waitcnt lgkmcnt(0)
	; wave barrier
	s_waitcnt lgkmcnt(0)
	s_and_saveexec_b64 s[6:7], vcc
	s_cbranch_execz .LBB48_476
; %bb.467:
	s_andn2_b64 vcc, exec, s[8:9]
	s_cbranch_vccnz .LBB48_469
; %bb.468:
	buffer_load_dword v100, v103, s[0:3], 0 offen
	buffer_load_dword v101, v103, s[0:3], 0 offen offset:4
	ds_read_b64 v[106:107], v102
	s_waitcnt vmcnt(0) lgkmcnt(0)
	v_mul_f64 v[100:101], v[100:101], v[106:107]
	s_cbranch_execz .LBB48_470
	s_branch .LBB48_471
.LBB48_469:
                                        ; implicit-def: $vgpr100_vgpr101
.LBB48_470:
	ds_read_b64 v[100:101], v102
.LBB48_471:
	s_and_saveexec_b64 s[10:11], s[4:5]
	s_cbranch_execz .LBB48_475
; %bb.472:
	v_add_u32_e32 v105, -1, v0
	s_movk_i32 s12, 0x198
	s_mov_b64 s[4:5], 0
.LBB48_473:                             ; =>This Inner Loop Header: Depth=1
	buffer_load_dword v106, v104, s[0:3], 0 offen
	buffer_load_dword v107, v104, s[0:3], 0 offen offset:4
	v_mov_b32_e32 v108, s12
	ds_read_b64 v[108:109], v108
	v_add_u32_e32 v105, -1, v105
	s_add_i32 s12, s12, 8
	v_cmp_eq_u32_e32 vcc, 0, v105
	v_add_u32_e32 v104, 8, v104
	s_or_b64 s[4:5], vcc, s[4:5]
	s_waitcnt vmcnt(0) lgkmcnt(0)
	v_fmac_f64_e32 v[100:101], v[106:107], v[108:109]
	s_andn2_b64 exec, exec, s[4:5]
	s_cbranch_execnz .LBB48_473
; %bb.474:
	s_or_b64 exec, exec, s[4:5]
.LBB48_475:
	s_or_b64 exec, exec, s[10:11]
	v_mov_b32_e32 v104, 0
	ds_read_b64 v[104:105], v104
	s_waitcnt lgkmcnt(0)
	v_mul_f64 v[100:101], v[100:101], v[104:105]
	buffer_store_dword v101, off, s[0:3], 0 offset:4
	buffer_store_dword v100, off, s[0:3], 0
.LBB48_476:
	s_or_b64 exec, exec, s[6:7]
	s_mov_b64 s[4:5], 0
.LBB48_477:
	s_and_b64 vcc, exec, s[4:5]
	s_cbranch_vccz .LBB48_951
; %bb.478:
	buffer_load_dword v100, off, s[0:3], 0 offset:8
	buffer_load_dword v101, off, s[0:3], 0 offset:12
	v_cmp_eq_u32_e64 s[6:7], 0, v0
	s_waitcnt vmcnt(0)
	ds_write_b64 v102, v[100:101]
	s_waitcnt lgkmcnt(0)
	; wave barrier
	s_waitcnt lgkmcnt(0)
	s_and_saveexec_b64 s[4:5], s[6:7]
	s_cbranch_execz .LBB48_484
; %bb.479:
	s_and_b64 vcc, exec, s[8:9]
	s_cbranch_vccz .LBB48_481
; %bb.480:
	buffer_load_dword v100, v103, s[0:3], 0 offen
	buffer_load_dword v101, v103, s[0:3], 0 offen offset:4
	ds_read_b64 v[104:105], v102
	s_waitcnt vmcnt(0) lgkmcnt(0)
	v_mul_f64 v[100:101], v[100:101], v[104:105]
	s_cbranch_execz .LBB48_482
	s_branch .LBB48_483
.LBB48_481:
                                        ; implicit-def: $vgpr100_vgpr101
.LBB48_482:
	ds_read_b64 v[100:101], v102
.LBB48_483:
	v_mov_b32_e32 v104, 0
	ds_read_b64 v[104:105], v104 offset:8
	s_waitcnt lgkmcnt(0)
	v_mul_f64 v[100:101], v[100:101], v[104:105]
	buffer_store_dword v101, off, s[0:3], 0 offset:12
	buffer_store_dword v100, off, s[0:3], 0 offset:8
.LBB48_484:
	s_or_b64 exec, exec, s[4:5]
	buffer_load_dword v100, off, s[0:3], 0 offset:16
	buffer_load_dword v101, off, s[0:3], 0 offset:20
	v_cndmask_b32_e64 v104, 0, 1, s[8:9]
	v_cmp_gt_u32_e32 vcc, 2, v0
	v_cmp_ne_u32_e64 s[4:5], 1, v104
	s_waitcnt vmcnt(0)
	ds_write_b64 v102, v[100:101]
	s_waitcnt lgkmcnt(0)
	; wave barrier
	s_waitcnt lgkmcnt(0)
	s_and_saveexec_b64 s[8:9], vcc
	s_cbranch_execz .LBB48_492
; %bb.485:
	s_and_b64 vcc, exec, s[4:5]
	s_cbranch_vccnz .LBB48_487
; %bb.486:
	buffer_load_dword v100, v103, s[0:3], 0 offen
	buffer_load_dword v101, v103, s[0:3], 0 offen offset:4
	ds_read_b64 v[104:105], v102
	s_waitcnt vmcnt(0) lgkmcnt(0)
	v_mul_f64 v[100:101], v[100:101], v[104:105]
	s_cbranch_execz .LBB48_488
	s_branch .LBB48_489
.LBB48_487:
                                        ; implicit-def: $vgpr100_vgpr101
.LBB48_488:
	ds_read_b64 v[100:101], v102
.LBB48_489:
	s_and_saveexec_b64 s[10:11], s[6:7]
	s_cbranch_execz .LBB48_491
; %bb.490:
	buffer_load_dword v104, v103, s[0:3], 0 offen offset:8
	buffer_load_dword v105, v103, s[0:3], 0 offen offset:12
	ds_read_b64 v[106:107], v102 offset:8
	s_waitcnt vmcnt(0) lgkmcnt(0)
	v_fmac_f64_e32 v[100:101], v[104:105], v[106:107]
.LBB48_491:
	s_or_b64 exec, exec, s[10:11]
	v_mov_b32_e32 v104, 0
	ds_read_b64 v[104:105], v104 offset:16
	s_waitcnt lgkmcnt(0)
	v_mul_f64 v[100:101], v[100:101], v[104:105]
	buffer_store_dword v101, off, s[0:3], 0 offset:20
	buffer_store_dword v100, off, s[0:3], 0 offset:16
.LBB48_492:
	s_or_b64 exec, exec, s[8:9]
	buffer_load_dword v100, off, s[0:3], 0 offset:24
	buffer_load_dword v101, off, s[0:3], 0 offset:28
	v_cmp_gt_u32_e32 vcc, 3, v0
	s_waitcnt vmcnt(0)
	ds_write_b64 v102, v[100:101]
	s_waitcnt lgkmcnt(0)
	; wave barrier
	s_waitcnt lgkmcnt(0)
	s_and_saveexec_b64 s[8:9], vcc
	s_cbranch_execz .LBB48_500
; %bb.493:
	s_and_b64 vcc, exec, s[4:5]
	s_cbranch_vccnz .LBB48_495
; %bb.494:
	buffer_load_dword v100, v103, s[0:3], 0 offen
	buffer_load_dword v101, v103, s[0:3], 0 offen offset:4
	ds_read_b64 v[104:105], v102
	s_waitcnt vmcnt(0) lgkmcnt(0)
	v_mul_f64 v[100:101], v[100:101], v[104:105]
	s_cbranch_execz .LBB48_496
	s_branch .LBB48_497
.LBB48_495:
                                        ; implicit-def: $vgpr100_vgpr101
.LBB48_496:
	ds_read_b64 v[100:101], v102
.LBB48_497:
	v_cmp_ne_u32_e32 vcc, 2, v0
	s_and_saveexec_b64 s[10:11], vcc
	s_cbranch_execz .LBB48_499
; %bb.498:
	buffer_load_dword v105, v103, s[0:3], 0 offen offset:12
	buffer_load_dword v106, off, s[0:3], 0 offset:16
	buffer_load_dword v104, v103, s[0:3], 0 offen offset:8
	buffer_load_dword v107, off, s[0:3], 0 offset:20
	v_mov_b32_e32 v110, 0
	ds_read_b64 v[108:109], v102 offset:8
	ds_read_b64 v[110:111], v110 offset:416
	s_waitcnt vmcnt(1) lgkmcnt(1)
	v_fmac_f64_e32 v[100:101], v[104:105], v[108:109]
	s_waitcnt vmcnt(0) lgkmcnt(0)
	v_fma_f64 v[104:105], v[106:107], v[110:111], v[100:101]
	v_cndmask_b32_e64 v101, v101, v105, s[6:7]
	v_cndmask_b32_e64 v100, v100, v104, s[6:7]
.LBB48_499:
	s_or_b64 exec, exec, s[10:11]
	v_mov_b32_e32 v104, 0
	ds_read_b64 v[104:105], v104 offset:24
	s_waitcnt lgkmcnt(0)
	v_mul_f64 v[100:101], v[100:101], v[104:105]
	buffer_store_dword v101, off, s[0:3], 0 offset:28
	buffer_store_dword v100, off, s[0:3], 0 offset:24
.LBB48_500:
	s_or_b64 exec, exec, s[8:9]
	buffer_load_dword v100, off, s[0:3], 0 offset:32
	buffer_load_dword v101, off, s[0:3], 0 offset:36
	v_cmp_gt_u32_e32 vcc, 4, v0
	s_waitcnt vmcnt(0)
	ds_write_b64 v102, v[100:101]
	s_waitcnt lgkmcnt(0)
	; wave barrier
	s_waitcnt lgkmcnt(0)
	s_and_saveexec_b64 s[6:7], vcc
	s_cbranch_execz .LBB48_510
; %bb.501:
	s_and_b64 vcc, exec, s[4:5]
	s_cbranch_vccnz .LBB48_503
; %bb.502:
	buffer_load_dword v100, v103, s[0:3], 0 offen
	buffer_load_dword v101, v103, s[0:3], 0 offen offset:4
	ds_read_b64 v[104:105], v102
	s_waitcnt vmcnt(0) lgkmcnt(0)
	v_mul_f64 v[100:101], v[100:101], v[104:105]
	s_cbranch_execz .LBB48_504
	s_branch .LBB48_505
.LBB48_503:
                                        ; implicit-def: $vgpr100_vgpr101
.LBB48_504:
	ds_read_b64 v[100:101], v102
.LBB48_505:
	v_cmp_ne_u32_e32 vcc, 3, v0
	s_and_saveexec_b64 s[8:9], vcc
	s_cbranch_execz .LBB48_509
; %bb.506:
	v_mov_b32_e32 v105, 0
	v_add_u32_e32 v104, 0x198, v1
	v_add3_u32 v105, v1, v105, 8
	s_mov_b64 s[10:11], 0
	v_mov_b32_e32 v106, v0
.LBB48_507:                             ; =>This Inner Loop Header: Depth=1
	buffer_load_dword v108, v105, s[0:3], 0 offen
	buffer_load_dword v109, v105, s[0:3], 0 offen offset:4
	ds_read_b64 v[110:111], v104
	v_add_u32_e32 v106, 1, v106
	v_cmp_lt_u32_e32 vcc, 2, v106
	v_add_u32_e32 v104, 8, v104
	v_add_u32_e32 v105, 8, v105
	s_or_b64 s[10:11], vcc, s[10:11]
	s_waitcnt vmcnt(0) lgkmcnt(0)
	v_fmac_f64_e32 v[100:101], v[108:109], v[110:111]
	s_andn2_b64 exec, exec, s[10:11]
	s_cbranch_execnz .LBB48_507
; %bb.508:
	s_or_b64 exec, exec, s[10:11]
.LBB48_509:
	s_or_b64 exec, exec, s[8:9]
	v_mov_b32_e32 v104, 0
	ds_read_b64 v[104:105], v104 offset:32
	s_waitcnt lgkmcnt(0)
	v_mul_f64 v[100:101], v[100:101], v[104:105]
	buffer_store_dword v101, off, s[0:3], 0 offset:36
	buffer_store_dword v100, off, s[0:3], 0 offset:32
.LBB48_510:
	s_or_b64 exec, exec, s[6:7]
	buffer_load_dword v100, off, s[0:3], 0 offset:40
	buffer_load_dword v101, off, s[0:3], 0 offset:44
	v_cmp_gt_u32_e32 vcc, 5, v0
	s_waitcnt vmcnt(0)
	ds_write_b64 v102, v[100:101]
	s_waitcnt lgkmcnt(0)
	; wave barrier
	s_waitcnt lgkmcnt(0)
	s_and_saveexec_b64 s[6:7], vcc
	s_cbranch_execz .LBB48_520
; %bb.511:
	s_and_b64 vcc, exec, s[4:5]
	s_cbranch_vccnz .LBB48_513
; %bb.512:
	buffer_load_dword v100, v103, s[0:3], 0 offen
	buffer_load_dword v101, v103, s[0:3], 0 offen offset:4
	ds_read_b64 v[104:105], v102
	s_waitcnt vmcnt(0) lgkmcnt(0)
	v_mul_f64 v[100:101], v[100:101], v[104:105]
	s_cbranch_execz .LBB48_514
	s_branch .LBB48_515
.LBB48_513:
                                        ; implicit-def: $vgpr100_vgpr101
.LBB48_514:
	ds_read_b64 v[100:101], v102
.LBB48_515:
	v_cmp_ne_u32_e32 vcc, 4, v0
	s_and_saveexec_b64 s[8:9], vcc
	s_cbranch_execz .LBB48_519
; %bb.516:
	v_mov_b32_e32 v105, 0
	v_add_u32_e32 v104, 0x198, v1
	v_add3_u32 v105, v1, v105, 8
	s_mov_b64 s[10:11], 0
	v_mov_b32_e32 v106, v0
.LBB48_517:                             ; =>This Inner Loop Header: Depth=1
	buffer_load_dword v108, v105, s[0:3], 0 offen
	buffer_load_dword v109, v105, s[0:3], 0 offen offset:4
	ds_read_b64 v[110:111], v104
	v_add_u32_e32 v106, 1, v106
	v_cmp_lt_u32_e32 vcc, 3, v106
	v_add_u32_e32 v104, 8, v104
	v_add_u32_e32 v105, 8, v105
	s_or_b64 s[10:11], vcc, s[10:11]
	s_waitcnt vmcnt(0) lgkmcnt(0)
	v_fmac_f64_e32 v[100:101], v[108:109], v[110:111]
	s_andn2_b64 exec, exec, s[10:11]
	s_cbranch_execnz .LBB48_517
; %bb.518:
	s_or_b64 exec, exec, s[10:11]
.LBB48_519:
	s_or_b64 exec, exec, s[8:9]
	v_mov_b32_e32 v104, 0
	ds_read_b64 v[104:105], v104 offset:40
	s_waitcnt lgkmcnt(0)
	v_mul_f64 v[100:101], v[100:101], v[104:105]
	buffer_store_dword v101, off, s[0:3], 0 offset:44
	buffer_store_dword v100, off, s[0:3], 0 offset:40
.LBB48_520:
	;; [unrolled: 60-line block ×43, first 2 shown]
	s_or_b64 exec, exec, s[6:7]
	buffer_load_dword v100, off, s[0:3], 0 offset:376
	buffer_load_dword v101, off, s[0:3], 0 offset:380
	v_cmp_gt_u32_e64 s[6:7], 47, v0
	s_waitcnt vmcnt(0)
	ds_write_b64 v102, v[100:101]
	s_waitcnt lgkmcnt(0)
	; wave barrier
	s_waitcnt lgkmcnt(0)
	s_and_saveexec_b64 s[8:9], s[6:7]
	s_cbranch_execz .LBB48_940
; %bb.931:
	s_and_b64 vcc, exec, s[4:5]
	s_cbranch_vccnz .LBB48_933
; %bb.932:
	buffer_load_dword v100, v103, s[0:3], 0 offen
	buffer_load_dword v101, v103, s[0:3], 0 offen offset:4
	ds_read_b64 v[104:105], v102
	s_waitcnt vmcnt(0) lgkmcnt(0)
	v_mul_f64 v[100:101], v[100:101], v[104:105]
	s_cbranch_execz .LBB48_934
	s_branch .LBB48_935
.LBB48_933:
                                        ; implicit-def: $vgpr100_vgpr101
.LBB48_934:
	ds_read_b64 v[100:101], v102
.LBB48_935:
	v_cmp_ne_u32_e32 vcc, 46, v0
	s_and_saveexec_b64 s[10:11], vcc
	s_cbranch_execz .LBB48_939
; %bb.936:
	v_mov_b32_e32 v105, 0
	v_add_u32_e32 v104, 0x198, v1
	v_add3_u32 v105, v1, v105, 8
	s_mov_b64 s[12:13], 0
	v_mov_b32_e32 v106, v0
.LBB48_937:                             ; =>This Inner Loop Header: Depth=1
	buffer_load_dword v108, v105, s[0:3], 0 offen
	buffer_load_dword v109, v105, s[0:3], 0 offen offset:4
	ds_read_b64 v[110:111], v104
	v_add_u32_e32 v106, 1, v106
	v_cmp_lt_u32_e32 vcc, 45, v106
	v_add_u32_e32 v104, 8, v104
	v_add_u32_e32 v105, 8, v105
	s_or_b64 s[12:13], vcc, s[12:13]
	s_waitcnt vmcnt(0) lgkmcnt(0)
	v_fmac_f64_e32 v[100:101], v[108:109], v[110:111]
	s_andn2_b64 exec, exec, s[12:13]
	s_cbranch_execnz .LBB48_937
; %bb.938:
	s_or_b64 exec, exec, s[12:13]
.LBB48_939:
	s_or_b64 exec, exec, s[10:11]
	v_mov_b32_e32 v104, 0
	ds_read_b64 v[104:105], v104 offset:376
	s_waitcnt lgkmcnt(0)
	v_mul_f64 v[100:101], v[100:101], v[104:105]
	buffer_store_dword v101, off, s[0:3], 0 offset:380
	buffer_store_dword v100, off, s[0:3], 0 offset:376
.LBB48_940:
	s_or_b64 exec, exec, s[8:9]
	buffer_load_dword v100, off, s[0:3], 0 offset:384
	buffer_load_dword v101, off, s[0:3], 0 offset:388
	v_cmp_ne_u32_e32 vcc, 48, v0
	s_waitcnt vmcnt(0)
	ds_write_b64 v102, v[100:101]
	s_waitcnt lgkmcnt(0)
	; wave barrier
	s_waitcnt lgkmcnt(0)
	s_and_saveexec_b64 s[8:9], vcc
	s_cbranch_execz .LBB48_950
; %bb.941:
	s_and_b64 vcc, exec, s[4:5]
	s_cbranch_vccnz .LBB48_943
; %bb.942:
	buffer_load_dword v100, v103, s[0:3], 0 offen
	buffer_load_dword v101, v103, s[0:3], 0 offen offset:4
	ds_read_b64 v[104:105], v102
	s_waitcnt vmcnt(0) lgkmcnt(0)
	v_mul_f64 v[100:101], v[100:101], v[104:105]
	s_cbranch_execz .LBB48_944
	s_branch .LBB48_945
.LBB48_943:
                                        ; implicit-def: $vgpr100_vgpr101
.LBB48_944:
	ds_read_b64 v[100:101], v102
.LBB48_945:
	s_and_saveexec_b64 s[4:5], s[6:7]
	s_cbranch_execz .LBB48_949
; %bb.946:
	v_mov_b32_e32 v103, 0
	v_add_u32_e32 v102, 0x198, v1
	v_add3_u32 v1, v1, v103, 8
	s_mov_b64 s[6:7], 0
.LBB48_947:                             ; =>This Inner Loop Header: Depth=1
	buffer_load_dword v104, v1, s[0:3], 0 offen
	buffer_load_dword v105, v1, s[0:3], 0 offen offset:4
	ds_read_b64 v[106:107], v102
	v_add_u32_e32 v0, 1, v0
	v_cmp_lt_u32_e32 vcc, 46, v0
	v_add_u32_e32 v102, 8, v102
	v_add_u32_e32 v1, 8, v1
	s_or_b64 s[6:7], vcc, s[6:7]
	s_waitcnt vmcnt(0) lgkmcnt(0)
	v_fmac_f64_e32 v[100:101], v[104:105], v[106:107]
	s_andn2_b64 exec, exec, s[6:7]
	s_cbranch_execnz .LBB48_947
; %bb.948:
	s_or_b64 exec, exec, s[6:7]
.LBB48_949:
	s_or_b64 exec, exec, s[4:5]
	v_mov_b32_e32 v0, 0
	ds_read_b64 v[0:1], v0 offset:384
	s_waitcnt lgkmcnt(0)
	v_mul_f64 v[0:1], v[100:101], v[0:1]
	buffer_store_dword v1, off, s[0:3], 0 offset:388
	buffer_store_dword v0, off, s[0:3], 0 offset:384
.LBB48_950:
	s_or_b64 exec, exec, s[8:9]
.LBB48_951:
	buffer_load_dword v0, off, s[0:3], 0
	buffer_load_dword v1, off, s[0:3], 0 offset:4
	buffer_load_dword v100, off, s[0:3], 0 offset:8
	;; [unrolled: 1-line block ×15, first 2 shown]
	s_waitcnt vmcnt(14)
	global_store_dwordx2 v[96:97], v[0:1], off
	s_waitcnt vmcnt(13)
	global_store_dwordx2 v[98:99], v[100:101], off
	s_waitcnt vmcnt(12)
	global_store_dwordx2 v[2:3], v[102:103], off
	s_waitcnt vmcnt(11)
	global_store_dwordx2 v[4:5], v[104:105], off
	s_waitcnt vmcnt(10)
	global_store_dwordx2 v[6:7], v[106:107], off
	s_waitcnt vmcnt(9)
	global_store_dwordx2 v[8:9], v[108:109], off
	s_waitcnt vmcnt(8)
	global_store_dwordx2 v[10:11], v[110:111], off
	s_waitcnt vmcnt(7)
	global_store_dwordx2 v[14:15], v[112:113], off
	buffer_load_dword v1, off, s[0:3], 0 offset:68
	buffer_load_dword v0, off, s[0:3], 0 offset:64
	s_waitcnt vmcnt(0)
	global_store_dwordx2 v[20:21], v[0:1], off
	buffer_load_dword v0, off, s[0:3], 0 offset:72
	s_nop 0
	buffer_load_dword v1, off, s[0:3], 0 offset:76
	s_waitcnt vmcnt(0)
	global_store_dwordx2 v[12:13], v[0:1], off
	buffer_load_dword v0, off, s[0:3], 0 offset:80
	s_nop 0
	;; [unrolled: 5-line block ×40, first 2 shown]
	buffer_load_dword v1, off, s[0:3], 0 offset:388
	s_waitcnt vmcnt(0)
	global_store_dwordx2 v[80:81], v[0:1], off
.LBB48_952:
	s_endpgm
	.section	.rodata,"a",@progbits
	.p2align	6, 0x0
	.amdhsa_kernel _ZN9rocsolver6v33100L18trti2_kernel_smallILi49EdPdEEv13rocblas_fill_17rocblas_diagonal_T1_iil
		.amdhsa_group_segment_fixed_size 792
		.amdhsa_private_segment_fixed_size 400
		.amdhsa_kernarg_size 32
		.amdhsa_user_sgpr_count 8
		.amdhsa_user_sgpr_private_segment_buffer 1
		.amdhsa_user_sgpr_dispatch_ptr 0
		.amdhsa_user_sgpr_queue_ptr 0
		.amdhsa_user_sgpr_kernarg_segment_ptr 1
		.amdhsa_user_sgpr_dispatch_id 0
		.amdhsa_user_sgpr_flat_scratch_init 1
		.amdhsa_user_sgpr_kernarg_preload_length 0
		.amdhsa_user_sgpr_kernarg_preload_offset 0
		.amdhsa_user_sgpr_private_segment_size 0
		.amdhsa_uses_dynamic_stack 0
		.amdhsa_system_sgpr_private_segment_wavefront_offset 1
		.amdhsa_system_sgpr_workgroup_id_x 1
		.amdhsa_system_sgpr_workgroup_id_y 0
		.amdhsa_system_sgpr_workgroup_id_z 0
		.amdhsa_system_sgpr_workgroup_info 0
		.amdhsa_system_vgpr_workitem_id 0
		.amdhsa_next_free_vgpr 164
		.amdhsa_next_free_sgpr 20
		.amdhsa_accum_offset 164
		.amdhsa_reserve_vcc 1
		.amdhsa_reserve_flat_scratch 0
		.amdhsa_float_round_mode_32 0
		.amdhsa_float_round_mode_16_64 0
		.amdhsa_float_denorm_mode_32 3
		.amdhsa_float_denorm_mode_16_64 3
		.amdhsa_dx10_clamp 1
		.amdhsa_ieee_mode 1
		.amdhsa_fp16_overflow 0
		.amdhsa_tg_split 0
		.amdhsa_exception_fp_ieee_invalid_op 0
		.amdhsa_exception_fp_denorm_src 0
		.amdhsa_exception_fp_ieee_div_zero 0
		.amdhsa_exception_fp_ieee_overflow 0
		.amdhsa_exception_fp_ieee_underflow 0
		.amdhsa_exception_fp_ieee_inexact 0
		.amdhsa_exception_int_div_zero 0
	.end_amdhsa_kernel
	.section	.text._ZN9rocsolver6v33100L18trti2_kernel_smallILi49EdPdEEv13rocblas_fill_17rocblas_diagonal_T1_iil,"axG",@progbits,_ZN9rocsolver6v33100L18trti2_kernel_smallILi49EdPdEEv13rocblas_fill_17rocblas_diagonal_T1_iil,comdat
.Lfunc_end48:
	.size	_ZN9rocsolver6v33100L18trti2_kernel_smallILi49EdPdEEv13rocblas_fill_17rocblas_diagonal_T1_iil, .Lfunc_end48-_ZN9rocsolver6v33100L18trti2_kernel_smallILi49EdPdEEv13rocblas_fill_17rocblas_diagonal_T1_iil
                                        ; -- End function
	.section	.AMDGPU.csdata,"",@progbits
; Kernel info:
; codeLenInByte = 28752
; NumSgprs: 24
; NumVgprs: 164
; NumAgprs: 0
; TotalNumVgprs: 164
; ScratchSize: 400
; MemoryBound: 0
; FloatMode: 240
; IeeeMode: 1
; LDSByteSize: 792 bytes/workgroup (compile time only)
; SGPRBlocks: 2
; VGPRBlocks: 20
; NumSGPRsForWavesPerEU: 24
; NumVGPRsForWavesPerEU: 164
; AccumOffset: 164
; Occupancy: 3
; WaveLimiterHint : 0
; COMPUTE_PGM_RSRC2:SCRATCH_EN: 1
; COMPUTE_PGM_RSRC2:USER_SGPR: 8
; COMPUTE_PGM_RSRC2:TRAP_HANDLER: 0
; COMPUTE_PGM_RSRC2:TGID_X_EN: 1
; COMPUTE_PGM_RSRC2:TGID_Y_EN: 0
; COMPUTE_PGM_RSRC2:TGID_Z_EN: 0
; COMPUTE_PGM_RSRC2:TIDIG_COMP_CNT: 0
; COMPUTE_PGM_RSRC3_GFX90A:ACCUM_OFFSET: 40
; COMPUTE_PGM_RSRC3_GFX90A:TG_SPLIT: 0
	.section	.text._ZN9rocsolver6v33100L18trti2_kernel_smallILi50EdPdEEv13rocblas_fill_17rocblas_diagonal_T1_iil,"axG",@progbits,_ZN9rocsolver6v33100L18trti2_kernel_smallILi50EdPdEEv13rocblas_fill_17rocblas_diagonal_T1_iil,comdat
	.globl	_ZN9rocsolver6v33100L18trti2_kernel_smallILi50EdPdEEv13rocblas_fill_17rocblas_diagonal_T1_iil ; -- Begin function _ZN9rocsolver6v33100L18trti2_kernel_smallILi50EdPdEEv13rocblas_fill_17rocblas_diagonal_T1_iil
	.p2align	8
	.type	_ZN9rocsolver6v33100L18trti2_kernel_smallILi50EdPdEEv13rocblas_fill_17rocblas_diagonal_T1_iil,@function
_ZN9rocsolver6v33100L18trti2_kernel_smallILi50EdPdEEv13rocblas_fill_17rocblas_diagonal_T1_iil: ; @_ZN9rocsolver6v33100L18trti2_kernel_smallILi50EdPdEEv13rocblas_fill_17rocblas_diagonal_T1_iil
; %bb.0:
	s_add_u32 s0, s0, s9
	s_addc_u32 s1, s1, 0
	v_cmp_gt_u32_e32 vcc, 50, v0
	s_and_saveexec_b64 s[6:7], vcc
	s_cbranch_execz .LBB49_972
; %bb.1:
	s_load_dwordx8 s[12:19], s[4:5], 0x0
	s_ashr_i32 s6, s8, 31
	s_waitcnt lgkmcnt(0)
	s_mul_i32 s7, s8, s19
	s_mul_hi_u32 s9, s8, s18
	s_add_i32 s7, s9, s7
	s_mul_i32 s6, s6, s18
	s_add_i32 s7, s7, s6
	s_mul_i32 s6, s8, s18
	s_ashr_i32 s5, s16, 31
	s_lshl_b64 s[6:7], s[6:7], 3
	s_mov_b32 s4, s16
	s_add_u32 s6, s14, s6
	s_addc_u32 s7, s15, s7
	s_lshl_b64 s[4:5], s[4:5], 3
	s_add_u32 s4, s6, s4
	s_addc_u32 s5, s7, s5
	s_add_i32 s6, s17, s17
	v_add_u32_e32 v4, s6, v0
	v_ashrrev_i32_e32 v5, 31, v4
	v_lshlrev_b64 v[2:3], 3, v[4:5]
	v_add_u32_e32 v6, s17, v4
	v_mov_b32_e32 v1, s5
	v_add_co_u32_e32 v2, vcc, s4, v2
	v_ashrrev_i32_e32 v7, 31, v6
	v_addc_co_u32_e32 v3, vcc, v1, v3, vcc
	v_lshlrev_b64 v[4:5], 3, v[6:7]
	v_add_u32_e32 v8, s17, v6
	v_add_co_u32_e32 v4, vcc, s4, v4
	v_ashrrev_i32_e32 v9, 31, v8
	v_addc_co_u32_e32 v5, vcc, v1, v5, vcc
	v_lshlrev_b64 v[6:7], 3, v[8:9]
	v_add_u32_e32 v10, s17, v8
	;; [unrolled: 5-line block ×5, first 2 shown]
	v_add_co_u32_e32 v14, vcc, s4, v14
	v_ashrrev_i32_e32 v13, 31, v12
	v_addc_co_u32_e32 v15, vcc, v1, v15, vcc
	v_lshlrev_b64 v[16:17], 3, v[12:13]
	v_add_co_u32_e32 v20, vcc, s4, v16
	v_add_u32_e32 v16, s17, v12
	v_addc_co_u32_e32 v21, vcc, v1, v17, vcc
	v_ashrrev_i32_e32 v17, 31, v16
	v_lshlrev_b64 v[12:13], 3, v[16:17]
	v_add_u32_e32 v18, s17, v16
	v_add_co_u32_e32 v12, vcc, s4, v12
	v_ashrrev_i32_e32 v19, 31, v18
	v_addc_co_u32_e32 v13, vcc, v1, v13, vcc
	v_lshlrev_b64 v[16:17], 3, v[18:19]
	v_add_u32_e32 v22, s17, v18
	v_add_co_u32_e32 v16, vcc, s4, v16
	v_ashrrev_i32_e32 v23, 31, v22
	v_addc_co_u32_e32 v17, vcc, v1, v17, vcc
	;; [unrolled: 5-line block ×32, first 2 shown]
	v_lshlrev_b64 v[80:81], 3, v[82:83]
	v_add_co_u32_e32 v80, vcc, s4, v80
	v_add_u32_e32 v82, s17, v82
	v_addc_co_u32_e32 v81, vcc, v1, v81, vcc
	v_ashrrev_i32_e32 v83, 31, v82
	v_lshlrev_b32_e32 v1, 3, v0
	v_lshlrev_b64 v[84:85], 3, v[82:83]
	v_mov_b32_e32 v83, s5
	v_add_co_u32_e32 v98, vcc, s4, v1
	s_ashr_i32 s7, s17, 31
	s_mov_b32 s6, s17
	v_addc_co_u32_e32 v99, vcc, 0, v83, vcc
	s_lshl_b64 s[6:7], s[6:7], 3
	v_mov_b32_e32 v83, s7
	v_add_co_u32_e32 v100, vcc, s6, v98
	v_addc_co_u32_e32 v101, vcc, v99, v83, vcc
	global_load_dwordx2 v[102:103], v1, s[4:5]
	global_load_dwordx2 v[104:105], v[100:101], off
	global_load_dwordx2 v[106:107], v[2:3], off
	;; [unrolled: 1-line block ×18, first 2 shown]
	v_add_u32_e32 v82, s17, v82
	v_mov_b32_e32 v86, s5
	v_add_co_u32_e32 v84, vcc, s4, v84
	v_ashrrev_i32_e32 v83, 31, v82
	v_addc_co_u32_e32 v85, vcc, v86, v85, vcc
	v_lshlrev_b64 v[86:87], 3, v[82:83]
	v_add_u32_e32 v82, s17, v82
	v_mov_b32_e32 v88, s5
	v_add_co_u32_e32 v86, vcc, s4, v86
	v_ashrrev_i32_e32 v83, 31, v82
	v_addc_co_u32_e32 v87, vcc, v88, v87, vcc
	v_lshlrev_b64 v[88:89], 3, v[82:83]
	;; [unrolled: 6-line block ×7, first 2 shown]
	v_add_co_u32_e32 v82, vcc, s4, v82
	v_addc_co_u32_e32 v83, vcc, v140, v83, vcc
	global_load_dwordx2 v[140:141], v[82:83], off
	s_waitcnt vmcnt(19)
	buffer_store_dword v103, off, s[0:3], 0 offset:4
	buffer_store_dword v102, off, s[0:3], 0
	s_waitcnt vmcnt(20)
	buffer_store_dword v105, off, s[0:3], 0 offset:12
	buffer_store_dword v104, off, s[0:3], 0 offset:8
	s_waitcnt vmcnt(21)
	buffer_store_dword v107, off, s[0:3], 0 offset:20
	buffer_store_dword v106, off, s[0:3], 0 offset:16
	;; [unrolled: 3-line block ×3, first 2 shown]
	s_waitcnt vmcnt(23)
	buffer_store_dword v111, off, s[0:3], 0 offset:36
	global_load_dwordx2 v[102:103], v[36:37], off
	global_load_dwordx2 v[104:105], v[38:39], off
	;; [unrolled: 1-line block ×15, first 2 shown]
	s_cmpk_lg_i32 s13, 0x84
	buffer_store_dword v110, off, s[0:3], 0 offset:32
	global_load_dwordx2 v[110:111], v[44:45], off
	s_cselect_b64 s[8:9], -1, 0
	s_waitcnt vmcnt(40)
	buffer_store_dword v113, off, s[0:3], 0 offset:44
	buffer_store_dword v112, off, s[0:3], 0 offset:40
	global_load_dwordx2 v[112:113], v[46:47], off
	s_cmpk_eq_i32 s13, 0x84
	s_waitcnt vmcnt(42)
	buffer_store_dword v115, off, s[0:3], 0 offset:52
	buffer_store_dword v114, off, s[0:3], 0 offset:48
	global_load_dwordx2 v[114:115], v[48:49], off
	s_waitcnt vmcnt(44)
	buffer_store_dword v117, off, s[0:3], 0 offset:60
	buffer_store_dword v116, off, s[0:3], 0 offset:56
	global_load_dwordx2 v[116:117], v[50:51], off
	;; [unrolled: 4-line block ×12, first 2 shown]
	s_nop 0
	buffer_store_dword v138, off, s[0:3], 0 offset:144
	buffer_store_dword v139, off, s[0:3], 0 offset:148
	global_load_dwordx2 v[138:139], v[96:97], off
	s_waitcnt vmcnt(58)
	buffer_store_dword v103, off, s[0:3], 0 offset:156
	buffer_store_dword v102, off, s[0:3], 0 offset:152
	s_waitcnt vmcnt(59)
	buffer_store_dword v105, off, s[0:3], 0 offset:164
	buffer_store_dword v104, off, s[0:3], 0 offset:160
	;; [unrolled: 3-line block ×8, first 2 shown]
	buffer_store_dword v142, off, s[0:3], 0 offset:216
	buffer_store_dword v143, off, s[0:3], 0 offset:220
	s_waitcnt vmcnt(48)
	buffer_store_dword v118, off, s[0:3], 0 offset:224
	buffer_store_dword v119, off, s[0:3], 0 offset:228
	buffer_store_dword v144, off, s[0:3], 0 offset:232
	buffer_store_dword v145, off, s[0:3], 0 offset:236
	s_waitcnt vmcnt(49)
	buffer_store_dword v120, off, s[0:3], 0 offset:240
	buffer_store_dword v121, off, s[0:3], 0 offset:244
	;; [unrolled: 5-line block ×11, first 2 shown]
	buffer_store_dword v141, off, s[0:3], 0 offset:396
	buffer_store_dword v140, off, s[0:3], 0 offset:392
	v_mov_b32_e32 v102, 0
	v_mov_b32_e32 v152, 0
	;; [unrolled: 1-line block ×3, first 2 shown]
	s_cbranch_scc1 .LBB49_3
; %bb.2:
	v_lshl_add_u32 v112, v0, 3, v152
	buffer_load_dword v102, v112, s[0:3], 0 offen
	buffer_load_dword v103, v112, s[0:3], 0 offen offset:4
	s_waitcnt vmcnt(0)
	v_div_scale_f64 v[104:105], s[4:5], v[102:103], v[102:103], 1.0
	v_rcp_f64_e32 v[106:107], v[104:105]
	v_div_scale_f64 v[108:109], vcc, 1.0, v[102:103], 1.0
	v_fma_f64 v[110:111], -v[104:105], v[106:107], 1.0
	v_fmac_f64_e32 v[106:107], v[106:107], v[110:111]
	v_fma_f64 v[110:111], -v[104:105], v[106:107], 1.0
	v_fmac_f64_e32 v[106:107], v[106:107], v[110:111]
	v_mul_f64 v[110:111], v[108:109], v[106:107]
	v_fma_f64 v[104:105], -v[104:105], v[110:111], v[108:109]
	v_div_fmas_f64 v[104:105], v[104:105], v[106:107], v[110:111]
	v_div_fixup_f64 v[102:103], v[104:105], v[102:103], 1.0
	buffer_store_dword v102, v112, s[0:3], 0 offen
	buffer_store_dword v103, v112, s[0:3], 0 offen offset:4
	v_xor_b32_e32 v103, 0x80000000, v103
.LBB49_3:
	s_cmpk_eq_i32 s12, 0x79
	v_add_u32_e32 v104, 0x190, v1
	v_add_u32_e32 v105, 0, v1
	s_mov_b64 s[4:5], -1
	ds_write_b64 v1, v[102:103]
	s_cbranch_scc1 .LBB49_487
; %bb.4:
	buffer_load_dword v102, off, s[0:3], 0 offset:384
	buffer_load_dword v103, off, s[0:3], 0 offset:388
	v_cmp_eq_u32_e64 s[4:5], 49, v0
	s_waitcnt vmcnt(0)
	ds_write_b64 v104, v[102:103]
	s_waitcnt lgkmcnt(0)
	; wave barrier
	s_waitcnt lgkmcnt(0)
	s_and_saveexec_b64 s[6:7], s[4:5]
	s_cbranch_execz .LBB49_10
; %bb.5:
	s_and_b64 vcc, exec, s[8:9]
	s_cbranch_vccz .LBB49_7
; %bb.6:
	buffer_load_dword v102, v105, s[0:3], 0 offen
	buffer_load_dword v103, v105, s[0:3], 0 offen offset:4
	ds_read_b64 v[106:107], v104
	s_waitcnt vmcnt(0) lgkmcnt(0)
	v_mul_f64 v[102:103], v[102:103], v[106:107]
	s_cbranch_execz .LBB49_8
	s_branch .LBB49_9
.LBB49_7:
                                        ; implicit-def: $vgpr102_vgpr103
.LBB49_8:
	ds_read_b64 v[102:103], v104
.LBB49_9:
	v_mov_b32_e32 v106, 0
	ds_read_b64 v[106:107], v106 offset:384
	s_waitcnt lgkmcnt(0)
	v_mul_f64 v[102:103], v[102:103], v[106:107]
	buffer_store_dword v103, off, s[0:3], 0 offset:388
	buffer_store_dword v102, off, s[0:3], 0 offset:384
.LBB49_10:
	s_or_b64 exec, exec, s[6:7]
	buffer_load_dword v102, off, s[0:3], 0 offset:376
	buffer_load_dword v103, off, s[0:3], 0 offset:380
	v_or_b32_e32 v106, 8, v152
	v_add_u32_e32 v107, 16, v152
	v_add_u32_e32 v108, 24, v152
	;; [unrolled: 1-line block ×46, first 2 shown]
	v_cmp_lt_u32_e64 s[6:7], 47, v0
	s_waitcnt vmcnt(0)
	ds_write_b64 v104, v[102:103]
	s_waitcnt lgkmcnt(0)
	; wave barrier
	s_waitcnt lgkmcnt(0)
	s_and_saveexec_b64 s[10:11], s[6:7]
	s_cbranch_execz .LBB49_16
; %bb.11:
	s_andn2_b64 vcc, exec, s[8:9]
	s_cbranch_vccnz .LBB49_13
; %bb.12:
	buffer_load_dword v102, v105, s[0:3], 0 offen
	buffer_load_dword v103, v105, s[0:3], 0 offen offset:4
	ds_read_b64 v[154:155], v104
	s_waitcnt vmcnt(0) lgkmcnt(0)
	v_mul_f64 v[102:103], v[102:103], v[154:155]
	s_cbranch_execz .LBB49_14
	s_branch .LBB49_15
.LBB49_13:
                                        ; implicit-def: $vgpr102_vgpr103
.LBB49_14:
	ds_read_b64 v[102:103], v104
.LBB49_15:
	buffer_load_dword v158, off, s[0:3], 0 offset:384
	buffer_load_dword v159, off, s[0:3], 0 offset:388
	v_mov_b32_e32 v153, 0
	ds_read2_b64 v[154:157], v153 offset0:47 offset1:98
	s_waitcnt vmcnt(0) lgkmcnt(0)
	v_fma_f64 v[156:157], v[158:159], v[156:157], v[102:103]
	v_cndmask_b32_e64 v103, v103, v157, s[4:5]
	v_cndmask_b32_e64 v102, v102, v156, s[4:5]
	v_mul_f64 v[102:103], v[102:103], v[154:155]
	buffer_store_dword v103, off, s[0:3], 0 offset:380
	buffer_store_dword v102, off, s[0:3], 0 offset:376
.LBB49_16:
	s_or_b64 exec, exec, s[10:11]
	buffer_load_dword v102, off, s[0:3], 0 offset:368
	buffer_load_dword v103, off, s[0:3], 0 offset:372
	v_cmp_lt_u32_e64 s[4:5], 46, v0
	s_waitcnt vmcnt(0)
	ds_write_b64 v104, v[102:103]
	s_waitcnt lgkmcnt(0)
	; wave barrier
	s_waitcnt lgkmcnt(0)
	s_and_saveexec_b64 s[10:11], s[4:5]
	s_cbranch_execz .LBB49_26
; %bb.17:
	s_andn2_b64 vcc, exec, s[8:9]
	s_cbranch_vccnz .LBB49_19
; %bb.18:
	buffer_load_dword v102, v105, s[0:3], 0 offen
	buffer_load_dword v103, v105, s[0:3], 0 offen offset:4
	ds_read_b64 v[154:155], v104
	s_waitcnt vmcnt(0) lgkmcnt(0)
	v_mul_f64 v[102:103], v[102:103], v[154:155]
	s_cbranch_execz .LBB49_20
	s_branch .LBB49_21
.LBB49_19:
                                        ; implicit-def: $vgpr102_vgpr103
.LBB49_20:
	ds_read_b64 v[102:103], v104
.LBB49_21:
	s_and_saveexec_b64 s[12:13], s[6:7]
	s_cbranch_execz .LBB49_25
; %bb.22:
	v_subrev_u32_e32 v153, 47, v0
	s_movk_i32 s14, 0x308
	s_mov_b64 s[6:7], 0
.LBB49_23:                              ; =>This Inner Loop Header: Depth=1
	buffer_load_dword v154, v152, s[0:3], 0 offen
	buffer_load_dword v155, v152, s[0:3], 0 offen offset:4
	v_mov_b32_e32 v156, s14
	ds_read_b64 v[156:157], v156
	v_add_u32_e32 v153, -1, v153
	s_add_i32 s14, s14, 8
	v_cmp_eq_u32_e32 vcc, 0, v153
	v_add_u32_e32 v152, 8, v152
	s_or_b64 s[6:7], vcc, s[6:7]
	s_waitcnt vmcnt(0) lgkmcnt(0)
	v_fmac_f64_e32 v[102:103], v[154:155], v[156:157]
	s_andn2_b64 exec, exec, s[6:7]
	s_cbranch_execnz .LBB49_23
; %bb.24:
	s_or_b64 exec, exec, s[6:7]
.LBB49_25:
	s_or_b64 exec, exec, s[12:13]
	v_mov_b32_e32 v152, 0
	ds_read_b64 v[152:153], v152 offset:368
	s_waitcnt lgkmcnt(0)
	v_mul_f64 v[102:103], v[102:103], v[152:153]
	buffer_store_dword v103, off, s[0:3], 0 offset:372
	buffer_store_dword v102, off, s[0:3], 0 offset:368
.LBB49_26:
	s_or_b64 exec, exec, s[10:11]
	buffer_load_dword v102, off, s[0:3], 0 offset:360
	buffer_load_dword v103, off, s[0:3], 0 offset:364
	v_cmp_lt_u32_e64 s[6:7], 45, v0
	s_waitcnt vmcnt(0)
	ds_write_b64 v104, v[102:103]
	s_waitcnt lgkmcnt(0)
	; wave barrier
	s_waitcnt lgkmcnt(0)
	s_and_saveexec_b64 s[10:11], s[6:7]
	s_cbranch_execz .LBB49_36
; %bb.27:
	s_andn2_b64 vcc, exec, s[8:9]
	s_cbranch_vccnz .LBB49_29
; %bb.28:
	buffer_load_dword v102, v105, s[0:3], 0 offen
	buffer_load_dword v103, v105, s[0:3], 0 offen offset:4
	ds_read_b64 v[152:153], v104
	s_waitcnt vmcnt(0) lgkmcnt(0)
	v_mul_f64 v[102:103], v[102:103], v[152:153]
	s_cbranch_execz .LBB49_30
	s_branch .LBB49_31
.LBB49_29:
                                        ; implicit-def: $vgpr102_vgpr103
.LBB49_30:
	ds_read_b64 v[102:103], v104
.LBB49_31:
	s_and_saveexec_b64 s[12:13], s[4:5]
	s_cbranch_execz .LBB49_35
; %bb.32:
	v_subrev_u32_e32 v152, 46, v0
	s_movk_i32 s14, 0x300
	s_mov_b64 s[4:5], 0
.LBB49_33:                              ; =>This Inner Loop Header: Depth=1
	buffer_load_dword v154, v151, s[0:3], 0 offen
	buffer_load_dword v155, v151, s[0:3], 0 offen offset:4
	v_mov_b32_e32 v153, s14
	ds_read_b64 v[156:157], v153
	v_add_u32_e32 v152, -1, v152
	s_add_i32 s14, s14, 8
	v_cmp_eq_u32_e32 vcc, 0, v152
	v_add_u32_e32 v151, 8, v151
	s_or_b64 s[4:5], vcc, s[4:5]
	s_waitcnt vmcnt(0) lgkmcnt(0)
	v_fmac_f64_e32 v[102:103], v[154:155], v[156:157]
	s_andn2_b64 exec, exec, s[4:5]
	s_cbranch_execnz .LBB49_33
; %bb.34:
	s_or_b64 exec, exec, s[4:5]
.LBB49_35:
	s_or_b64 exec, exec, s[12:13]
	v_mov_b32_e32 v151, 0
	ds_read_b64 v[152:153], v151 offset:360
	s_waitcnt lgkmcnt(0)
	v_mul_f64 v[102:103], v[102:103], v[152:153]
	buffer_store_dword v103, off, s[0:3], 0 offset:364
	buffer_store_dword v102, off, s[0:3], 0 offset:360
.LBB49_36:
	s_or_b64 exec, exec, s[10:11]
	buffer_load_dword v102, off, s[0:3], 0 offset:352
	buffer_load_dword v103, off, s[0:3], 0 offset:356
	v_cmp_lt_u32_e64 s[4:5], 44, v0
	s_waitcnt vmcnt(0)
	ds_write_b64 v104, v[102:103]
	s_waitcnt lgkmcnt(0)
	; wave barrier
	s_waitcnt lgkmcnt(0)
	s_and_saveexec_b64 s[10:11], s[4:5]
	s_cbranch_execz .LBB49_46
; %bb.37:
	s_andn2_b64 vcc, exec, s[8:9]
	s_cbranch_vccnz .LBB49_39
; %bb.38:
	buffer_load_dword v102, v105, s[0:3], 0 offen
	buffer_load_dword v103, v105, s[0:3], 0 offen offset:4
	ds_read_b64 v[152:153], v104
	s_waitcnt vmcnt(0) lgkmcnt(0)
	v_mul_f64 v[102:103], v[102:103], v[152:153]
	s_cbranch_execz .LBB49_40
	s_branch .LBB49_41
.LBB49_39:
                                        ; implicit-def: $vgpr102_vgpr103
.LBB49_40:
	ds_read_b64 v[102:103], v104
.LBB49_41:
	s_and_saveexec_b64 s[12:13], s[6:7]
	s_cbranch_execz .LBB49_45
; %bb.42:
	v_subrev_u32_e32 v151, 45, v0
	s_movk_i32 s14, 0x2f8
	s_mov_b64 s[6:7], 0
.LBB49_43:                              ; =>This Inner Loop Header: Depth=1
	buffer_load_dword v152, v150, s[0:3], 0 offen
	buffer_load_dword v153, v150, s[0:3], 0 offen offset:4
	v_mov_b32_e32 v154, s14
	ds_read_b64 v[154:155], v154
	v_add_u32_e32 v151, -1, v151
	s_add_i32 s14, s14, 8
	v_cmp_eq_u32_e32 vcc, 0, v151
	v_add_u32_e32 v150, 8, v150
	s_or_b64 s[6:7], vcc, s[6:7]
	s_waitcnt vmcnt(0) lgkmcnt(0)
	v_fmac_f64_e32 v[102:103], v[152:153], v[154:155]
	s_andn2_b64 exec, exec, s[6:7]
	s_cbranch_execnz .LBB49_43
; %bb.44:
	s_or_b64 exec, exec, s[6:7]
.LBB49_45:
	s_or_b64 exec, exec, s[12:13]
	v_mov_b32_e32 v150, 0
	ds_read_b64 v[150:151], v150 offset:352
	s_waitcnt lgkmcnt(0)
	v_mul_f64 v[102:103], v[102:103], v[150:151]
	buffer_store_dword v103, off, s[0:3], 0 offset:356
	buffer_store_dword v102, off, s[0:3], 0 offset:352
.LBB49_46:
	s_or_b64 exec, exec, s[10:11]
	buffer_load_dword v102, off, s[0:3], 0 offset:344
	buffer_load_dword v103, off, s[0:3], 0 offset:348
	v_cmp_lt_u32_e64 s[6:7], 43, v0
	s_waitcnt vmcnt(0)
	ds_write_b64 v104, v[102:103]
	s_waitcnt lgkmcnt(0)
	; wave barrier
	s_waitcnt lgkmcnt(0)
	s_and_saveexec_b64 s[10:11], s[6:7]
	s_cbranch_execz .LBB49_56
; %bb.47:
	s_andn2_b64 vcc, exec, s[8:9]
	s_cbranch_vccnz .LBB49_49
; %bb.48:
	buffer_load_dword v102, v105, s[0:3], 0 offen
	buffer_load_dword v103, v105, s[0:3], 0 offen offset:4
	ds_read_b64 v[150:151], v104
	s_waitcnt vmcnt(0) lgkmcnt(0)
	v_mul_f64 v[102:103], v[102:103], v[150:151]
	s_cbranch_execz .LBB49_50
	s_branch .LBB49_51
.LBB49_49:
                                        ; implicit-def: $vgpr102_vgpr103
.LBB49_50:
	ds_read_b64 v[102:103], v104
.LBB49_51:
	s_and_saveexec_b64 s[12:13], s[4:5]
	s_cbranch_execz .LBB49_55
; %bb.52:
	v_subrev_u32_e32 v150, 44, v0
	s_movk_i32 s14, 0x2f0
	s_mov_b64 s[4:5], 0
.LBB49_53:                              ; =>This Inner Loop Header: Depth=1
	buffer_load_dword v152, v149, s[0:3], 0 offen
	buffer_load_dword v153, v149, s[0:3], 0 offen offset:4
	v_mov_b32_e32 v151, s14
	ds_read_b64 v[154:155], v151
	v_add_u32_e32 v150, -1, v150
	s_add_i32 s14, s14, 8
	v_cmp_eq_u32_e32 vcc, 0, v150
	v_add_u32_e32 v149, 8, v149
	s_or_b64 s[4:5], vcc, s[4:5]
	s_waitcnt vmcnt(0) lgkmcnt(0)
	v_fmac_f64_e32 v[102:103], v[152:153], v[154:155]
	s_andn2_b64 exec, exec, s[4:5]
	s_cbranch_execnz .LBB49_53
; %bb.54:
	s_or_b64 exec, exec, s[4:5]
.LBB49_55:
	s_or_b64 exec, exec, s[12:13]
	v_mov_b32_e32 v149, 0
	ds_read_b64 v[150:151], v149 offset:344
	s_waitcnt lgkmcnt(0)
	v_mul_f64 v[102:103], v[102:103], v[150:151]
	buffer_store_dword v103, off, s[0:3], 0 offset:348
	buffer_store_dword v102, off, s[0:3], 0 offset:344
.LBB49_56:
	s_or_b64 exec, exec, s[10:11]
	buffer_load_dword v102, off, s[0:3], 0 offset:336
	buffer_load_dword v103, off, s[0:3], 0 offset:340
	v_cmp_lt_u32_e64 s[4:5], 42, v0
	s_waitcnt vmcnt(0)
	ds_write_b64 v104, v[102:103]
	s_waitcnt lgkmcnt(0)
	; wave barrier
	s_waitcnt lgkmcnt(0)
	s_and_saveexec_b64 s[10:11], s[4:5]
	s_cbranch_execz .LBB49_66
; %bb.57:
	s_andn2_b64 vcc, exec, s[8:9]
	s_cbranch_vccnz .LBB49_59
; %bb.58:
	buffer_load_dword v102, v105, s[0:3], 0 offen
	buffer_load_dword v103, v105, s[0:3], 0 offen offset:4
	ds_read_b64 v[150:151], v104
	s_waitcnt vmcnt(0) lgkmcnt(0)
	v_mul_f64 v[102:103], v[102:103], v[150:151]
	s_cbranch_execz .LBB49_60
	s_branch .LBB49_61
.LBB49_59:
                                        ; implicit-def: $vgpr102_vgpr103
.LBB49_60:
	ds_read_b64 v[102:103], v104
.LBB49_61:
	s_and_saveexec_b64 s[12:13], s[6:7]
	s_cbranch_execz .LBB49_65
; %bb.62:
	v_subrev_u32_e32 v149, 43, v0
	s_movk_i32 s14, 0x2e8
	s_mov_b64 s[6:7], 0
.LBB49_63:                              ; =>This Inner Loop Header: Depth=1
	buffer_load_dword v150, v148, s[0:3], 0 offen
	buffer_load_dword v151, v148, s[0:3], 0 offen offset:4
	v_mov_b32_e32 v152, s14
	ds_read_b64 v[152:153], v152
	v_add_u32_e32 v149, -1, v149
	s_add_i32 s14, s14, 8
	v_cmp_eq_u32_e32 vcc, 0, v149
	v_add_u32_e32 v148, 8, v148
	s_or_b64 s[6:7], vcc, s[6:7]
	s_waitcnt vmcnt(0) lgkmcnt(0)
	v_fmac_f64_e32 v[102:103], v[150:151], v[152:153]
	s_andn2_b64 exec, exec, s[6:7]
	s_cbranch_execnz .LBB49_63
; %bb.64:
	s_or_b64 exec, exec, s[6:7]
.LBB49_65:
	s_or_b64 exec, exec, s[12:13]
	v_mov_b32_e32 v148, 0
	ds_read_b64 v[148:149], v148 offset:336
	s_waitcnt lgkmcnt(0)
	v_mul_f64 v[102:103], v[102:103], v[148:149]
	buffer_store_dword v103, off, s[0:3], 0 offset:340
	buffer_store_dword v102, off, s[0:3], 0 offset:336
.LBB49_66:
	s_or_b64 exec, exec, s[10:11]
	buffer_load_dword v102, off, s[0:3], 0 offset:328
	buffer_load_dword v103, off, s[0:3], 0 offset:332
	v_cmp_lt_u32_e64 s[6:7], 41, v0
	s_waitcnt vmcnt(0)
	ds_write_b64 v104, v[102:103]
	s_waitcnt lgkmcnt(0)
	; wave barrier
	s_waitcnt lgkmcnt(0)
	s_and_saveexec_b64 s[10:11], s[6:7]
	s_cbranch_execz .LBB49_76
; %bb.67:
	s_andn2_b64 vcc, exec, s[8:9]
	s_cbranch_vccnz .LBB49_69
; %bb.68:
	buffer_load_dword v102, v105, s[0:3], 0 offen
	buffer_load_dword v103, v105, s[0:3], 0 offen offset:4
	ds_read_b64 v[148:149], v104
	s_waitcnt vmcnt(0) lgkmcnt(0)
	v_mul_f64 v[102:103], v[102:103], v[148:149]
	s_cbranch_execz .LBB49_70
	s_branch .LBB49_71
.LBB49_69:
                                        ; implicit-def: $vgpr102_vgpr103
.LBB49_70:
	ds_read_b64 v[102:103], v104
.LBB49_71:
	s_and_saveexec_b64 s[12:13], s[4:5]
	s_cbranch_execz .LBB49_75
; %bb.72:
	v_subrev_u32_e32 v148, 42, v0
	s_movk_i32 s14, 0x2e0
	s_mov_b64 s[4:5], 0
.LBB49_73:                              ; =>This Inner Loop Header: Depth=1
	buffer_load_dword v150, v147, s[0:3], 0 offen
	buffer_load_dword v151, v147, s[0:3], 0 offen offset:4
	v_mov_b32_e32 v149, s14
	ds_read_b64 v[152:153], v149
	v_add_u32_e32 v148, -1, v148
	s_add_i32 s14, s14, 8
	v_cmp_eq_u32_e32 vcc, 0, v148
	v_add_u32_e32 v147, 8, v147
	s_or_b64 s[4:5], vcc, s[4:5]
	s_waitcnt vmcnt(0) lgkmcnt(0)
	v_fmac_f64_e32 v[102:103], v[150:151], v[152:153]
	s_andn2_b64 exec, exec, s[4:5]
	s_cbranch_execnz .LBB49_73
; %bb.74:
	s_or_b64 exec, exec, s[4:5]
.LBB49_75:
	s_or_b64 exec, exec, s[12:13]
	v_mov_b32_e32 v147, 0
	ds_read_b64 v[148:149], v147 offset:328
	s_waitcnt lgkmcnt(0)
	v_mul_f64 v[102:103], v[102:103], v[148:149]
	buffer_store_dword v103, off, s[0:3], 0 offset:332
	buffer_store_dword v102, off, s[0:3], 0 offset:328
.LBB49_76:
	s_or_b64 exec, exec, s[10:11]
	buffer_load_dword v102, off, s[0:3], 0 offset:320
	buffer_load_dword v103, off, s[0:3], 0 offset:324
	v_cmp_lt_u32_e64 s[4:5], 40, v0
	s_waitcnt vmcnt(0)
	ds_write_b64 v104, v[102:103]
	s_waitcnt lgkmcnt(0)
	; wave barrier
	s_waitcnt lgkmcnt(0)
	s_and_saveexec_b64 s[10:11], s[4:5]
	s_cbranch_execz .LBB49_86
; %bb.77:
	s_andn2_b64 vcc, exec, s[8:9]
	s_cbranch_vccnz .LBB49_79
; %bb.78:
	buffer_load_dword v102, v105, s[0:3], 0 offen
	buffer_load_dword v103, v105, s[0:3], 0 offen offset:4
	ds_read_b64 v[148:149], v104
	s_waitcnt vmcnt(0) lgkmcnt(0)
	v_mul_f64 v[102:103], v[102:103], v[148:149]
	s_cbranch_execz .LBB49_80
	s_branch .LBB49_81
.LBB49_79:
                                        ; implicit-def: $vgpr102_vgpr103
.LBB49_80:
	ds_read_b64 v[102:103], v104
.LBB49_81:
	s_and_saveexec_b64 s[12:13], s[6:7]
	s_cbranch_execz .LBB49_85
; %bb.82:
	v_subrev_u32_e32 v147, 41, v0
	s_movk_i32 s14, 0x2d8
	s_mov_b64 s[6:7], 0
.LBB49_83:                              ; =>This Inner Loop Header: Depth=1
	buffer_load_dword v148, v146, s[0:3], 0 offen
	buffer_load_dword v149, v146, s[0:3], 0 offen offset:4
	v_mov_b32_e32 v150, s14
	ds_read_b64 v[150:151], v150
	v_add_u32_e32 v147, -1, v147
	s_add_i32 s14, s14, 8
	v_cmp_eq_u32_e32 vcc, 0, v147
	v_add_u32_e32 v146, 8, v146
	s_or_b64 s[6:7], vcc, s[6:7]
	s_waitcnt vmcnt(0) lgkmcnt(0)
	v_fmac_f64_e32 v[102:103], v[148:149], v[150:151]
	s_andn2_b64 exec, exec, s[6:7]
	s_cbranch_execnz .LBB49_83
; %bb.84:
	s_or_b64 exec, exec, s[6:7]
.LBB49_85:
	s_or_b64 exec, exec, s[12:13]
	v_mov_b32_e32 v146, 0
	ds_read_b64 v[146:147], v146 offset:320
	s_waitcnt lgkmcnt(0)
	v_mul_f64 v[102:103], v[102:103], v[146:147]
	buffer_store_dword v103, off, s[0:3], 0 offset:324
	buffer_store_dword v102, off, s[0:3], 0 offset:320
.LBB49_86:
	s_or_b64 exec, exec, s[10:11]
	buffer_load_dword v102, off, s[0:3], 0 offset:312
	buffer_load_dword v103, off, s[0:3], 0 offset:316
	v_cmp_lt_u32_e64 s[6:7], 39, v0
	s_waitcnt vmcnt(0)
	ds_write_b64 v104, v[102:103]
	s_waitcnt lgkmcnt(0)
	; wave barrier
	s_waitcnt lgkmcnt(0)
	s_and_saveexec_b64 s[10:11], s[6:7]
	s_cbranch_execz .LBB49_96
; %bb.87:
	s_andn2_b64 vcc, exec, s[8:9]
	s_cbranch_vccnz .LBB49_89
; %bb.88:
	buffer_load_dword v102, v105, s[0:3], 0 offen
	buffer_load_dword v103, v105, s[0:3], 0 offen offset:4
	ds_read_b64 v[146:147], v104
	s_waitcnt vmcnt(0) lgkmcnt(0)
	v_mul_f64 v[102:103], v[102:103], v[146:147]
	s_cbranch_execz .LBB49_90
	s_branch .LBB49_91
.LBB49_89:
                                        ; implicit-def: $vgpr102_vgpr103
.LBB49_90:
	ds_read_b64 v[102:103], v104
.LBB49_91:
	s_and_saveexec_b64 s[12:13], s[4:5]
	s_cbranch_execz .LBB49_95
; %bb.92:
	v_subrev_u32_e32 v146, 40, v0
	s_movk_i32 s14, 0x2d0
	s_mov_b64 s[4:5], 0
.LBB49_93:                              ; =>This Inner Loop Header: Depth=1
	buffer_load_dword v148, v145, s[0:3], 0 offen
	buffer_load_dword v149, v145, s[0:3], 0 offen offset:4
	v_mov_b32_e32 v147, s14
	ds_read_b64 v[150:151], v147
	v_add_u32_e32 v146, -1, v146
	s_add_i32 s14, s14, 8
	v_cmp_eq_u32_e32 vcc, 0, v146
	v_add_u32_e32 v145, 8, v145
	s_or_b64 s[4:5], vcc, s[4:5]
	s_waitcnt vmcnt(0) lgkmcnt(0)
	v_fmac_f64_e32 v[102:103], v[148:149], v[150:151]
	s_andn2_b64 exec, exec, s[4:5]
	s_cbranch_execnz .LBB49_93
; %bb.94:
	s_or_b64 exec, exec, s[4:5]
.LBB49_95:
	s_or_b64 exec, exec, s[12:13]
	v_mov_b32_e32 v145, 0
	ds_read_b64 v[146:147], v145 offset:312
	s_waitcnt lgkmcnt(0)
	v_mul_f64 v[102:103], v[102:103], v[146:147]
	buffer_store_dword v103, off, s[0:3], 0 offset:316
	buffer_store_dword v102, off, s[0:3], 0 offset:312
.LBB49_96:
	s_or_b64 exec, exec, s[10:11]
	buffer_load_dword v102, off, s[0:3], 0 offset:304
	buffer_load_dword v103, off, s[0:3], 0 offset:308
	v_cmp_lt_u32_e64 s[4:5], 38, v0
	s_waitcnt vmcnt(0)
	ds_write_b64 v104, v[102:103]
	s_waitcnt lgkmcnt(0)
	; wave barrier
	s_waitcnt lgkmcnt(0)
	s_and_saveexec_b64 s[10:11], s[4:5]
	s_cbranch_execz .LBB49_106
; %bb.97:
	s_andn2_b64 vcc, exec, s[8:9]
	s_cbranch_vccnz .LBB49_99
; %bb.98:
	buffer_load_dword v102, v105, s[0:3], 0 offen
	buffer_load_dword v103, v105, s[0:3], 0 offen offset:4
	ds_read_b64 v[146:147], v104
	s_waitcnt vmcnt(0) lgkmcnt(0)
	v_mul_f64 v[102:103], v[102:103], v[146:147]
	s_cbranch_execz .LBB49_100
	s_branch .LBB49_101
.LBB49_99:
                                        ; implicit-def: $vgpr102_vgpr103
.LBB49_100:
	ds_read_b64 v[102:103], v104
.LBB49_101:
	s_and_saveexec_b64 s[12:13], s[6:7]
	s_cbranch_execz .LBB49_105
; %bb.102:
	v_subrev_u32_e32 v145, 39, v0
	s_movk_i32 s14, 0x2c8
	s_mov_b64 s[6:7], 0
.LBB49_103:                             ; =>This Inner Loop Header: Depth=1
	buffer_load_dword v146, v144, s[0:3], 0 offen
	buffer_load_dword v147, v144, s[0:3], 0 offen offset:4
	v_mov_b32_e32 v148, s14
	ds_read_b64 v[148:149], v148
	v_add_u32_e32 v145, -1, v145
	s_add_i32 s14, s14, 8
	v_cmp_eq_u32_e32 vcc, 0, v145
	v_add_u32_e32 v144, 8, v144
	s_or_b64 s[6:7], vcc, s[6:7]
	s_waitcnt vmcnt(0) lgkmcnt(0)
	v_fmac_f64_e32 v[102:103], v[146:147], v[148:149]
	s_andn2_b64 exec, exec, s[6:7]
	s_cbranch_execnz .LBB49_103
; %bb.104:
	s_or_b64 exec, exec, s[6:7]
.LBB49_105:
	s_or_b64 exec, exec, s[12:13]
	v_mov_b32_e32 v144, 0
	ds_read_b64 v[144:145], v144 offset:304
	s_waitcnt lgkmcnt(0)
	v_mul_f64 v[102:103], v[102:103], v[144:145]
	buffer_store_dword v103, off, s[0:3], 0 offset:308
	buffer_store_dword v102, off, s[0:3], 0 offset:304
.LBB49_106:
	s_or_b64 exec, exec, s[10:11]
	buffer_load_dword v102, off, s[0:3], 0 offset:296
	buffer_load_dword v103, off, s[0:3], 0 offset:300
	v_cmp_lt_u32_e64 s[6:7], 37, v0
	s_waitcnt vmcnt(0)
	ds_write_b64 v104, v[102:103]
	s_waitcnt lgkmcnt(0)
	; wave barrier
	s_waitcnt lgkmcnt(0)
	s_and_saveexec_b64 s[10:11], s[6:7]
	s_cbranch_execz .LBB49_116
; %bb.107:
	s_andn2_b64 vcc, exec, s[8:9]
	s_cbranch_vccnz .LBB49_109
; %bb.108:
	buffer_load_dword v102, v105, s[0:3], 0 offen
	buffer_load_dword v103, v105, s[0:3], 0 offen offset:4
	ds_read_b64 v[144:145], v104
	s_waitcnt vmcnt(0) lgkmcnt(0)
	v_mul_f64 v[102:103], v[102:103], v[144:145]
	s_cbranch_execz .LBB49_110
	s_branch .LBB49_111
.LBB49_109:
                                        ; implicit-def: $vgpr102_vgpr103
.LBB49_110:
	ds_read_b64 v[102:103], v104
.LBB49_111:
	s_and_saveexec_b64 s[12:13], s[4:5]
	s_cbranch_execz .LBB49_115
; %bb.112:
	v_subrev_u32_e32 v144, 38, v0
	s_movk_i32 s14, 0x2c0
	s_mov_b64 s[4:5], 0
.LBB49_113:                             ; =>This Inner Loop Header: Depth=1
	buffer_load_dword v146, v143, s[0:3], 0 offen
	buffer_load_dword v147, v143, s[0:3], 0 offen offset:4
	v_mov_b32_e32 v145, s14
	ds_read_b64 v[148:149], v145
	v_add_u32_e32 v144, -1, v144
	s_add_i32 s14, s14, 8
	v_cmp_eq_u32_e32 vcc, 0, v144
	v_add_u32_e32 v143, 8, v143
	s_or_b64 s[4:5], vcc, s[4:5]
	s_waitcnt vmcnt(0) lgkmcnt(0)
	v_fmac_f64_e32 v[102:103], v[146:147], v[148:149]
	s_andn2_b64 exec, exec, s[4:5]
	s_cbranch_execnz .LBB49_113
; %bb.114:
	s_or_b64 exec, exec, s[4:5]
.LBB49_115:
	s_or_b64 exec, exec, s[12:13]
	v_mov_b32_e32 v143, 0
	ds_read_b64 v[144:145], v143 offset:296
	s_waitcnt lgkmcnt(0)
	v_mul_f64 v[102:103], v[102:103], v[144:145]
	buffer_store_dword v103, off, s[0:3], 0 offset:300
	buffer_store_dword v102, off, s[0:3], 0 offset:296
.LBB49_116:
	s_or_b64 exec, exec, s[10:11]
	buffer_load_dword v102, off, s[0:3], 0 offset:288
	buffer_load_dword v103, off, s[0:3], 0 offset:292
	v_cmp_lt_u32_e64 s[4:5], 36, v0
	s_waitcnt vmcnt(0)
	ds_write_b64 v104, v[102:103]
	s_waitcnt lgkmcnt(0)
	; wave barrier
	s_waitcnt lgkmcnt(0)
	s_and_saveexec_b64 s[10:11], s[4:5]
	s_cbranch_execz .LBB49_126
; %bb.117:
	s_andn2_b64 vcc, exec, s[8:9]
	s_cbranch_vccnz .LBB49_119
; %bb.118:
	buffer_load_dword v102, v105, s[0:3], 0 offen
	buffer_load_dword v103, v105, s[0:3], 0 offen offset:4
	ds_read_b64 v[144:145], v104
	s_waitcnt vmcnt(0) lgkmcnt(0)
	v_mul_f64 v[102:103], v[102:103], v[144:145]
	s_cbranch_execz .LBB49_120
	s_branch .LBB49_121
.LBB49_119:
                                        ; implicit-def: $vgpr102_vgpr103
.LBB49_120:
	ds_read_b64 v[102:103], v104
.LBB49_121:
	s_and_saveexec_b64 s[12:13], s[6:7]
	s_cbranch_execz .LBB49_125
; %bb.122:
	v_subrev_u32_e32 v143, 37, v0
	s_movk_i32 s14, 0x2b8
	s_mov_b64 s[6:7], 0
.LBB49_123:                             ; =>This Inner Loop Header: Depth=1
	buffer_load_dword v144, v142, s[0:3], 0 offen
	buffer_load_dword v145, v142, s[0:3], 0 offen offset:4
	v_mov_b32_e32 v146, s14
	ds_read_b64 v[146:147], v146
	v_add_u32_e32 v143, -1, v143
	s_add_i32 s14, s14, 8
	v_cmp_eq_u32_e32 vcc, 0, v143
	v_add_u32_e32 v142, 8, v142
	s_or_b64 s[6:7], vcc, s[6:7]
	s_waitcnt vmcnt(0) lgkmcnt(0)
	v_fmac_f64_e32 v[102:103], v[144:145], v[146:147]
	s_andn2_b64 exec, exec, s[6:7]
	s_cbranch_execnz .LBB49_123
; %bb.124:
	s_or_b64 exec, exec, s[6:7]
.LBB49_125:
	s_or_b64 exec, exec, s[12:13]
	v_mov_b32_e32 v142, 0
	ds_read_b64 v[142:143], v142 offset:288
	s_waitcnt lgkmcnt(0)
	v_mul_f64 v[102:103], v[102:103], v[142:143]
	buffer_store_dword v103, off, s[0:3], 0 offset:292
	buffer_store_dword v102, off, s[0:3], 0 offset:288
.LBB49_126:
	s_or_b64 exec, exec, s[10:11]
	buffer_load_dword v102, off, s[0:3], 0 offset:280
	buffer_load_dword v103, off, s[0:3], 0 offset:284
	v_cmp_lt_u32_e64 s[6:7], 35, v0
	s_waitcnt vmcnt(0)
	ds_write_b64 v104, v[102:103]
	s_waitcnt lgkmcnt(0)
	; wave barrier
	s_waitcnt lgkmcnt(0)
	s_and_saveexec_b64 s[10:11], s[6:7]
	s_cbranch_execz .LBB49_136
; %bb.127:
	s_andn2_b64 vcc, exec, s[8:9]
	s_cbranch_vccnz .LBB49_129
; %bb.128:
	buffer_load_dword v102, v105, s[0:3], 0 offen
	buffer_load_dword v103, v105, s[0:3], 0 offen offset:4
	ds_read_b64 v[142:143], v104
	s_waitcnt vmcnt(0) lgkmcnt(0)
	v_mul_f64 v[102:103], v[102:103], v[142:143]
	s_cbranch_execz .LBB49_130
	s_branch .LBB49_131
.LBB49_129:
                                        ; implicit-def: $vgpr102_vgpr103
.LBB49_130:
	ds_read_b64 v[102:103], v104
.LBB49_131:
	s_and_saveexec_b64 s[12:13], s[4:5]
	s_cbranch_execz .LBB49_135
; %bb.132:
	v_subrev_u32_e32 v142, 36, v0
	s_movk_i32 s14, 0x2b0
	s_mov_b64 s[4:5], 0
.LBB49_133:                             ; =>This Inner Loop Header: Depth=1
	buffer_load_dword v144, v141, s[0:3], 0 offen
	buffer_load_dword v145, v141, s[0:3], 0 offen offset:4
	v_mov_b32_e32 v143, s14
	ds_read_b64 v[146:147], v143
	v_add_u32_e32 v142, -1, v142
	s_add_i32 s14, s14, 8
	v_cmp_eq_u32_e32 vcc, 0, v142
	v_add_u32_e32 v141, 8, v141
	s_or_b64 s[4:5], vcc, s[4:5]
	s_waitcnt vmcnt(0) lgkmcnt(0)
	v_fmac_f64_e32 v[102:103], v[144:145], v[146:147]
	s_andn2_b64 exec, exec, s[4:5]
	s_cbranch_execnz .LBB49_133
; %bb.134:
	s_or_b64 exec, exec, s[4:5]
.LBB49_135:
	s_or_b64 exec, exec, s[12:13]
	v_mov_b32_e32 v141, 0
	ds_read_b64 v[142:143], v141 offset:280
	s_waitcnt lgkmcnt(0)
	v_mul_f64 v[102:103], v[102:103], v[142:143]
	buffer_store_dword v103, off, s[0:3], 0 offset:284
	buffer_store_dword v102, off, s[0:3], 0 offset:280
.LBB49_136:
	s_or_b64 exec, exec, s[10:11]
	buffer_load_dword v102, off, s[0:3], 0 offset:272
	buffer_load_dword v103, off, s[0:3], 0 offset:276
	v_cmp_lt_u32_e64 s[4:5], 34, v0
	s_waitcnt vmcnt(0)
	ds_write_b64 v104, v[102:103]
	s_waitcnt lgkmcnt(0)
	; wave barrier
	s_waitcnt lgkmcnt(0)
	s_and_saveexec_b64 s[10:11], s[4:5]
	s_cbranch_execz .LBB49_146
; %bb.137:
	s_andn2_b64 vcc, exec, s[8:9]
	s_cbranch_vccnz .LBB49_139
; %bb.138:
	buffer_load_dword v102, v105, s[0:3], 0 offen
	buffer_load_dword v103, v105, s[0:3], 0 offen offset:4
	ds_read_b64 v[142:143], v104
	s_waitcnt vmcnt(0) lgkmcnt(0)
	v_mul_f64 v[102:103], v[102:103], v[142:143]
	s_cbranch_execz .LBB49_140
	s_branch .LBB49_141
.LBB49_139:
                                        ; implicit-def: $vgpr102_vgpr103
.LBB49_140:
	ds_read_b64 v[102:103], v104
.LBB49_141:
	s_and_saveexec_b64 s[12:13], s[6:7]
	s_cbranch_execz .LBB49_145
; %bb.142:
	v_subrev_u32_e32 v141, 35, v0
	s_movk_i32 s14, 0x2a8
	s_mov_b64 s[6:7], 0
.LBB49_143:                             ; =>This Inner Loop Header: Depth=1
	buffer_load_dword v142, v140, s[0:3], 0 offen
	buffer_load_dword v143, v140, s[0:3], 0 offen offset:4
	v_mov_b32_e32 v144, s14
	ds_read_b64 v[144:145], v144
	v_add_u32_e32 v141, -1, v141
	s_add_i32 s14, s14, 8
	v_cmp_eq_u32_e32 vcc, 0, v141
	v_add_u32_e32 v140, 8, v140
	s_or_b64 s[6:7], vcc, s[6:7]
	s_waitcnt vmcnt(0) lgkmcnt(0)
	v_fmac_f64_e32 v[102:103], v[142:143], v[144:145]
	s_andn2_b64 exec, exec, s[6:7]
	s_cbranch_execnz .LBB49_143
; %bb.144:
	s_or_b64 exec, exec, s[6:7]
.LBB49_145:
	s_or_b64 exec, exec, s[12:13]
	v_mov_b32_e32 v140, 0
	ds_read_b64 v[140:141], v140 offset:272
	s_waitcnt lgkmcnt(0)
	v_mul_f64 v[102:103], v[102:103], v[140:141]
	buffer_store_dword v103, off, s[0:3], 0 offset:276
	buffer_store_dword v102, off, s[0:3], 0 offset:272
.LBB49_146:
	s_or_b64 exec, exec, s[10:11]
	buffer_load_dword v102, off, s[0:3], 0 offset:264
	buffer_load_dword v103, off, s[0:3], 0 offset:268
	v_cmp_lt_u32_e64 s[6:7], 33, v0
	s_waitcnt vmcnt(0)
	ds_write_b64 v104, v[102:103]
	s_waitcnt lgkmcnt(0)
	; wave barrier
	s_waitcnt lgkmcnt(0)
	s_and_saveexec_b64 s[10:11], s[6:7]
	s_cbranch_execz .LBB49_156
; %bb.147:
	s_andn2_b64 vcc, exec, s[8:9]
	s_cbranch_vccnz .LBB49_149
; %bb.148:
	buffer_load_dword v102, v105, s[0:3], 0 offen
	buffer_load_dword v103, v105, s[0:3], 0 offen offset:4
	ds_read_b64 v[140:141], v104
	s_waitcnt vmcnt(0) lgkmcnt(0)
	v_mul_f64 v[102:103], v[102:103], v[140:141]
	s_cbranch_execz .LBB49_150
	s_branch .LBB49_151
.LBB49_149:
                                        ; implicit-def: $vgpr102_vgpr103
.LBB49_150:
	ds_read_b64 v[102:103], v104
.LBB49_151:
	s_and_saveexec_b64 s[12:13], s[4:5]
	s_cbranch_execz .LBB49_155
; %bb.152:
	v_subrev_u32_e32 v140, 34, v0
	s_movk_i32 s14, 0x2a0
	s_mov_b64 s[4:5], 0
.LBB49_153:                             ; =>This Inner Loop Header: Depth=1
	buffer_load_dword v142, v139, s[0:3], 0 offen
	buffer_load_dword v143, v139, s[0:3], 0 offen offset:4
	v_mov_b32_e32 v141, s14
	ds_read_b64 v[144:145], v141
	v_add_u32_e32 v140, -1, v140
	s_add_i32 s14, s14, 8
	v_cmp_eq_u32_e32 vcc, 0, v140
	v_add_u32_e32 v139, 8, v139
	s_or_b64 s[4:5], vcc, s[4:5]
	s_waitcnt vmcnt(0) lgkmcnt(0)
	v_fmac_f64_e32 v[102:103], v[142:143], v[144:145]
	s_andn2_b64 exec, exec, s[4:5]
	s_cbranch_execnz .LBB49_153
; %bb.154:
	s_or_b64 exec, exec, s[4:5]
.LBB49_155:
	s_or_b64 exec, exec, s[12:13]
	v_mov_b32_e32 v139, 0
	ds_read_b64 v[140:141], v139 offset:264
	s_waitcnt lgkmcnt(0)
	v_mul_f64 v[102:103], v[102:103], v[140:141]
	buffer_store_dword v103, off, s[0:3], 0 offset:268
	buffer_store_dword v102, off, s[0:3], 0 offset:264
.LBB49_156:
	s_or_b64 exec, exec, s[10:11]
	buffer_load_dword v102, off, s[0:3], 0 offset:256
	buffer_load_dword v103, off, s[0:3], 0 offset:260
	v_cmp_lt_u32_e64 s[4:5], 32, v0
	s_waitcnt vmcnt(0)
	ds_write_b64 v104, v[102:103]
	s_waitcnt lgkmcnt(0)
	; wave barrier
	s_waitcnt lgkmcnt(0)
	s_and_saveexec_b64 s[10:11], s[4:5]
	s_cbranch_execz .LBB49_166
; %bb.157:
	s_andn2_b64 vcc, exec, s[8:9]
	s_cbranch_vccnz .LBB49_159
; %bb.158:
	buffer_load_dword v102, v105, s[0:3], 0 offen
	buffer_load_dword v103, v105, s[0:3], 0 offen offset:4
	ds_read_b64 v[140:141], v104
	s_waitcnt vmcnt(0) lgkmcnt(0)
	v_mul_f64 v[102:103], v[102:103], v[140:141]
	s_cbranch_execz .LBB49_160
	s_branch .LBB49_161
.LBB49_159:
                                        ; implicit-def: $vgpr102_vgpr103
.LBB49_160:
	ds_read_b64 v[102:103], v104
.LBB49_161:
	s_and_saveexec_b64 s[12:13], s[6:7]
	s_cbranch_execz .LBB49_165
; %bb.162:
	v_subrev_u32_e32 v139, 33, v0
	s_movk_i32 s14, 0x298
	s_mov_b64 s[6:7], 0
.LBB49_163:                             ; =>This Inner Loop Header: Depth=1
	buffer_load_dword v140, v138, s[0:3], 0 offen
	buffer_load_dword v141, v138, s[0:3], 0 offen offset:4
	v_mov_b32_e32 v142, s14
	ds_read_b64 v[142:143], v142
	v_add_u32_e32 v139, -1, v139
	s_add_i32 s14, s14, 8
	v_cmp_eq_u32_e32 vcc, 0, v139
	v_add_u32_e32 v138, 8, v138
	s_or_b64 s[6:7], vcc, s[6:7]
	s_waitcnt vmcnt(0) lgkmcnt(0)
	v_fmac_f64_e32 v[102:103], v[140:141], v[142:143]
	s_andn2_b64 exec, exec, s[6:7]
	s_cbranch_execnz .LBB49_163
; %bb.164:
	s_or_b64 exec, exec, s[6:7]
.LBB49_165:
	s_or_b64 exec, exec, s[12:13]
	v_mov_b32_e32 v138, 0
	ds_read_b64 v[138:139], v138 offset:256
	s_waitcnt lgkmcnt(0)
	v_mul_f64 v[102:103], v[102:103], v[138:139]
	buffer_store_dword v103, off, s[0:3], 0 offset:260
	buffer_store_dword v102, off, s[0:3], 0 offset:256
.LBB49_166:
	s_or_b64 exec, exec, s[10:11]
	buffer_load_dword v102, off, s[0:3], 0 offset:248
	buffer_load_dword v103, off, s[0:3], 0 offset:252
	v_cmp_lt_u32_e64 s[6:7], 31, v0
	s_waitcnt vmcnt(0)
	ds_write_b64 v104, v[102:103]
	s_waitcnt lgkmcnt(0)
	; wave barrier
	s_waitcnt lgkmcnt(0)
	s_and_saveexec_b64 s[10:11], s[6:7]
	s_cbranch_execz .LBB49_176
; %bb.167:
	s_andn2_b64 vcc, exec, s[8:9]
	s_cbranch_vccnz .LBB49_169
; %bb.168:
	buffer_load_dword v102, v105, s[0:3], 0 offen
	buffer_load_dword v103, v105, s[0:3], 0 offen offset:4
	ds_read_b64 v[138:139], v104
	s_waitcnt vmcnt(0) lgkmcnt(0)
	v_mul_f64 v[102:103], v[102:103], v[138:139]
	s_cbranch_execz .LBB49_170
	s_branch .LBB49_171
.LBB49_169:
                                        ; implicit-def: $vgpr102_vgpr103
.LBB49_170:
	ds_read_b64 v[102:103], v104
.LBB49_171:
	s_and_saveexec_b64 s[12:13], s[4:5]
	s_cbranch_execz .LBB49_175
; %bb.172:
	v_subrev_u32_e32 v138, 32, v0
	s_movk_i32 s14, 0x290
	s_mov_b64 s[4:5], 0
.LBB49_173:                             ; =>This Inner Loop Header: Depth=1
	buffer_load_dword v140, v137, s[0:3], 0 offen
	buffer_load_dword v141, v137, s[0:3], 0 offen offset:4
	v_mov_b32_e32 v139, s14
	ds_read_b64 v[142:143], v139
	v_add_u32_e32 v138, -1, v138
	s_add_i32 s14, s14, 8
	v_cmp_eq_u32_e32 vcc, 0, v138
	v_add_u32_e32 v137, 8, v137
	s_or_b64 s[4:5], vcc, s[4:5]
	s_waitcnt vmcnt(0) lgkmcnt(0)
	v_fmac_f64_e32 v[102:103], v[140:141], v[142:143]
	s_andn2_b64 exec, exec, s[4:5]
	s_cbranch_execnz .LBB49_173
; %bb.174:
	s_or_b64 exec, exec, s[4:5]
.LBB49_175:
	s_or_b64 exec, exec, s[12:13]
	v_mov_b32_e32 v137, 0
	ds_read_b64 v[138:139], v137 offset:248
	s_waitcnt lgkmcnt(0)
	v_mul_f64 v[102:103], v[102:103], v[138:139]
	buffer_store_dword v103, off, s[0:3], 0 offset:252
	buffer_store_dword v102, off, s[0:3], 0 offset:248
.LBB49_176:
	s_or_b64 exec, exec, s[10:11]
	buffer_load_dword v102, off, s[0:3], 0 offset:240
	buffer_load_dword v103, off, s[0:3], 0 offset:244
	v_cmp_lt_u32_e64 s[4:5], 30, v0
	s_waitcnt vmcnt(0)
	ds_write_b64 v104, v[102:103]
	s_waitcnt lgkmcnt(0)
	; wave barrier
	s_waitcnt lgkmcnt(0)
	s_and_saveexec_b64 s[10:11], s[4:5]
	s_cbranch_execz .LBB49_186
; %bb.177:
	s_andn2_b64 vcc, exec, s[8:9]
	s_cbranch_vccnz .LBB49_179
; %bb.178:
	buffer_load_dword v102, v105, s[0:3], 0 offen
	buffer_load_dword v103, v105, s[0:3], 0 offen offset:4
	ds_read_b64 v[138:139], v104
	s_waitcnt vmcnt(0) lgkmcnt(0)
	v_mul_f64 v[102:103], v[102:103], v[138:139]
	s_cbranch_execz .LBB49_180
	s_branch .LBB49_181
.LBB49_179:
                                        ; implicit-def: $vgpr102_vgpr103
.LBB49_180:
	ds_read_b64 v[102:103], v104
.LBB49_181:
	s_and_saveexec_b64 s[12:13], s[6:7]
	s_cbranch_execz .LBB49_185
; %bb.182:
	v_subrev_u32_e32 v137, 31, v0
	s_movk_i32 s14, 0x288
	s_mov_b64 s[6:7], 0
.LBB49_183:                             ; =>This Inner Loop Header: Depth=1
	buffer_load_dword v138, v136, s[0:3], 0 offen
	buffer_load_dword v139, v136, s[0:3], 0 offen offset:4
	v_mov_b32_e32 v140, s14
	ds_read_b64 v[140:141], v140
	v_add_u32_e32 v137, -1, v137
	s_add_i32 s14, s14, 8
	v_cmp_eq_u32_e32 vcc, 0, v137
	v_add_u32_e32 v136, 8, v136
	s_or_b64 s[6:7], vcc, s[6:7]
	s_waitcnt vmcnt(0) lgkmcnt(0)
	v_fmac_f64_e32 v[102:103], v[138:139], v[140:141]
	s_andn2_b64 exec, exec, s[6:7]
	s_cbranch_execnz .LBB49_183
; %bb.184:
	s_or_b64 exec, exec, s[6:7]
.LBB49_185:
	s_or_b64 exec, exec, s[12:13]
	v_mov_b32_e32 v136, 0
	ds_read_b64 v[136:137], v136 offset:240
	s_waitcnt lgkmcnt(0)
	v_mul_f64 v[102:103], v[102:103], v[136:137]
	buffer_store_dword v103, off, s[0:3], 0 offset:244
	buffer_store_dword v102, off, s[0:3], 0 offset:240
.LBB49_186:
	s_or_b64 exec, exec, s[10:11]
	buffer_load_dword v102, off, s[0:3], 0 offset:232
	buffer_load_dword v103, off, s[0:3], 0 offset:236
	v_cmp_lt_u32_e64 s[6:7], 29, v0
	s_waitcnt vmcnt(0)
	ds_write_b64 v104, v[102:103]
	s_waitcnt lgkmcnt(0)
	; wave barrier
	s_waitcnt lgkmcnt(0)
	s_and_saveexec_b64 s[10:11], s[6:7]
	s_cbranch_execz .LBB49_196
; %bb.187:
	s_andn2_b64 vcc, exec, s[8:9]
	s_cbranch_vccnz .LBB49_189
; %bb.188:
	buffer_load_dword v102, v105, s[0:3], 0 offen
	buffer_load_dword v103, v105, s[0:3], 0 offen offset:4
	ds_read_b64 v[136:137], v104
	s_waitcnt vmcnt(0) lgkmcnt(0)
	v_mul_f64 v[102:103], v[102:103], v[136:137]
	s_cbranch_execz .LBB49_190
	s_branch .LBB49_191
.LBB49_189:
                                        ; implicit-def: $vgpr102_vgpr103
.LBB49_190:
	ds_read_b64 v[102:103], v104
.LBB49_191:
	s_and_saveexec_b64 s[12:13], s[4:5]
	s_cbranch_execz .LBB49_195
; %bb.192:
	v_subrev_u32_e32 v136, 30, v0
	s_movk_i32 s14, 0x280
	s_mov_b64 s[4:5], 0
.LBB49_193:                             ; =>This Inner Loop Header: Depth=1
	buffer_load_dword v138, v135, s[0:3], 0 offen
	buffer_load_dword v139, v135, s[0:3], 0 offen offset:4
	v_mov_b32_e32 v137, s14
	ds_read_b64 v[140:141], v137
	v_add_u32_e32 v136, -1, v136
	s_add_i32 s14, s14, 8
	v_cmp_eq_u32_e32 vcc, 0, v136
	v_add_u32_e32 v135, 8, v135
	s_or_b64 s[4:5], vcc, s[4:5]
	s_waitcnt vmcnt(0) lgkmcnt(0)
	v_fmac_f64_e32 v[102:103], v[138:139], v[140:141]
	s_andn2_b64 exec, exec, s[4:5]
	s_cbranch_execnz .LBB49_193
; %bb.194:
	s_or_b64 exec, exec, s[4:5]
.LBB49_195:
	s_or_b64 exec, exec, s[12:13]
	v_mov_b32_e32 v135, 0
	ds_read_b64 v[136:137], v135 offset:232
	s_waitcnt lgkmcnt(0)
	v_mul_f64 v[102:103], v[102:103], v[136:137]
	buffer_store_dword v103, off, s[0:3], 0 offset:236
	buffer_store_dword v102, off, s[0:3], 0 offset:232
.LBB49_196:
	s_or_b64 exec, exec, s[10:11]
	buffer_load_dword v102, off, s[0:3], 0 offset:224
	buffer_load_dword v103, off, s[0:3], 0 offset:228
	v_cmp_lt_u32_e64 s[4:5], 28, v0
	s_waitcnt vmcnt(0)
	ds_write_b64 v104, v[102:103]
	s_waitcnt lgkmcnt(0)
	; wave barrier
	s_waitcnt lgkmcnt(0)
	s_and_saveexec_b64 s[10:11], s[4:5]
	s_cbranch_execz .LBB49_206
; %bb.197:
	s_andn2_b64 vcc, exec, s[8:9]
	s_cbranch_vccnz .LBB49_199
; %bb.198:
	buffer_load_dword v102, v105, s[0:3], 0 offen
	buffer_load_dword v103, v105, s[0:3], 0 offen offset:4
	ds_read_b64 v[136:137], v104
	s_waitcnt vmcnt(0) lgkmcnt(0)
	v_mul_f64 v[102:103], v[102:103], v[136:137]
	s_cbranch_execz .LBB49_200
	s_branch .LBB49_201
.LBB49_199:
                                        ; implicit-def: $vgpr102_vgpr103
.LBB49_200:
	ds_read_b64 v[102:103], v104
.LBB49_201:
	s_and_saveexec_b64 s[12:13], s[6:7]
	s_cbranch_execz .LBB49_205
; %bb.202:
	v_subrev_u32_e32 v135, 29, v0
	s_movk_i32 s14, 0x278
	s_mov_b64 s[6:7], 0
.LBB49_203:                             ; =>This Inner Loop Header: Depth=1
	buffer_load_dword v136, v134, s[0:3], 0 offen
	buffer_load_dword v137, v134, s[0:3], 0 offen offset:4
	v_mov_b32_e32 v138, s14
	ds_read_b64 v[138:139], v138
	v_add_u32_e32 v135, -1, v135
	s_add_i32 s14, s14, 8
	v_cmp_eq_u32_e32 vcc, 0, v135
	v_add_u32_e32 v134, 8, v134
	s_or_b64 s[6:7], vcc, s[6:7]
	s_waitcnt vmcnt(0) lgkmcnt(0)
	v_fmac_f64_e32 v[102:103], v[136:137], v[138:139]
	s_andn2_b64 exec, exec, s[6:7]
	s_cbranch_execnz .LBB49_203
; %bb.204:
	s_or_b64 exec, exec, s[6:7]
.LBB49_205:
	s_or_b64 exec, exec, s[12:13]
	v_mov_b32_e32 v134, 0
	ds_read_b64 v[134:135], v134 offset:224
	s_waitcnt lgkmcnt(0)
	v_mul_f64 v[102:103], v[102:103], v[134:135]
	buffer_store_dword v103, off, s[0:3], 0 offset:228
	buffer_store_dword v102, off, s[0:3], 0 offset:224
.LBB49_206:
	s_or_b64 exec, exec, s[10:11]
	buffer_load_dword v102, off, s[0:3], 0 offset:216
	buffer_load_dword v103, off, s[0:3], 0 offset:220
	v_cmp_lt_u32_e64 s[6:7], 27, v0
	s_waitcnt vmcnt(0)
	ds_write_b64 v104, v[102:103]
	s_waitcnt lgkmcnt(0)
	; wave barrier
	s_waitcnt lgkmcnt(0)
	s_and_saveexec_b64 s[10:11], s[6:7]
	s_cbranch_execz .LBB49_216
; %bb.207:
	s_andn2_b64 vcc, exec, s[8:9]
	s_cbranch_vccnz .LBB49_209
; %bb.208:
	buffer_load_dword v102, v105, s[0:3], 0 offen
	buffer_load_dword v103, v105, s[0:3], 0 offen offset:4
	ds_read_b64 v[134:135], v104
	s_waitcnt vmcnt(0) lgkmcnt(0)
	v_mul_f64 v[102:103], v[102:103], v[134:135]
	s_cbranch_execz .LBB49_210
	s_branch .LBB49_211
.LBB49_209:
                                        ; implicit-def: $vgpr102_vgpr103
.LBB49_210:
	ds_read_b64 v[102:103], v104
.LBB49_211:
	s_and_saveexec_b64 s[12:13], s[4:5]
	s_cbranch_execz .LBB49_215
; %bb.212:
	v_subrev_u32_e32 v134, 28, v0
	s_movk_i32 s14, 0x270
	s_mov_b64 s[4:5], 0
.LBB49_213:                             ; =>This Inner Loop Header: Depth=1
	buffer_load_dword v136, v133, s[0:3], 0 offen
	buffer_load_dword v137, v133, s[0:3], 0 offen offset:4
	v_mov_b32_e32 v135, s14
	ds_read_b64 v[138:139], v135
	v_add_u32_e32 v134, -1, v134
	s_add_i32 s14, s14, 8
	v_cmp_eq_u32_e32 vcc, 0, v134
	v_add_u32_e32 v133, 8, v133
	s_or_b64 s[4:5], vcc, s[4:5]
	s_waitcnt vmcnt(0) lgkmcnt(0)
	v_fmac_f64_e32 v[102:103], v[136:137], v[138:139]
	s_andn2_b64 exec, exec, s[4:5]
	s_cbranch_execnz .LBB49_213
; %bb.214:
	s_or_b64 exec, exec, s[4:5]
.LBB49_215:
	s_or_b64 exec, exec, s[12:13]
	v_mov_b32_e32 v133, 0
	ds_read_b64 v[134:135], v133 offset:216
	s_waitcnt lgkmcnt(0)
	v_mul_f64 v[102:103], v[102:103], v[134:135]
	buffer_store_dword v103, off, s[0:3], 0 offset:220
	buffer_store_dword v102, off, s[0:3], 0 offset:216
.LBB49_216:
	s_or_b64 exec, exec, s[10:11]
	buffer_load_dword v102, off, s[0:3], 0 offset:208
	buffer_load_dword v103, off, s[0:3], 0 offset:212
	v_cmp_lt_u32_e64 s[4:5], 26, v0
	s_waitcnt vmcnt(0)
	ds_write_b64 v104, v[102:103]
	s_waitcnt lgkmcnt(0)
	; wave barrier
	s_waitcnt lgkmcnt(0)
	s_and_saveexec_b64 s[10:11], s[4:5]
	s_cbranch_execz .LBB49_226
; %bb.217:
	s_andn2_b64 vcc, exec, s[8:9]
	s_cbranch_vccnz .LBB49_219
; %bb.218:
	buffer_load_dword v102, v105, s[0:3], 0 offen
	buffer_load_dword v103, v105, s[0:3], 0 offen offset:4
	ds_read_b64 v[134:135], v104
	s_waitcnt vmcnt(0) lgkmcnt(0)
	v_mul_f64 v[102:103], v[102:103], v[134:135]
	s_cbranch_execz .LBB49_220
	s_branch .LBB49_221
.LBB49_219:
                                        ; implicit-def: $vgpr102_vgpr103
.LBB49_220:
	ds_read_b64 v[102:103], v104
.LBB49_221:
	s_and_saveexec_b64 s[12:13], s[6:7]
	s_cbranch_execz .LBB49_225
; %bb.222:
	v_subrev_u32_e32 v133, 27, v0
	s_movk_i32 s14, 0x268
	s_mov_b64 s[6:7], 0
.LBB49_223:                             ; =>This Inner Loop Header: Depth=1
	buffer_load_dword v134, v132, s[0:3], 0 offen
	buffer_load_dword v135, v132, s[0:3], 0 offen offset:4
	v_mov_b32_e32 v136, s14
	ds_read_b64 v[136:137], v136
	v_add_u32_e32 v133, -1, v133
	s_add_i32 s14, s14, 8
	v_cmp_eq_u32_e32 vcc, 0, v133
	v_add_u32_e32 v132, 8, v132
	s_or_b64 s[6:7], vcc, s[6:7]
	s_waitcnt vmcnt(0) lgkmcnt(0)
	v_fmac_f64_e32 v[102:103], v[134:135], v[136:137]
	s_andn2_b64 exec, exec, s[6:7]
	s_cbranch_execnz .LBB49_223
; %bb.224:
	s_or_b64 exec, exec, s[6:7]
.LBB49_225:
	s_or_b64 exec, exec, s[12:13]
	v_mov_b32_e32 v132, 0
	ds_read_b64 v[132:133], v132 offset:208
	s_waitcnt lgkmcnt(0)
	v_mul_f64 v[102:103], v[102:103], v[132:133]
	buffer_store_dword v103, off, s[0:3], 0 offset:212
	buffer_store_dword v102, off, s[0:3], 0 offset:208
.LBB49_226:
	s_or_b64 exec, exec, s[10:11]
	buffer_load_dword v102, off, s[0:3], 0 offset:200
	buffer_load_dword v103, off, s[0:3], 0 offset:204
	v_cmp_lt_u32_e64 s[6:7], 25, v0
	s_waitcnt vmcnt(0)
	ds_write_b64 v104, v[102:103]
	s_waitcnt lgkmcnt(0)
	; wave barrier
	s_waitcnt lgkmcnt(0)
	s_and_saveexec_b64 s[10:11], s[6:7]
	s_cbranch_execz .LBB49_236
; %bb.227:
	s_andn2_b64 vcc, exec, s[8:9]
	s_cbranch_vccnz .LBB49_229
; %bb.228:
	buffer_load_dword v102, v105, s[0:3], 0 offen
	buffer_load_dword v103, v105, s[0:3], 0 offen offset:4
	ds_read_b64 v[132:133], v104
	s_waitcnt vmcnt(0) lgkmcnt(0)
	v_mul_f64 v[102:103], v[102:103], v[132:133]
	s_cbranch_execz .LBB49_230
	s_branch .LBB49_231
.LBB49_229:
                                        ; implicit-def: $vgpr102_vgpr103
.LBB49_230:
	ds_read_b64 v[102:103], v104
.LBB49_231:
	s_and_saveexec_b64 s[12:13], s[4:5]
	s_cbranch_execz .LBB49_235
; %bb.232:
	v_subrev_u32_e32 v132, 26, v0
	s_movk_i32 s14, 0x260
	s_mov_b64 s[4:5], 0
.LBB49_233:                             ; =>This Inner Loop Header: Depth=1
	buffer_load_dword v134, v131, s[0:3], 0 offen
	buffer_load_dword v135, v131, s[0:3], 0 offen offset:4
	v_mov_b32_e32 v133, s14
	ds_read_b64 v[136:137], v133
	v_add_u32_e32 v132, -1, v132
	s_add_i32 s14, s14, 8
	v_cmp_eq_u32_e32 vcc, 0, v132
	v_add_u32_e32 v131, 8, v131
	s_or_b64 s[4:5], vcc, s[4:5]
	s_waitcnt vmcnt(0) lgkmcnt(0)
	v_fmac_f64_e32 v[102:103], v[134:135], v[136:137]
	s_andn2_b64 exec, exec, s[4:5]
	s_cbranch_execnz .LBB49_233
; %bb.234:
	s_or_b64 exec, exec, s[4:5]
.LBB49_235:
	s_or_b64 exec, exec, s[12:13]
	v_mov_b32_e32 v131, 0
	ds_read_b64 v[132:133], v131 offset:200
	s_waitcnt lgkmcnt(0)
	v_mul_f64 v[102:103], v[102:103], v[132:133]
	buffer_store_dword v103, off, s[0:3], 0 offset:204
	buffer_store_dword v102, off, s[0:3], 0 offset:200
.LBB49_236:
	s_or_b64 exec, exec, s[10:11]
	buffer_load_dword v102, off, s[0:3], 0 offset:192
	buffer_load_dword v103, off, s[0:3], 0 offset:196
	v_cmp_lt_u32_e64 s[4:5], 24, v0
	s_waitcnt vmcnt(0)
	ds_write_b64 v104, v[102:103]
	s_waitcnt lgkmcnt(0)
	; wave barrier
	s_waitcnt lgkmcnt(0)
	s_and_saveexec_b64 s[10:11], s[4:5]
	s_cbranch_execz .LBB49_246
; %bb.237:
	s_andn2_b64 vcc, exec, s[8:9]
	s_cbranch_vccnz .LBB49_239
; %bb.238:
	buffer_load_dword v102, v105, s[0:3], 0 offen
	buffer_load_dword v103, v105, s[0:3], 0 offen offset:4
	ds_read_b64 v[132:133], v104
	s_waitcnt vmcnt(0) lgkmcnt(0)
	v_mul_f64 v[102:103], v[102:103], v[132:133]
	s_cbranch_execz .LBB49_240
	s_branch .LBB49_241
.LBB49_239:
                                        ; implicit-def: $vgpr102_vgpr103
.LBB49_240:
	ds_read_b64 v[102:103], v104
.LBB49_241:
	s_and_saveexec_b64 s[12:13], s[6:7]
	s_cbranch_execz .LBB49_245
; %bb.242:
	v_subrev_u32_e32 v131, 25, v0
	s_movk_i32 s14, 0x258
	s_mov_b64 s[6:7], 0
.LBB49_243:                             ; =>This Inner Loop Header: Depth=1
	buffer_load_dword v132, v130, s[0:3], 0 offen
	buffer_load_dword v133, v130, s[0:3], 0 offen offset:4
	v_mov_b32_e32 v134, s14
	ds_read_b64 v[134:135], v134
	v_add_u32_e32 v131, -1, v131
	s_add_i32 s14, s14, 8
	v_cmp_eq_u32_e32 vcc, 0, v131
	v_add_u32_e32 v130, 8, v130
	s_or_b64 s[6:7], vcc, s[6:7]
	s_waitcnt vmcnt(0) lgkmcnt(0)
	v_fmac_f64_e32 v[102:103], v[132:133], v[134:135]
	s_andn2_b64 exec, exec, s[6:7]
	s_cbranch_execnz .LBB49_243
; %bb.244:
	s_or_b64 exec, exec, s[6:7]
.LBB49_245:
	s_or_b64 exec, exec, s[12:13]
	v_mov_b32_e32 v130, 0
	ds_read_b64 v[130:131], v130 offset:192
	s_waitcnt lgkmcnt(0)
	v_mul_f64 v[102:103], v[102:103], v[130:131]
	buffer_store_dword v103, off, s[0:3], 0 offset:196
	buffer_store_dword v102, off, s[0:3], 0 offset:192
.LBB49_246:
	s_or_b64 exec, exec, s[10:11]
	buffer_load_dword v102, off, s[0:3], 0 offset:184
	buffer_load_dword v103, off, s[0:3], 0 offset:188
	v_cmp_lt_u32_e64 s[6:7], 23, v0
	s_waitcnt vmcnt(0)
	ds_write_b64 v104, v[102:103]
	s_waitcnt lgkmcnt(0)
	; wave barrier
	s_waitcnt lgkmcnt(0)
	s_and_saveexec_b64 s[10:11], s[6:7]
	s_cbranch_execz .LBB49_256
; %bb.247:
	s_andn2_b64 vcc, exec, s[8:9]
	s_cbranch_vccnz .LBB49_249
; %bb.248:
	buffer_load_dword v102, v105, s[0:3], 0 offen
	buffer_load_dword v103, v105, s[0:3], 0 offen offset:4
	ds_read_b64 v[130:131], v104
	s_waitcnt vmcnt(0) lgkmcnt(0)
	v_mul_f64 v[102:103], v[102:103], v[130:131]
	s_cbranch_execz .LBB49_250
	s_branch .LBB49_251
.LBB49_249:
                                        ; implicit-def: $vgpr102_vgpr103
.LBB49_250:
	ds_read_b64 v[102:103], v104
.LBB49_251:
	s_and_saveexec_b64 s[12:13], s[4:5]
	s_cbranch_execz .LBB49_255
; %bb.252:
	v_subrev_u32_e32 v130, 24, v0
	s_movk_i32 s14, 0x250
	s_mov_b64 s[4:5], 0
.LBB49_253:                             ; =>This Inner Loop Header: Depth=1
	buffer_load_dword v132, v129, s[0:3], 0 offen
	buffer_load_dword v133, v129, s[0:3], 0 offen offset:4
	v_mov_b32_e32 v131, s14
	ds_read_b64 v[134:135], v131
	v_add_u32_e32 v130, -1, v130
	s_add_i32 s14, s14, 8
	v_cmp_eq_u32_e32 vcc, 0, v130
	v_add_u32_e32 v129, 8, v129
	s_or_b64 s[4:5], vcc, s[4:5]
	s_waitcnt vmcnt(0) lgkmcnt(0)
	v_fmac_f64_e32 v[102:103], v[132:133], v[134:135]
	s_andn2_b64 exec, exec, s[4:5]
	s_cbranch_execnz .LBB49_253
; %bb.254:
	s_or_b64 exec, exec, s[4:5]
.LBB49_255:
	s_or_b64 exec, exec, s[12:13]
	v_mov_b32_e32 v129, 0
	ds_read_b64 v[130:131], v129 offset:184
	s_waitcnt lgkmcnt(0)
	v_mul_f64 v[102:103], v[102:103], v[130:131]
	buffer_store_dword v103, off, s[0:3], 0 offset:188
	buffer_store_dword v102, off, s[0:3], 0 offset:184
.LBB49_256:
	s_or_b64 exec, exec, s[10:11]
	buffer_load_dword v102, off, s[0:3], 0 offset:176
	buffer_load_dword v103, off, s[0:3], 0 offset:180
	v_cmp_lt_u32_e64 s[4:5], 22, v0
	s_waitcnt vmcnt(0)
	ds_write_b64 v104, v[102:103]
	s_waitcnt lgkmcnt(0)
	; wave barrier
	s_waitcnt lgkmcnt(0)
	s_and_saveexec_b64 s[10:11], s[4:5]
	s_cbranch_execz .LBB49_266
; %bb.257:
	s_andn2_b64 vcc, exec, s[8:9]
	s_cbranch_vccnz .LBB49_259
; %bb.258:
	buffer_load_dword v102, v105, s[0:3], 0 offen
	buffer_load_dword v103, v105, s[0:3], 0 offen offset:4
	ds_read_b64 v[130:131], v104
	s_waitcnt vmcnt(0) lgkmcnt(0)
	v_mul_f64 v[102:103], v[102:103], v[130:131]
	s_cbranch_execz .LBB49_260
	s_branch .LBB49_261
.LBB49_259:
                                        ; implicit-def: $vgpr102_vgpr103
.LBB49_260:
	ds_read_b64 v[102:103], v104
.LBB49_261:
	s_and_saveexec_b64 s[12:13], s[6:7]
	s_cbranch_execz .LBB49_265
; %bb.262:
	v_subrev_u32_e32 v129, 23, v0
	s_movk_i32 s14, 0x248
	s_mov_b64 s[6:7], 0
.LBB49_263:                             ; =>This Inner Loop Header: Depth=1
	buffer_load_dword v130, v128, s[0:3], 0 offen
	buffer_load_dword v131, v128, s[0:3], 0 offen offset:4
	v_mov_b32_e32 v132, s14
	ds_read_b64 v[132:133], v132
	v_add_u32_e32 v129, -1, v129
	s_add_i32 s14, s14, 8
	v_cmp_eq_u32_e32 vcc, 0, v129
	v_add_u32_e32 v128, 8, v128
	s_or_b64 s[6:7], vcc, s[6:7]
	s_waitcnt vmcnt(0) lgkmcnt(0)
	v_fmac_f64_e32 v[102:103], v[130:131], v[132:133]
	s_andn2_b64 exec, exec, s[6:7]
	s_cbranch_execnz .LBB49_263
; %bb.264:
	s_or_b64 exec, exec, s[6:7]
.LBB49_265:
	s_or_b64 exec, exec, s[12:13]
	v_mov_b32_e32 v128, 0
	ds_read_b64 v[128:129], v128 offset:176
	s_waitcnt lgkmcnt(0)
	v_mul_f64 v[102:103], v[102:103], v[128:129]
	buffer_store_dword v103, off, s[0:3], 0 offset:180
	buffer_store_dword v102, off, s[0:3], 0 offset:176
.LBB49_266:
	s_or_b64 exec, exec, s[10:11]
	buffer_load_dword v102, off, s[0:3], 0 offset:168
	buffer_load_dword v103, off, s[0:3], 0 offset:172
	v_cmp_lt_u32_e64 s[6:7], 21, v0
	s_waitcnt vmcnt(0)
	ds_write_b64 v104, v[102:103]
	s_waitcnt lgkmcnt(0)
	; wave barrier
	s_waitcnt lgkmcnt(0)
	s_and_saveexec_b64 s[10:11], s[6:7]
	s_cbranch_execz .LBB49_276
; %bb.267:
	s_andn2_b64 vcc, exec, s[8:9]
	s_cbranch_vccnz .LBB49_269
; %bb.268:
	buffer_load_dword v102, v105, s[0:3], 0 offen
	buffer_load_dword v103, v105, s[0:3], 0 offen offset:4
	ds_read_b64 v[128:129], v104
	s_waitcnt vmcnt(0) lgkmcnt(0)
	v_mul_f64 v[102:103], v[102:103], v[128:129]
	s_cbranch_execz .LBB49_270
	s_branch .LBB49_271
.LBB49_269:
                                        ; implicit-def: $vgpr102_vgpr103
.LBB49_270:
	ds_read_b64 v[102:103], v104
.LBB49_271:
	s_and_saveexec_b64 s[12:13], s[4:5]
	s_cbranch_execz .LBB49_275
; %bb.272:
	v_subrev_u32_e32 v128, 22, v0
	s_movk_i32 s14, 0x240
	s_mov_b64 s[4:5], 0
.LBB49_273:                             ; =>This Inner Loop Header: Depth=1
	buffer_load_dword v130, v127, s[0:3], 0 offen
	buffer_load_dword v131, v127, s[0:3], 0 offen offset:4
	v_mov_b32_e32 v129, s14
	ds_read_b64 v[132:133], v129
	v_add_u32_e32 v128, -1, v128
	s_add_i32 s14, s14, 8
	v_cmp_eq_u32_e32 vcc, 0, v128
	v_add_u32_e32 v127, 8, v127
	s_or_b64 s[4:5], vcc, s[4:5]
	s_waitcnt vmcnt(0) lgkmcnt(0)
	v_fmac_f64_e32 v[102:103], v[130:131], v[132:133]
	s_andn2_b64 exec, exec, s[4:5]
	s_cbranch_execnz .LBB49_273
; %bb.274:
	s_or_b64 exec, exec, s[4:5]
.LBB49_275:
	s_or_b64 exec, exec, s[12:13]
	v_mov_b32_e32 v127, 0
	ds_read_b64 v[128:129], v127 offset:168
	s_waitcnt lgkmcnt(0)
	v_mul_f64 v[102:103], v[102:103], v[128:129]
	buffer_store_dword v103, off, s[0:3], 0 offset:172
	buffer_store_dword v102, off, s[0:3], 0 offset:168
.LBB49_276:
	s_or_b64 exec, exec, s[10:11]
	buffer_load_dword v102, off, s[0:3], 0 offset:160
	buffer_load_dword v103, off, s[0:3], 0 offset:164
	v_cmp_lt_u32_e64 s[4:5], 20, v0
	s_waitcnt vmcnt(0)
	ds_write_b64 v104, v[102:103]
	s_waitcnt lgkmcnt(0)
	; wave barrier
	s_waitcnt lgkmcnt(0)
	s_and_saveexec_b64 s[10:11], s[4:5]
	s_cbranch_execz .LBB49_286
; %bb.277:
	s_andn2_b64 vcc, exec, s[8:9]
	s_cbranch_vccnz .LBB49_279
; %bb.278:
	buffer_load_dword v102, v105, s[0:3], 0 offen
	buffer_load_dword v103, v105, s[0:3], 0 offen offset:4
	ds_read_b64 v[128:129], v104
	s_waitcnt vmcnt(0) lgkmcnt(0)
	v_mul_f64 v[102:103], v[102:103], v[128:129]
	s_cbranch_execz .LBB49_280
	s_branch .LBB49_281
.LBB49_279:
                                        ; implicit-def: $vgpr102_vgpr103
.LBB49_280:
	ds_read_b64 v[102:103], v104
.LBB49_281:
	s_and_saveexec_b64 s[12:13], s[6:7]
	s_cbranch_execz .LBB49_285
; %bb.282:
	v_subrev_u32_e32 v127, 21, v0
	s_movk_i32 s14, 0x238
	s_mov_b64 s[6:7], 0
.LBB49_283:                             ; =>This Inner Loop Header: Depth=1
	buffer_load_dword v128, v126, s[0:3], 0 offen
	buffer_load_dword v129, v126, s[0:3], 0 offen offset:4
	v_mov_b32_e32 v130, s14
	ds_read_b64 v[130:131], v130
	v_add_u32_e32 v127, -1, v127
	s_add_i32 s14, s14, 8
	v_cmp_eq_u32_e32 vcc, 0, v127
	v_add_u32_e32 v126, 8, v126
	s_or_b64 s[6:7], vcc, s[6:7]
	s_waitcnt vmcnt(0) lgkmcnt(0)
	v_fmac_f64_e32 v[102:103], v[128:129], v[130:131]
	s_andn2_b64 exec, exec, s[6:7]
	s_cbranch_execnz .LBB49_283
; %bb.284:
	s_or_b64 exec, exec, s[6:7]
.LBB49_285:
	s_or_b64 exec, exec, s[12:13]
	v_mov_b32_e32 v126, 0
	ds_read_b64 v[126:127], v126 offset:160
	s_waitcnt lgkmcnt(0)
	v_mul_f64 v[102:103], v[102:103], v[126:127]
	buffer_store_dword v103, off, s[0:3], 0 offset:164
	buffer_store_dword v102, off, s[0:3], 0 offset:160
.LBB49_286:
	s_or_b64 exec, exec, s[10:11]
	buffer_load_dword v102, off, s[0:3], 0 offset:152
	buffer_load_dword v103, off, s[0:3], 0 offset:156
	v_cmp_lt_u32_e64 s[6:7], 19, v0
	s_waitcnt vmcnt(0)
	ds_write_b64 v104, v[102:103]
	s_waitcnt lgkmcnt(0)
	; wave barrier
	s_waitcnt lgkmcnt(0)
	s_and_saveexec_b64 s[10:11], s[6:7]
	s_cbranch_execz .LBB49_296
; %bb.287:
	s_andn2_b64 vcc, exec, s[8:9]
	s_cbranch_vccnz .LBB49_289
; %bb.288:
	buffer_load_dword v102, v105, s[0:3], 0 offen
	buffer_load_dword v103, v105, s[0:3], 0 offen offset:4
	ds_read_b64 v[126:127], v104
	s_waitcnt vmcnt(0) lgkmcnt(0)
	v_mul_f64 v[102:103], v[102:103], v[126:127]
	s_cbranch_execz .LBB49_290
	s_branch .LBB49_291
.LBB49_289:
                                        ; implicit-def: $vgpr102_vgpr103
.LBB49_290:
	ds_read_b64 v[102:103], v104
.LBB49_291:
	s_and_saveexec_b64 s[12:13], s[4:5]
	s_cbranch_execz .LBB49_295
; %bb.292:
	v_subrev_u32_e32 v126, 20, v0
	s_movk_i32 s14, 0x230
	s_mov_b64 s[4:5], 0
.LBB49_293:                             ; =>This Inner Loop Header: Depth=1
	buffer_load_dword v128, v125, s[0:3], 0 offen
	buffer_load_dword v129, v125, s[0:3], 0 offen offset:4
	v_mov_b32_e32 v127, s14
	ds_read_b64 v[130:131], v127
	v_add_u32_e32 v126, -1, v126
	s_add_i32 s14, s14, 8
	v_cmp_eq_u32_e32 vcc, 0, v126
	v_add_u32_e32 v125, 8, v125
	s_or_b64 s[4:5], vcc, s[4:5]
	s_waitcnt vmcnt(0) lgkmcnt(0)
	v_fmac_f64_e32 v[102:103], v[128:129], v[130:131]
	s_andn2_b64 exec, exec, s[4:5]
	s_cbranch_execnz .LBB49_293
; %bb.294:
	s_or_b64 exec, exec, s[4:5]
.LBB49_295:
	s_or_b64 exec, exec, s[12:13]
	v_mov_b32_e32 v125, 0
	ds_read_b64 v[126:127], v125 offset:152
	s_waitcnt lgkmcnt(0)
	v_mul_f64 v[102:103], v[102:103], v[126:127]
	buffer_store_dword v103, off, s[0:3], 0 offset:156
	buffer_store_dword v102, off, s[0:3], 0 offset:152
.LBB49_296:
	s_or_b64 exec, exec, s[10:11]
	buffer_load_dword v102, off, s[0:3], 0 offset:144
	buffer_load_dword v103, off, s[0:3], 0 offset:148
	v_cmp_lt_u32_e64 s[4:5], 18, v0
	s_waitcnt vmcnt(0)
	ds_write_b64 v104, v[102:103]
	s_waitcnt lgkmcnt(0)
	; wave barrier
	s_waitcnt lgkmcnt(0)
	s_and_saveexec_b64 s[10:11], s[4:5]
	s_cbranch_execz .LBB49_306
; %bb.297:
	s_andn2_b64 vcc, exec, s[8:9]
	s_cbranch_vccnz .LBB49_299
; %bb.298:
	buffer_load_dword v102, v105, s[0:3], 0 offen
	buffer_load_dword v103, v105, s[0:3], 0 offen offset:4
	ds_read_b64 v[126:127], v104
	s_waitcnt vmcnt(0) lgkmcnt(0)
	v_mul_f64 v[102:103], v[102:103], v[126:127]
	s_cbranch_execz .LBB49_300
	s_branch .LBB49_301
.LBB49_299:
                                        ; implicit-def: $vgpr102_vgpr103
.LBB49_300:
	ds_read_b64 v[102:103], v104
.LBB49_301:
	s_and_saveexec_b64 s[12:13], s[6:7]
	s_cbranch_execz .LBB49_305
; %bb.302:
	v_subrev_u32_e32 v125, 19, v0
	s_movk_i32 s14, 0x228
	s_mov_b64 s[6:7], 0
.LBB49_303:                             ; =>This Inner Loop Header: Depth=1
	buffer_load_dword v126, v124, s[0:3], 0 offen
	buffer_load_dword v127, v124, s[0:3], 0 offen offset:4
	v_mov_b32_e32 v128, s14
	ds_read_b64 v[128:129], v128
	v_add_u32_e32 v125, -1, v125
	s_add_i32 s14, s14, 8
	v_cmp_eq_u32_e32 vcc, 0, v125
	v_add_u32_e32 v124, 8, v124
	s_or_b64 s[6:7], vcc, s[6:7]
	s_waitcnt vmcnt(0) lgkmcnt(0)
	v_fmac_f64_e32 v[102:103], v[126:127], v[128:129]
	s_andn2_b64 exec, exec, s[6:7]
	s_cbranch_execnz .LBB49_303
; %bb.304:
	s_or_b64 exec, exec, s[6:7]
.LBB49_305:
	s_or_b64 exec, exec, s[12:13]
	v_mov_b32_e32 v124, 0
	ds_read_b64 v[124:125], v124 offset:144
	s_waitcnt lgkmcnt(0)
	v_mul_f64 v[102:103], v[102:103], v[124:125]
	buffer_store_dword v103, off, s[0:3], 0 offset:148
	buffer_store_dword v102, off, s[0:3], 0 offset:144
.LBB49_306:
	s_or_b64 exec, exec, s[10:11]
	buffer_load_dword v102, off, s[0:3], 0 offset:136
	buffer_load_dword v103, off, s[0:3], 0 offset:140
	v_cmp_lt_u32_e64 s[6:7], 17, v0
	s_waitcnt vmcnt(0)
	ds_write_b64 v104, v[102:103]
	s_waitcnt lgkmcnt(0)
	; wave barrier
	s_waitcnt lgkmcnt(0)
	s_and_saveexec_b64 s[10:11], s[6:7]
	s_cbranch_execz .LBB49_316
; %bb.307:
	s_andn2_b64 vcc, exec, s[8:9]
	s_cbranch_vccnz .LBB49_309
; %bb.308:
	buffer_load_dword v102, v105, s[0:3], 0 offen
	buffer_load_dword v103, v105, s[0:3], 0 offen offset:4
	ds_read_b64 v[124:125], v104
	s_waitcnt vmcnt(0) lgkmcnt(0)
	v_mul_f64 v[102:103], v[102:103], v[124:125]
	s_cbranch_execz .LBB49_310
	s_branch .LBB49_311
.LBB49_309:
                                        ; implicit-def: $vgpr102_vgpr103
.LBB49_310:
	ds_read_b64 v[102:103], v104
.LBB49_311:
	s_and_saveexec_b64 s[12:13], s[4:5]
	s_cbranch_execz .LBB49_315
; %bb.312:
	v_subrev_u32_e32 v124, 18, v0
	s_movk_i32 s14, 0x220
	s_mov_b64 s[4:5], 0
.LBB49_313:                             ; =>This Inner Loop Header: Depth=1
	buffer_load_dword v126, v123, s[0:3], 0 offen
	buffer_load_dword v127, v123, s[0:3], 0 offen offset:4
	v_mov_b32_e32 v125, s14
	ds_read_b64 v[128:129], v125
	v_add_u32_e32 v124, -1, v124
	s_add_i32 s14, s14, 8
	v_cmp_eq_u32_e32 vcc, 0, v124
	v_add_u32_e32 v123, 8, v123
	s_or_b64 s[4:5], vcc, s[4:5]
	s_waitcnt vmcnt(0) lgkmcnt(0)
	v_fmac_f64_e32 v[102:103], v[126:127], v[128:129]
	s_andn2_b64 exec, exec, s[4:5]
	s_cbranch_execnz .LBB49_313
; %bb.314:
	s_or_b64 exec, exec, s[4:5]
.LBB49_315:
	s_or_b64 exec, exec, s[12:13]
	v_mov_b32_e32 v123, 0
	ds_read_b64 v[124:125], v123 offset:136
	s_waitcnt lgkmcnt(0)
	v_mul_f64 v[102:103], v[102:103], v[124:125]
	buffer_store_dword v103, off, s[0:3], 0 offset:140
	buffer_store_dword v102, off, s[0:3], 0 offset:136
.LBB49_316:
	s_or_b64 exec, exec, s[10:11]
	buffer_load_dword v102, off, s[0:3], 0 offset:128
	buffer_load_dword v103, off, s[0:3], 0 offset:132
	v_cmp_lt_u32_e64 s[4:5], 16, v0
	s_waitcnt vmcnt(0)
	ds_write_b64 v104, v[102:103]
	s_waitcnt lgkmcnt(0)
	; wave barrier
	s_waitcnt lgkmcnt(0)
	s_and_saveexec_b64 s[10:11], s[4:5]
	s_cbranch_execz .LBB49_326
; %bb.317:
	s_andn2_b64 vcc, exec, s[8:9]
	s_cbranch_vccnz .LBB49_319
; %bb.318:
	buffer_load_dword v102, v105, s[0:3], 0 offen
	buffer_load_dword v103, v105, s[0:3], 0 offen offset:4
	ds_read_b64 v[124:125], v104
	s_waitcnt vmcnt(0) lgkmcnt(0)
	v_mul_f64 v[102:103], v[102:103], v[124:125]
	s_cbranch_execz .LBB49_320
	s_branch .LBB49_321
.LBB49_319:
                                        ; implicit-def: $vgpr102_vgpr103
.LBB49_320:
	ds_read_b64 v[102:103], v104
.LBB49_321:
	s_and_saveexec_b64 s[12:13], s[6:7]
	s_cbranch_execz .LBB49_325
; %bb.322:
	v_subrev_u32_e32 v123, 17, v0
	s_movk_i32 s14, 0x218
	s_mov_b64 s[6:7], 0
.LBB49_323:                             ; =>This Inner Loop Header: Depth=1
	buffer_load_dword v124, v122, s[0:3], 0 offen
	buffer_load_dword v125, v122, s[0:3], 0 offen offset:4
	v_mov_b32_e32 v126, s14
	ds_read_b64 v[126:127], v126
	v_add_u32_e32 v123, -1, v123
	s_add_i32 s14, s14, 8
	v_cmp_eq_u32_e32 vcc, 0, v123
	v_add_u32_e32 v122, 8, v122
	s_or_b64 s[6:7], vcc, s[6:7]
	s_waitcnt vmcnt(0) lgkmcnt(0)
	v_fmac_f64_e32 v[102:103], v[124:125], v[126:127]
	s_andn2_b64 exec, exec, s[6:7]
	s_cbranch_execnz .LBB49_323
; %bb.324:
	s_or_b64 exec, exec, s[6:7]
.LBB49_325:
	s_or_b64 exec, exec, s[12:13]
	v_mov_b32_e32 v122, 0
	ds_read_b64 v[122:123], v122 offset:128
	s_waitcnt lgkmcnt(0)
	v_mul_f64 v[102:103], v[102:103], v[122:123]
	buffer_store_dword v103, off, s[0:3], 0 offset:132
	buffer_store_dword v102, off, s[0:3], 0 offset:128
.LBB49_326:
	s_or_b64 exec, exec, s[10:11]
	buffer_load_dword v102, off, s[0:3], 0 offset:120
	buffer_load_dword v103, off, s[0:3], 0 offset:124
	v_cmp_lt_u32_e64 s[6:7], 15, v0
	s_waitcnt vmcnt(0)
	ds_write_b64 v104, v[102:103]
	s_waitcnt lgkmcnt(0)
	; wave barrier
	s_waitcnt lgkmcnt(0)
	s_and_saveexec_b64 s[10:11], s[6:7]
	s_cbranch_execz .LBB49_336
; %bb.327:
	s_andn2_b64 vcc, exec, s[8:9]
	s_cbranch_vccnz .LBB49_329
; %bb.328:
	buffer_load_dword v102, v105, s[0:3], 0 offen
	buffer_load_dword v103, v105, s[0:3], 0 offen offset:4
	ds_read_b64 v[122:123], v104
	s_waitcnt vmcnt(0) lgkmcnt(0)
	v_mul_f64 v[102:103], v[102:103], v[122:123]
	s_cbranch_execz .LBB49_330
	s_branch .LBB49_331
.LBB49_329:
                                        ; implicit-def: $vgpr102_vgpr103
.LBB49_330:
	ds_read_b64 v[102:103], v104
.LBB49_331:
	s_and_saveexec_b64 s[12:13], s[4:5]
	s_cbranch_execz .LBB49_335
; %bb.332:
	v_add_u32_e32 v122, -16, v0
	s_movk_i32 s14, 0x210
	s_mov_b64 s[4:5], 0
.LBB49_333:                             ; =>This Inner Loop Header: Depth=1
	buffer_load_dword v124, v121, s[0:3], 0 offen
	buffer_load_dword v125, v121, s[0:3], 0 offen offset:4
	v_mov_b32_e32 v123, s14
	ds_read_b64 v[126:127], v123
	v_add_u32_e32 v122, -1, v122
	s_add_i32 s14, s14, 8
	v_cmp_eq_u32_e32 vcc, 0, v122
	v_add_u32_e32 v121, 8, v121
	s_or_b64 s[4:5], vcc, s[4:5]
	s_waitcnt vmcnt(0) lgkmcnt(0)
	v_fmac_f64_e32 v[102:103], v[124:125], v[126:127]
	s_andn2_b64 exec, exec, s[4:5]
	s_cbranch_execnz .LBB49_333
; %bb.334:
	s_or_b64 exec, exec, s[4:5]
.LBB49_335:
	s_or_b64 exec, exec, s[12:13]
	v_mov_b32_e32 v121, 0
	ds_read_b64 v[122:123], v121 offset:120
	s_waitcnt lgkmcnt(0)
	v_mul_f64 v[102:103], v[102:103], v[122:123]
	buffer_store_dword v103, off, s[0:3], 0 offset:124
	buffer_store_dword v102, off, s[0:3], 0 offset:120
.LBB49_336:
	s_or_b64 exec, exec, s[10:11]
	buffer_load_dword v102, off, s[0:3], 0 offset:112
	buffer_load_dword v103, off, s[0:3], 0 offset:116
	v_cmp_lt_u32_e64 s[4:5], 14, v0
	s_waitcnt vmcnt(0)
	ds_write_b64 v104, v[102:103]
	s_waitcnt lgkmcnt(0)
	; wave barrier
	s_waitcnt lgkmcnt(0)
	s_and_saveexec_b64 s[10:11], s[4:5]
	s_cbranch_execz .LBB49_346
; %bb.337:
	s_andn2_b64 vcc, exec, s[8:9]
	s_cbranch_vccnz .LBB49_339
; %bb.338:
	buffer_load_dword v102, v105, s[0:3], 0 offen
	buffer_load_dword v103, v105, s[0:3], 0 offen offset:4
	ds_read_b64 v[122:123], v104
	s_waitcnt vmcnt(0) lgkmcnt(0)
	v_mul_f64 v[102:103], v[102:103], v[122:123]
	s_cbranch_execz .LBB49_340
	s_branch .LBB49_341
.LBB49_339:
                                        ; implicit-def: $vgpr102_vgpr103
.LBB49_340:
	ds_read_b64 v[102:103], v104
.LBB49_341:
	s_and_saveexec_b64 s[12:13], s[6:7]
	s_cbranch_execz .LBB49_345
; %bb.342:
	v_add_u32_e32 v121, -15, v0
	s_movk_i32 s14, 0x208
	s_mov_b64 s[6:7], 0
.LBB49_343:                             ; =>This Inner Loop Header: Depth=1
	buffer_load_dword v122, v120, s[0:3], 0 offen
	buffer_load_dword v123, v120, s[0:3], 0 offen offset:4
	v_mov_b32_e32 v124, s14
	ds_read_b64 v[124:125], v124
	v_add_u32_e32 v121, -1, v121
	s_add_i32 s14, s14, 8
	v_cmp_eq_u32_e32 vcc, 0, v121
	v_add_u32_e32 v120, 8, v120
	s_or_b64 s[6:7], vcc, s[6:7]
	s_waitcnt vmcnt(0) lgkmcnt(0)
	v_fmac_f64_e32 v[102:103], v[122:123], v[124:125]
	s_andn2_b64 exec, exec, s[6:7]
	s_cbranch_execnz .LBB49_343
; %bb.344:
	s_or_b64 exec, exec, s[6:7]
.LBB49_345:
	s_or_b64 exec, exec, s[12:13]
	v_mov_b32_e32 v120, 0
	ds_read_b64 v[120:121], v120 offset:112
	s_waitcnt lgkmcnt(0)
	v_mul_f64 v[102:103], v[102:103], v[120:121]
	buffer_store_dword v103, off, s[0:3], 0 offset:116
	buffer_store_dword v102, off, s[0:3], 0 offset:112
.LBB49_346:
	;; [unrolled: 58-line block ×15, first 2 shown]
	s_or_b64 exec, exec, s[10:11]
	buffer_load_dword v102, off, s[0:3], 0
	buffer_load_dword v103, off, s[0:3], 0 offset:4
	v_cmp_ne_u32_e32 vcc, 0, v0
	s_waitcnt vmcnt(0)
	ds_write_b64 v104, v[102:103]
	s_waitcnt lgkmcnt(0)
	; wave barrier
	s_waitcnt lgkmcnt(0)
	s_and_saveexec_b64 s[4:5], vcc
	s_cbranch_execz .LBB49_486
; %bb.477:
	s_andn2_b64 vcc, exec, s[8:9]
	s_cbranch_vccnz .LBB49_479
; %bb.478:
	buffer_load_dword v102, v105, s[0:3], 0 offen
	buffer_load_dword v103, v105, s[0:3], 0 offen offset:4
	ds_read_b64 v[108:109], v104
	s_waitcnt vmcnt(0) lgkmcnt(0)
	v_mul_f64 v[102:103], v[102:103], v[108:109]
	s_cbranch_execz .LBB49_480
	s_branch .LBB49_481
.LBB49_479:
                                        ; implicit-def: $vgpr102_vgpr103
.LBB49_480:
	ds_read_b64 v[102:103], v104
.LBB49_481:
	s_and_saveexec_b64 s[10:11], s[6:7]
	s_cbranch_execz .LBB49_485
; %bb.482:
	v_add_u32_e32 v107, -1, v0
	s_movk_i32 s12, 0x198
	s_mov_b64 s[6:7], 0
.LBB49_483:                             ; =>This Inner Loop Header: Depth=1
	buffer_load_dword v108, v106, s[0:3], 0 offen
	buffer_load_dword v109, v106, s[0:3], 0 offen offset:4
	v_mov_b32_e32 v110, s12
	ds_read_b64 v[110:111], v110
	v_add_u32_e32 v107, -1, v107
	s_add_i32 s12, s12, 8
	v_cmp_eq_u32_e32 vcc, 0, v107
	v_add_u32_e32 v106, 8, v106
	s_or_b64 s[6:7], vcc, s[6:7]
	s_waitcnt vmcnt(0) lgkmcnt(0)
	v_fmac_f64_e32 v[102:103], v[108:109], v[110:111]
	s_andn2_b64 exec, exec, s[6:7]
	s_cbranch_execnz .LBB49_483
; %bb.484:
	s_or_b64 exec, exec, s[6:7]
.LBB49_485:
	s_or_b64 exec, exec, s[10:11]
	v_mov_b32_e32 v106, 0
	ds_read_b64 v[106:107], v106
	s_waitcnt lgkmcnt(0)
	v_mul_f64 v[102:103], v[102:103], v[106:107]
	buffer_store_dword v103, off, s[0:3], 0 offset:4
	buffer_store_dword v102, off, s[0:3], 0
.LBB49_486:
	s_or_b64 exec, exec, s[4:5]
	s_mov_b64 s[4:5], 0
.LBB49_487:
	s_and_b64 vcc, exec, s[4:5]
	s_cbranch_vccz .LBB49_971
; %bb.488:
	buffer_load_dword v102, off, s[0:3], 0 offset:8
	buffer_load_dword v103, off, s[0:3], 0 offset:12
	v_cmp_eq_u32_e64 s[6:7], 0, v0
	s_waitcnt vmcnt(0)
	ds_write_b64 v104, v[102:103]
	s_waitcnt lgkmcnt(0)
	; wave barrier
	s_waitcnt lgkmcnt(0)
	s_and_saveexec_b64 s[4:5], s[6:7]
	s_cbranch_execz .LBB49_494
; %bb.489:
	s_and_b64 vcc, exec, s[8:9]
	s_cbranch_vccz .LBB49_491
; %bb.490:
	buffer_load_dword v102, v105, s[0:3], 0 offen
	buffer_load_dword v103, v105, s[0:3], 0 offen offset:4
	ds_read_b64 v[106:107], v104
	s_waitcnt vmcnt(0) lgkmcnt(0)
	v_mul_f64 v[102:103], v[102:103], v[106:107]
	s_cbranch_execz .LBB49_492
	s_branch .LBB49_493
.LBB49_491:
                                        ; implicit-def: $vgpr102_vgpr103
.LBB49_492:
	ds_read_b64 v[102:103], v104
.LBB49_493:
	v_mov_b32_e32 v106, 0
	ds_read_b64 v[106:107], v106 offset:8
	s_waitcnt lgkmcnt(0)
	v_mul_f64 v[102:103], v[102:103], v[106:107]
	buffer_store_dword v103, off, s[0:3], 0 offset:12
	buffer_store_dword v102, off, s[0:3], 0 offset:8
.LBB49_494:
	s_or_b64 exec, exec, s[4:5]
	buffer_load_dword v102, off, s[0:3], 0 offset:16
	buffer_load_dword v103, off, s[0:3], 0 offset:20
	v_cndmask_b32_e64 v106, 0, 1, s[8:9]
	v_cmp_gt_u32_e32 vcc, 2, v0
	v_cmp_ne_u32_e64 s[4:5], 1, v106
	s_waitcnt vmcnt(0)
	ds_write_b64 v104, v[102:103]
	s_waitcnt lgkmcnt(0)
	; wave barrier
	s_waitcnt lgkmcnt(0)
	s_and_saveexec_b64 s[8:9], vcc
	s_cbranch_execz .LBB49_502
; %bb.495:
	s_and_b64 vcc, exec, s[4:5]
	s_cbranch_vccnz .LBB49_497
; %bb.496:
	buffer_load_dword v102, v105, s[0:3], 0 offen
	buffer_load_dword v103, v105, s[0:3], 0 offen offset:4
	ds_read_b64 v[106:107], v104
	s_waitcnt vmcnt(0) lgkmcnt(0)
	v_mul_f64 v[102:103], v[102:103], v[106:107]
	s_cbranch_execz .LBB49_498
	s_branch .LBB49_499
.LBB49_497:
                                        ; implicit-def: $vgpr102_vgpr103
.LBB49_498:
	ds_read_b64 v[102:103], v104
.LBB49_499:
	s_and_saveexec_b64 s[10:11], s[6:7]
	s_cbranch_execz .LBB49_501
; %bb.500:
	buffer_load_dword v106, v105, s[0:3], 0 offen offset:8
	buffer_load_dword v107, v105, s[0:3], 0 offen offset:12
	ds_read_b64 v[108:109], v104 offset:8
	s_waitcnt vmcnt(0) lgkmcnt(0)
	v_fmac_f64_e32 v[102:103], v[106:107], v[108:109]
.LBB49_501:
	s_or_b64 exec, exec, s[10:11]
	v_mov_b32_e32 v106, 0
	ds_read_b64 v[106:107], v106 offset:16
	s_waitcnt lgkmcnt(0)
	v_mul_f64 v[102:103], v[102:103], v[106:107]
	buffer_store_dword v103, off, s[0:3], 0 offset:20
	buffer_store_dword v102, off, s[0:3], 0 offset:16
.LBB49_502:
	s_or_b64 exec, exec, s[8:9]
	buffer_load_dword v102, off, s[0:3], 0 offset:24
	buffer_load_dword v103, off, s[0:3], 0 offset:28
	v_cmp_gt_u32_e32 vcc, 3, v0
	s_waitcnt vmcnt(0)
	ds_write_b64 v104, v[102:103]
	s_waitcnt lgkmcnt(0)
	; wave barrier
	s_waitcnt lgkmcnt(0)
	s_and_saveexec_b64 s[8:9], vcc
	s_cbranch_execz .LBB49_510
; %bb.503:
	s_and_b64 vcc, exec, s[4:5]
	s_cbranch_vccnz .LBB49_505
; %bb.504:
	buffer_load_dword v102, v105, s[0:3], 0 offen
	buffer_load_dword v103, v105, s[0:3], 0 offen offset:4
	ds_read_b64 v[106:107], v104
	s_waitcnt vmcnt(0) lgkmcnt(0)
	v_mul_f64 v[102:103], v[102:103], v[106:107]
	s_cbranch_execz .LBB49_506
	s_branch .LBB49_507
.LBB49_505:
                                        ; implicit-def: $vgpr102_vgpr103
.LBB49_506:
	ds_read_b64 v[102:103], v104
.LBB49_507:
	v_cmp_ne_u32_e32 vcc, 2, v0
	s_and_saveexec_b64 s[10:11], vcc
	s_cbranch_execz .LBB49_509
; %bb.508:
	buffer_load_dword v107, v105, s[0:3], 0 offen offset:12
	buffer_load_dword v108, off, s[0:3], 0 offset:16
	buffer_load_dword v106, v105, s[0:3], 0 offen offset:8
	buffer_load_dword v109, off, s[0:3], 0 offset:20
	v_mov_b32_e32 v112, 0
	ds_read_b64 v[110:111], v104 offset:8
	ds_read_b64 v[112:113], v112 offset:416
	s_waitcnt vmcnt(1) lgkmcnt(1)
	v_fmac_f64_e32 v[102:103], v[106:107], v[110:111]
	s_waitcnt vmcnt(0) lgkmcnt(0)
	v_fma_f64 v[106:107], v[108:109], v[112:113], v[102:103]
	v_cndmask_b32_e64 v103, v103, v107, s[6:7]
	v_cndmask_b32_e64 v102, v102, v106, s[6:7]
.LBB49_509:
	s_or_b64 exec, exec, s[10:11]
	v_mov_b32_e32 v106, 0
	ds_read_b64 v[106:107], v106 offset:24
	s_waitcnt lgkmcnt(0)
	v_mul_f64 v[102:103], v[102:103], v[106:107]
	buffer_store_dword v103, off, s[0:3], 0 offset:28
	buffer_store_dword v102, off, s[0:3], 0 offset:24
.LBB49_510:
	s_or_b64 exec, exec, s[8:9]
	buffer_load_dword v102, off, s[0:3], 0 offset:32
	buffer_load_dword v103, off, s[0:3], 0 offset:36
	v_cmp_gt_u32_e32 vcc, 4, v0
	s_waitcnt vmcnt(0)
	ds_write_b64 v104, v[102:103]
	s_waitcnt lgkmcnt(0)
	; wave barrier
	s_waitcnt lgkmcnt(0)
	s_and_saveexec_b64 s[6:7], vcc
	s_cbranch_execz .LBB49_520
; %bb.511:
	s_and_b64 vcc, exec, s[4:5]
	s_cbranch_vccnz .LBB49_513
; %bb.512:
	buffer_load_dword v102, v105, s[0:3], 0 offen
	buffer_load_dword v103, v105, s[0:3], 0 offen offset:4
	ds_read_b64 v[106:107], v104
	s_waitcnt vmcnt(0) lgkmcnt(0)
	v_mul_f64 v[102:103], v[102:103], v[106:107]
	s_cbranch_execz .LBB49_514
	s_branch .LBB49_515
.LBB49_513:
                                        ; implicit-def: $vgpr102_vgpr103
.LBB49_514:
	ds_read_b64 v[102:103], v104
.LBB49_515:
	v_cmp_ne_u32_e32 vcc, 3, v0
	s_and_saveexec_b64 s[8:9], vcc
	s_cbranch_execz .LBB49_519
; %bb.516:
	v_mov_b32_e32 v107, 0
	v_add_u32_e32 v106, 0x198, v1
	v_add3_u32 v107, v1, v107, 8
	s_mov_b64 s[10:11], 0
	v_mov_b32_e32 v108, v0
.LBB49_517:                             ; =>This Inner Loop Header: Depth=1
	buffer_load_dword v110, v107, s[0:3], 0 offen
	buffer_load_dword v111, v107, s[0:3], 0 offen offset:4
	ds_read_b64 v[112:113], v106
	v_add_u32_e32 v108, 1, v108
	v_cmp_lt_u32_e32 vcc, 2, v108
	v_add_u32_e32 v106, 8, v106
	v_add_u32_e32 v107, 8, v107
	s_or_b64 s[10:11], vcc, s[10:11]
	s_waitcnt vmcnt(0) lgkmcnt(0)
	v_fmac_f64_e32 v[102:103], v[110:111], v[112:113]
	s_andn2_b64 exec, exec, s[10:11]
	s_cbranch_execnz .LBB49_517
; %bb.518:
	s_or_b64 exec, exec, s[10:11]
.LBB49_519:
	s_or_b64 exec, exec, s[8:9]
	v_mov_b32_e32 v106, 0
	ds_read_b64 v[106:107], v106 offset:32
	s_waitcnt lgkmcnt(0)
	v_mul_f64 v[102:103], v[102:103], v[106:107]
	buffer_store_dword v103, off, s[0:3], 0 offset:36
	buffer_store_dword v102, off, s[0:3], 0 offset:32
.LBB49_520:
	s_or_b64 exec, exec, s[6:7]
	buffer_load_dword v102, off, s[0:3], 0 offset:40
	buffer_load_dword v103, off, s[0:3], 0 offset:44
	v_cmp_gt_u32_e32 vcc, 5, v0
	s_waitcnt vmcnt(0)
	ds_write_b64 v104, v[102:103]
	s_waitcnt lgkmcnt(0)
	; wave barrier
	s_waitcnt lgkmcnt(0)
	s_and_saveexec_b64 s[6:7], vcc
	s_cbranch_execz .LBB49_530
; %bb.521:
	s_and_b64 vcc, exec, s[4:5]
	s_cbranch_vccnz .LBB49_523
; %bb.522:
	buffer_load_dword v102, v105, s[0:3], 0 offen
	buffer_load_dword v103, v105, s[0:3], 0 offen offset:4
	ds_read_b64 v[106:107], v104
	s_waitcnt vmcnt(0) lgkmcnt(0)
	v_mul_f64 v[102:103], v[102:103], v[106:107]
	s_cbranch_execz .LBB49_524
	s_branch .LBB49_525
.LBB49_523:
                                        ; implicit-def: $vgpr102_vgpr103
.LBB49_524:
	ds_read_b64 v[102:103], v104
.LBB49_525:
	v_cmp_ne_u32_e32 vcc, 4, v0
	s_and_saveexec_b64 s[8:9], vcc
	s_cbranch_execz .LBB49_529
; %bb.526:
	v_mov_b32_e32 v107, 0
	v_add_u32_e32 v106, 0x198, v1
	v_add3_u32 v107, v1, v107, 8
	s_mov_b64 s[10:11], 0
	v_mov_b32_e32 v108, v0
.LBB49_527:                             ; =>This Inner Loop Header: Depth=1
	buffer_load_dword v110, v107, s[0:3], 0 offen
	buffer_load_dword v111, v107, s[0:3], 0 offen offset:4
	ds_read_b64 v[112:113], v106
	v_add_u32_e32 v108, 1, v108
	v_cmp_lt_u32_e32 vcc, 3, v108
	v_add_u32_e32 v106, 8, v106
	v_add_u32_e32 v107, 8, v107
	s_or_b64 s[10:11], vcc, s[10:11]
	s_waitcnt vmcnt(0) lgkmcnt(0)
	v_fmac_f64_e32 v[102:103], v[110:111], v[112:113]
	s_andn2_b64 exec, exec, s[10:11]
	s_cbranch_execnz .LBB49_527
; %bb.528:
	s_or_b64 exec, exec, s[10:11]
.LBB49_529:
	s_or_b64 exec, exec, s[8:9]
	v_mov_b32_e32 v106, 0
	ds_read_b64 v[106:107], v106 offset:40
	s_waitcnt lgkmcnt(0)
	v_mul_f64 v[102:103], v[102:103], v[106:107]
	buffer_store_dword v103, off, s[0:3], 0 offset:44
	buffer_store_dword v102, off, s[0:3], 0 offset:40
.LBB49_530:
	;; [unrolled: 60-line block ×44, first 2 shown]
	s_or_b64 exec, exec, s[6:7]
	buffer_load_dword v102, off, s[0:3], 0 offset:384
	buffer_load_dword v103, off, s[0:3], 0 offset:388
	v_cmp_gt_u32_e64 s[6:7], 48, v0
	s_waitcnt vmcnt(0)
	ds_write_b64 v104, v[102:103]
	s_waitcnt lgkmcnt(0)
	; wave barrier
	s_waitcnt lgkmcnt(0)
	s_and_saveexec_b64 s[8:9], s[6:7]
	s_cbranch_execz .LBB49_960
; %bb.951:
	s_and_b64 vcc, exec, s[4:5]
	s_cbranch_vccnz .LBB49_953
; %bb.952:
	buffer_load_dword v102, v105, s[0:3], 0 offen
	buffer_load_dword v103, v105, s[0:3], 0 offen offset:4
	ds_read_b64 v[106:107], v104
	s_waitcnt vmcnt(0) lgkmcnt(0)
	v_mul_f64 v[102:103], v[102:103], v[106:107]
	s_cbranch_execz .LBB49_954
	s_branch .LBB49_955
.LBB49_953:
                                        ; implicit-def: $vgpr102_vgpr103
.LBB49_954:
	ds_read_b64 v[102:103], v104
.LBB49_955:
	v_cmp_ne_u32_e32 vcc, 47, v0
	s_and_saveexec_b64 s[10:11], vcc
	s_cbranch_execz .LBB49_959
; %bb.956:
	v_mov_b32_e32 v107, 0
	v_add_u32_e32 v106, 0x198, v1
	v_add3_u32 v107, v1, v107, 8
	s_mov_b64 s[12:13], 0
	v_mov_b32_e32 v108, v0
.LBB49_957:                             ; =>This Inner Loop Header: Depth=1
	buffer_load_dword v110, v107, s[0:3], 0 offen
	buffer_load_dword v111, v107, s[0:3], 0 offen offset:4
	ds_read_b64 v[112:113], v106
	v_add_u32_e32 v108, 1, v108
	v_cmp_lt_u32_e32 vcc, 46, v108
	v_add_u32_e32 v106, 8, v106
	v_add_u32_e32 v107, 8, v107
	s_or_b64 s[12:13], vcc, s[12:13]
	s_waitcnt vmcnt(0) lgkmcnt(0)
	v_fmac_f64_e32 v[102:103], v[110:111], v[112:113]
	s_andn2_b64 exec, exec, s[12:13]
	s_cbranch_execnz .LBB49_957
; %bb.958:
	s_or_b64 exec, exec, s[12:13]
.LBB49_959:
	s_or_b64 exec, exec, s[10:11]
	v_mov_b32_e32 v106, 0
	ds_read_b64 v[106:107], v106 offset:384
	s_waitcnt lgkmcnt(0)
	v_mul_f64 v[102:103], v[102:103], v[106:107]
	buffer_store_dword v103, off, s[0:3], 0 offset:388
	buffer_store_dword v102, off, s[0:3], 0 offset:384
.LBB49_960:
	s_or_b64 exec, exec, s[8:9]
	buffer_load_dword v102, off, s[0:3], 0 offset:392
	buffer_load_dword v103, off, s[0:3], 0 offset:396
	v_cmp_ne_u32_e32 vcc, 49, v0
	s_waitcnt vmcnt(0)
	ds_write_b64 v104, v[102:103]
	s_waitcnt lgkmcnt(0)
	; wave barrier
	s_waitcnt lgkmcnt(0)
	s_and_saveexec_b64 s[8:9], vcc
	s_cbranch_execz .LBB49_970
; %bb.961:
	s_and_b64 vcc, exec, s[4:5]
	s_cbranch_vccnz .LBB49_963
; %bb.962:
	buffer_load_dword v102, v105, s[0:3], 0 offen
	buffer_load_dword v103, v105, s[0:3], 0 offen offset:4
	ds_read_b64 v[106:107], v104
	s_waitcnt vmcnt(0) lgkmcnt(0)
	v_mul_f64 v[102:103], v[102:103], v[106:107]
	s_cbranch_execz .LBB49_964
	s_branch .LBB49_965
.LBB49_963:
                                        ; implicit-def: $vgpr102_vgpr103
.LBB49_964:
	ds_read_b64 v[102:103], v104
.LBB49_965:
	s_and_saveexec_b64 s[4:5], s[6:7]
	s_cbranch_execz .LBB49_969
; %bb.966:
	v_mov_b32_e32 v105, 0
	v_add_u32_e32 v104, 0x198, v1
	v_add3_u32 v1, v1, v105, 8
	s_mov_b64 s[6:7], 0
.LBB49_967:                             ; =>This Inner Loop Header: Depth=1
	buffer_load_dword v106, v1, s[0:3], 0 offen
	buffer_load_dword v107, v1, s[0:3], 0 offen offset:4
	ds_read_b64 v[108:109], v104
	v_add_u32_e32 v0, 1, v0
	v_cmp_lt_u32_e32 vcc, 47, v0
	v_add_u32_e32 v104, 8, v104
	v_add_u32_e32 v1, 8, v1
	s_or_b64 s[6:7], vcc, s[6:7]
	s_waitcnt vmcnt(0) lgkmcnt(0)
	v_fmac_f64_e32 v[102:103], v[106:107], v[108:109]
	s_andn2_b64 exec, exec, s[6:7]
	s_cbranch_execnz .LBB49_967
; %bb.968:
	s_or_b64 exec, exec, s[6:7]
.LBB49_969:
	s_or_b64 exec, exec, s[4:5]
	v_mov_b32_e32 v0, 0
	ds_read_b64 v[0:1], v0 offset:392
	s_waitcnt lgkmcnt(0)
	v_mul_f64 v[0:1], v[102:103], v[0:1]
	buffer_store_dword v1, off, s[0:3], 0 offset:396
	buffer_store_dword v0, off, s[0:3], 0 offset:392
.LBB49_970:
	s_or_b64 exec, exec, s[8:9]
.LBB49_971:
	buffer_load_dword v0, off, s[0:3], 0
	buffer_load_dword v1, off, s[0:3], 0 offset:4
	buffer_load_dword v102, off, s[0:3], 0 offset:8
	;; [unrolled: 1-line block ×15, first 2 shown]
	s_waitcnt vmcnt(14)
	global_store_dwordx2 v[98:99], v[0:1], off
	s_waitcnt vmcnt(13)
	global_store_dwordx2 v[100:101], v[102:103], off
	;; [unrolled: 2-line block ×8, first 2 shown]
	buffer_load_dword v1, off, s[0:3], 0 offset:68
	buffer_load_dword v0, off, s[0:3], 0 offset:64
	s_waitcnt vmcnt(0)
	global_store_dwordx2 v[20:21], v[0:1], off
	buffer_load_dword v0, off, s[0:3], 0 offset:72
	s_nop 0
	buffer_load_dword v1, off, s[0:3], 0 offset:76
	s_waitcnt vmcnt(0)
	global_store_dwordx2 v[12:13], v[0:1], off
	buffer_load_dword v0, off, s[0:3], 0 offset:80
	s_nop 0
	;; [unrolled: 5-line block ×41, first 2 shown]
	buffer_load_dword v1, off, s[0:3], 0 offset:396
	s_waitcnt vmcnt(0)
	global_store_dwordx2 v[82:83], v[0:1], off
.LBB49_972:
	s_endpgm
	.section	.rodata,"a",@progbits
	.p2align	6, 0x0
	.amdhsa_kernel _ZN9rocsolver6v33100L18trti2_kernel_smallILi50EdPdEEv13rocblas_fill_17rocblas_diagonal_T1_iil
		.amdhsa_group_segment_fixed_size 800
		.amdhsa_private_segment_fixed_size 416
		.amdhsa_kernarg_size 32
		.amdhsa_user_sgpr_count 8
		.amdhsa_user_sgpr_private_segment_buffer 1
		.amdhsa_user_sgpr_dispatch_ptr 0
		.amdhsa_user_sgpr_queue_ptr 0
		.amdhsa_user_sgpr_kernarg_segment_ptr 1
		.amdhsa_user_sgpr_dispatch_id 0
		.amdhsa_user_sgpr_flat_scratch_init 1
		.amdhsa_user_sgpr_kernarg_preload_length 0
		.amdhsa_user_sgpr_kernarg_preload_offset 0
		.amdhsa_user_sgpr_private_segment_size 0
		.amdhsa_uses_dynamic_stack 0
		.amdhsa_system_sgpr_private_segment_wavefront_offset 1
		.amdhsa_system_sgpr_workgroup_id_x 1
		.amdhsa_system_sgpr_workgroup_id_y 0
		.amdhsa_system_sgpr_workgroup_id_z 0
		.amdhsa_system_sgpr_workgroup_info 0
		.amdhsa_system_vgpr_workitem_id 0
		.amdhsa_next_free_vgpr 164
		.amdhsa_next_free_sgpr 20
		.amdhsa_accum_offset 164
		.amdhsa_reserve_vcc 1
		.amdhsa_reserve_flat_scratch 0
		.amdhsa_float_round_mode_32 0
		.amdhsa_float_round_mode_16_64 0
		.amdhsa_float_denorm_mode_32 3
		.amdhsa_float_denorm_mode_16_64 3
		.amdhsa_dx10_clamp 1
		.amdhsa_ieee_mode 1
		.amdhsa_fp16_overflow 0
		.amdhsa_tg_split 0
		.amdhsa_exception_fp_ieee_invalid_op 0
		.amdhsa_exception_fp_denorm_src 0
		.amdhsa_exception_fp_ieee_div_zero 0
		.amdhsa_exception_fp_ieee_overflow 0
		.amdhsa_exception_fp_ieee_underflow 0
		.amdhsa_exception_fp_ieee_inexact 0
		.amdhsa_exception_int_div_zero 0
	.end_amdhsa_kernel
	.section	.text._ZN9rocsolver6v33100L18trti2_kernel_smallILi50EdPdEEv13rocblas_fill_17rocblas_diagonal_T1_iil,"axG",@progbits,_ZN9rocsolver6v33100L18trti2_kernel_smallILi50EdPdEEv13rocblas_fill_17rocblas_diagonal_T1_iil,comdat
.Lfunc_end49:
	.size	_ZN9rocsolver6v33100L18trti2_kernel_smallILi50EdPdEEv13rocblas_fill_17rocblas_diagonal_T1_iil, .Lfunc_end49-_ZN9rocsolver6v33100L18trti2_kernel_smallILi50EdPdEEv13rocblas_fill_17rocblas_diagonal_T1_iil
                                        ; -- End function
	.section	.AMDGPU.csdata,"",@progbits
; Kernel info:
; codeLenInByte = 29372
; NumSgprs: 24
; NumVgprs: 164
; NumAgprs: 0
; TotalNumVgprs: 164
; ScratchSize: 416
; MemoryBound: 0
; FloatMode: 240
; IeeeMode: 1
; LDSByteSize: 800 bytes/workgroup (compile time only)
; SGPRBlocks: 2
; VGPRBlocks: 20
; NumSGPRsForWavesPerEU: 24
; NumVGPRsForWavesPerEU: 164
; AccumOffset: 164
; Occupancy: 3
; WaveLimiterHint : 0
; COMPUTE_PGM_RSRC2:SCRATCH_EN: 1
; COMPUTE_PGM_RSRC2:USER_SGPR: 8
; COMPUTE_PGM_RSRC2:TRAP_HANDLER: 0
; COMPUTE_PGM_RSRC2:TGID_X_EN: 1
; COMPUTE_PGM_RSRC2:TGID_Y_EN: 0
; COMPUTE_PGM_RSRC2:TGID_Z_EN: 0
; COMPUTE_PGM_RSRC2:TIDIG_COMP_CNT: 0
; COMPUTE_PGM_RSRC3_GFX90A:ACCUM_OFFSET: 40
; COMPUTE_PGM_RSRC3_GFX90A:TG_SPLIT: 0
	.section	.text._ZN9rocsolver6v33100L18trti2_kernel_smallILi51EdPdEEv13rocblas_fill_17rocblas_diagonal_T1_iil,"axG",@progbits,_ZN9rocsolver6v33100L18trti2_kernel_smallILi51EdPdEEv13rocblas_fill_17rocblas_diagonal_T1_iil,comdat
	.globl	_ZN9rocsolver6v33100L18trti2_kernel_smallILi51EdPdEEv13rocblas_fill_17rocblas_diagonal_T1_iil ; -- Begin function _ZN9rocsolver6v33100L18trti2_kernel_smallILi51EdPdEEv13rocblas_fill_17rocblas_diagonal_T1_iil
	.p2align	8
	.type	_ZN9rocsolver6v33100L18trti2_kernel_smallILi51EdPdEEv13rocblas_fill_17rocblas_diagonal_T1_iil,@function
_ZN9rocsolver6v33100L18trti2_kernel_smallILi51EdPdEEv13rocblas_fill_17rocblas_diagonal_T1_iil: ; @_ZN9rocsolver6v33100L18trti2_kernel_smallILi51EdPdEEv13rocblas_fill_17rocblas_diagonal_T1_iil
; %bb.0:
	s_add_u32 s0, s0, s9
	s_addc_u32 s1, s1, 0
	v_cmp_gt_u32_e32 vcc, 51, v0
	s_and_saveexec_b64 s[6:7], vcc
	s_cbranch_execz .LBB50_992
; %bb.1:
	s_load_dwordx8 s[12:19], s[4:5], 0x0
	s_ashr_i32 s6, s8, 31
	s_waitcnt lgkmcnt(0)
	s_mul_i32 s7, s8, s19
	s_mul_hi_u32 s9, s8, s18
	s_add_i32 s7, s9, s7
	s_mul_i32 s6, s6, s18
	s_add_i32 s7, s7, s6
	s_mul_i32 s6, s8, s18
	s_ashr_i32 s5, s16, 31
	s_lshl_b64 s[6:7], s[6:7], 3
	s_mov_b32 s4, s16
	s_add_u32 s6, s14, s6
	s_addc_u32 s7, s15, s7
	s_lshl_b64 s[4:5], s[4:5], 3
	s_add_u32 s4, s6, s4
	s_addc_u32 s5, s7, s5
	s_add_i32 s6, s17, s17
	v_add_u32_e32 v4, s6, v0
	v_ashrrev_i32_e32 v5, 31, v4
	v_lshlrev_b64 v[2:3], 3, v[4:5]
	v_add_u32_e32 v6, s17, v4
	v_mov_b32_e32 v1, s5
	v_add_co_u32_e32 v2, vcc, s4, v2
	v_ashrrev_i32_e32 v7, 31, v6
	v_addc_co_u32_e32 v3, vcc, v1, v3, vcc
	v_lshlrev_b64 v[4:5], 3, v[6:7]
	v_add_u32_e32 v8, s17, v6
	v_add_co_u32_e32 v4, vcc, s4, v4
	v_ashrrev_i32_e32 v9, 31, v8
	v_addc_co_u32_e32 v5, vcc, v1, v5, vcc
	v_lshlrev_b64 v[6:7], 3, v[8:9]
	v_add_u32_e32 v10, s17, v8
	;; [unrolled: 5-line block ×5, first 2 shown]
	v_add_co_u32_e32 v14, vcc, s4, v14
	v_ashrrev_i32_e32 v13, 31, v12
	v_addc_co_u32_e32 v15, vcc, v1, v15, vcc
	v_lshlrev_b64 v[16:17], 3, v[12:13]
	v_add_co_u32_e32 v20, vcc, s4, v16
	v_add_u32_e32 v16, s17, v12
	v_addc_co_u32_e32 v21, vcc, v1, v17, vcc
	v_ashrrev_i32_e32 v17, 31, v16
	v_lshlrev_b64 v[12:13], 3, v[16:17]
	v_add_u32_e32 v18, s17, v16
	v_add_co_u32_e32 v12, vcc, s4, v12
	v_ashrrev_i32_e32 v19, 31, v18
	v_addc_co_u32_e32 v13, vcc, v1, v13, vcc
	v_lshlrev_b64 v[16:17], 3, v[18:19]
	v_add_u32_e32 v22, s17, v18
	v_add_co_u32_e32 v16, vcc, s4, v16
	v_ashrrev_i32_e32 v23, 31, v22
	v_addc_co_u32_e32 v17, vcc, v1, v17, vcc
	;; [unrolled: 5-line block ×33, first 2 shown]
	v_lshlrev_b64 v[82:83], 3, v[84:85]
	v_add_co_u32_e32 v82, vcc, s4, v82
	v_add_u32_e32 v84, s17, v84
	v_addc_co_u32_e32 v83, vcc, v1, v83, vcc
	v_ashrrev_i32_e32 v85, 31, v84
	v_lshlrev_b32_e32 v1, 3, v0
	v_lshlrev_b64 v[86:87], 3, v[84:85]
	v_mov_b32_e32 v85, s5
	v_add_co_u32_e32 v100, vcc, s4, v1
	s_ashr_i32 s7, s17, 31
	s_mov_b32 s6, s17
	v_addc_co_u32_e32 v101, vcc, 0, v85, vcc
	s_lshl_b64 s[6:7], s[6:7], 3
	v_mov_b32_e32 v85, s7
	v_add_co_u32_e32 v102, vcc, s6, v100
	global_load_dwordx2 v[104:105], v1, s[4:5]
	global_load_dwordx2 v[108:109], v[2:3], off
	global_load_dwordx2 v[110:111], v[4:5], off
	;; [unrolled: 1-line block ×3, first 2 shown]
	v_addc_co_u32_e32 v103, vcc, v101, v85, vcc
	global_load_dwordx2 v[106:107], v[102:103], off
	global_load_dwordx2 v[114:115], v[8:9], off
	;; [unrolled: 1-line block ×17, first 2 shown]
	v_add_u32_e32 v84, s17, v84
	v_mov_b32_e32 v88, s5
	v_add_co_u32_e32 v86, vcc, s4, v86
	v_ashrrev_i32_e32 v85, 31, v84
	v_addc_co_u32_e32 v87, vcc, v88, v87, vcc
	v_lshlrev_b64 v[88:89], 3, v[84:85]
	v_add_u32_e32 v84, s17, v84
	v_mov_b32_e32 v90, s5
	v_add_co_u32_e32 v88, vcc, s4, v88
	v_ashrrev_i32_e32 v85, 31, v84
	v_addc_co_u32_e32 v89, vcc, v90, v89, vcc
	v_lshlrev_b64 v[90:91], 3, v[84:85]
	v_add_u32_e32 v84, s17, v84
	v_mov_b32_e32 v92, s5
	v_add_co_u32_e32 v90, vcc, s4, v90
	v_ashrrev_i32_e32 v85, 31, v84
	v_addc_co_u32_e32 v91, vcc, v92, v91, vcc
	v_lshlrev_b64 v[92:93], 3, v[84:85]
	v_add_u32_e32 v84, s17, v84
	v_mov_b32_e32 v94, s5
	v_add_co_u32_e32 v92, vcc, s4, v92
	v_ashrrev_i32_e32 v85, 31, v84
	v_addc_co_u32_e32 v93, vcc, v94, v93, vcc
	v_lshlrev_b64 v[94:95], 3, v[84:85]
	v_add_u32_e32 v84, s17, v84
	v_mov_b32_e32 v96, s5
	v_add_co_u32_e32 v94, vcc, s4, v94
	v_ashrrev_i32_e32 v85, 31, v84
	v_addc_co_u32_e32 v95, vcc, v96, v95, vcc
	v_lshlrev_b64 v[96:97], 3, v[84:85]
	v_add_u32_e32 v84, s17, v84
	v_mov_b32_e32 v98, s5
	v_add_co_u32_e32 v96, vcc, s4, v96
	v_ashrrev_i32_e32 v85, 31, v84
	v_addc_co_u32_e32 v97, vcc, v98, v97, vcc
	v_lshlrev_b64 v[98:99], 3, v[84:85]
	v_add_u32_e32 v84, s17, v84
	v_mov_b32_e32 v146, s5
	v_add_co_u32_e32 v98, vcc, s4, v98
	v_ashrrev_i32_e32 v85, 31, v84
	v_addc_co_u32_e32 v99, vcc, v146, v99, vcc
	v_lshlrev_b64 v[84:85], 3, v[84:85]
	v_add_co_u32_e32 v84, vcc, s4, v84
	v_addc_co_u32_e32 v85, vcc, v146, v85, vcc
	global_load_dwordx2 v[146:147], v[84:85], off
	s_waitcnt vmcnt(21)
	buffer_store_dword v105, off, s[0:3], 0 offset:4
	buffer_store_dword v104, off, s[0:3], 0
	s_waitcnt vmcnt(19)
	buffer_store_dword v107, off, s[0:3], 0 offset:12
	buffer_store_dword v106, off, s[0:3], 0 offset:8
	;; [unrolled: 1-line block ×8, first 2 shown]
	s_waitcnt vmcnt(26)
	buffer_store_dword v115, off, s[0:3], 0 offset:44
	buffer_store_dword v114, off, s[0:3], 0 offset:40
	s_waitcnt vmcnt(27)
	buffer_store_dword v117, off, s[0:3], 0 offset:52
	buffer_store_dword v116, off, s[0:3], 0 offset:48
	global_load_dwordx2 v[104:105], v[40:41], off
	global_load_dwordx2 v[106:107], v[42:43], off
	;; [unrolled: 1-line block ×15, first 2 shown]
	s_cmpk_lg_i32 s13, 0x84
	s_waitcnt vmcnt(43)
	buffer_store_dword v119, off, s[0:3], 0 offset:60
	buffer_store_dword v118, off, s[0:3], 0 offset:56
	global_load_dwordx2 v[118:119], v[54:55], off
	s_cselect_b64 s[8:9], -1, 0
	s_waitcnt vmcnt(45)
	buffer_store_dword v121, off, s[0:3], 0 offset:68
	buffer_store_dword v120, off, s[0:3], 0 offset:64
	global_load_dwordx2 v[120:121], v[56:57], off
	s_cmpk_eq_i32 s13, 0x84
	s_waitcnt vmcnt(47)
	buffer_store_dword v122, off, s[0:3], 0 offset:72
	buffer_store_dword v123, off, s[0:3], 0 offset:76
	global_load_dwordx2 v[122:123], v[58:59], off
	s_waitcnt vmcnt(49)
	buffer_store_dword v124, off, s[0:3], 0 offset:80
	buffer_store_dword v125, off, s[0:3], 0 offset:84
	global_load_dwordx2 v[124:125], v[60:61], off
	;; [unrolled: 4-line block ×9, first 2 shown]
	s_nop 0
	buffer_store_dword v140, off, s[0:3], 0 offset:144
	buffer_store_dword v141, off, s[0:3], 0 offset:148
	global_load_dwordx2 v[140:141], v[90:91], off
	s_waitcnt vmcnt(62)
	buffer_store_dword v143, off, s[0:3], 0 offset:156
	buffer_store_dword v142, off, s[0:3], 0 offset:152
	global_load_dwordx2 v[142:143], v[94:95], off
	s_nop 0
	buffer_store_dword v145, off, s[0:3], 0 offset:164
	buffer_store_dword v144, off, s[0:3], 0 offset:160
	global_load_dwordx2 v[144:145], v[98:99], off
	s_waitcnt vmcnt(56)
	buffer_store_dword v104, off, s[0:3], 0 offset:168
	buffer_store_dword v105, off, s[0:3], 0 offset:172
	s_waitcnt vmcnt(57)
	buffer_store_dword v106, off, s[0:3], 0 offset:176
	buffer_store_dword v107, off, s[0:3], 0 offset:180
	;; [unrolled: 3-line block ×13, first 2 shown]
	buffer_store_dword v148, off, s[0:3], 0 offset:272
	buffer_store_dword v149, off, s[0:3], 0 offset:276
	s_waitcnt vmcnt(49)
	buffer_store_dword v130, off, s[0:3], 0 offset:280
	buffer_store_dword v131, off, s[0:3], 0 offset:284
	buffer_store_dword v150, off, s[0:3], 0 offset:288
	buffer_store_dword v151, off, s[0:3], 0 offset:292
	s_waitcnt vmcnt(50)
	buffer_store_dword v133, off, s[0:3], 0 offset:300
	buffer_store_dword v132, off, s[0:3], 0 offset:296
	buffer_store_dword v153, off, s[0:3], 0 offset:308
	buffer_store_dword v152, off, s[0:3], 0 offset:304
	s_waitcnt vmcnt(51)
	buffer_store_dword v134, off, s[0:3], 0 offset:312
	buffer_store_dword v135, off, s[0:3], 0 offset:316
	buffer_store_dword v154, off, s[0:3], 0 offset:320
	buffer_store_dword v155, off, s[0:3], 0 offset:324
	s_waitcnt vmcnt(52)
	buffer_store_dword v136, off, s[0:3], 0 offset:328
	buffer_store_dword v137, off, s[0:3], 0 offset:332
	buffer_store_dword v156, off, s[0:3], 0 offset:336
	buffer_store_dword v157, off, s[0:3], 0 offset:340
	s_waitcnt vmcnt(53)
	buffer_store_dword v139, off, s[0:3], 0 offset:348
	buffer_store_dword v138, off, s[0:3], 0 offset:344
	buffer_store_dword v159, off, s[0:3], 0 offset:356
	buffer_store_dword v158, off, s[0:3], 0 offset:352
	s_waitcnt vmcnt(54)
	buffer_store_dword v140, off, s[0:3], 0 offset:360
	buffer_store_dword v141, off, s[0:3], 0 offset:364
	buffer_store_dword v160, off, s[0:3], 0 offset:368
	buffer_store_dword v161, off, s[0:3], 0 offset:372
	s_waitcnt vmcnt(55)
	buffer_store_dword v142, off, s[0:3], 0 offset:376
	buffer_store_dword v143, off, s[0:3], 0 offset:380
	buffer_store_dword v162, off, s[0:3], 0 offset:384
	buffer_store_dword v163, off, s[0:3], 0 offset:388
	s_waitcnt vmcnt(56)
	buffer_store_dword v145, off, s[0:3], 0 offset:396
	buffer_store_dword v144, off, s[0:3], 0 offset:392
	buffer_store_dword v147, off, s[0:3], 0 offset:404
	buffer_store_dword v146, off, s[0:3], 0 offset:400
	v_mov_b32_e32 v104, 0
	v_mov_b32_e32 v155, 0
	;; [unrolled: 1-line block ×3, first 2 shown]
	s_cbranch_scc1 .LBB50_3
; %bb.2:
	v_lshl_add_u32 v114, v0, 3, v155
	buffer_load_dword v104, v114, s[0:3], 0 offen
	buffer_load_dword v105, v114, s[0:3], 0 offen offset:4
	s_waitcnt vmcnt(0)
	v_div_scale_f64 v[106:107], s[4:5], v[104:105], v[104:105], 1.0
	v_rcp_f64_e32 v[108:109], v[106:107]
	v_div_scale_f64 v[110:111], vcc, 1.0, v[104:105], 1.0
	v_fma_f64 v[112:113], -v[106:107], v[108:109], 1.0
	v_fmac_f64_e32 v[108:109], v[108:109], v[112:113]
	v_fma_f64 v[112:113], -v[106:107], v[108:109], 1.0
	v_fmac_f64_e32 v[108:109], v[108:109], v[112:113]
	v_mul_f64 v[112:113], v[110:111], v[108:109]
	v_fma_f64 v[106:107], -v[106:107], v[112:113], v[110:111]
	v_div_fmas_f64 v[106:107], v[106:107], v[108:109], v[112:113]
	v_div_fixup_f64 v[104:105], v[106:107], v[104:105], 1.0
	buffer_store_dword v104, v114, s[0:3], 0 offen
	buffer_store_dword v105, v114, s[0:3], 0 offen offset:4
	v_xor_b32_e32 v105, 0x80000000, v105
.LBB50_3:
	s_cmpk_eq_i32 s12, 0x79
	v_add_u32_e32 v106, 0x1a0, v1
	v_add_u32_e32 v107, 0, v1
	s_mov_b64 s[4:5], -1
	ds_write_b64 v1, v[104:105]
	s_cbranch_scc1 .LBB50_497
; %bb.4:
	buffer_load_dword v104, off, s[0:3], 0 offset:392
	buffer_load_dword v105, off, s[0:3], 0 offset:396
	v_cmp_eq_u32_e64 s[4:5], 50, v0
	s_waitcnt vmcnt(0)
	ds_write_b64 v106, v[104:105]
	s_waitcnt lgkmcnt(0)
	; wave barrier
	s_waitcnt lgkmcnt(0)
	s_and_saveexec_b64 s[6:7], s[4:5]
	s_cbranch_execz .LBB50_10
; %bb.5:
	s_and_b64 vcc, exec, s[8:9]
	s_cbranch_vccz .LBB50_7
; %bb.6:
	buffer_load_dword v104, v107, s[0:3], 0 offen
	buffer_load_dword v105, v107, s[0:3], 0 offen offset:4
	ds_read_b64 v[108:109], v106
	s_waitcnt vmcnt(0) lgkmcnt(0)
	v_mul_f64 v[104:105], v[104:105], v[108:109]
	s_cbranch_execz .LBB50_8
	s_branch .LBB50_9
.LBB50_7:
                                        ; implicit-def: $vgpr104_vgpr105
.LBB50_8:
	ds_read_b64 v[104:105], v106
.LBB50_9:
	v_mov_b32_e32 v108, 0
	ds_read_b64 v[108:109], v108 offset:392
	s_waitcnt lgkmcnt(0)
	v_mul_f64 v[104:105], v[104:105], v[108:109]
	buffer_store_dword v105, off, s[0:3], 0 offset:396
	buffer_store_dword v104, off, s[0:3], 0 offset:392
.LBB50_10:
	s_or_b64 exec, exec, s[6:7]
	buffer_load_dword v104, off, s[0:3], 0 offset:384
	buffer_load_dword v105, off, s[0:3], 0 offset:388
	v_or_b32_e32 v108, 8, v155
	v_add_u32_e32 v109, 16, v155
	v_add_u32_e32 v110, 24, v155
	;; [unrolled: 1-line block ×47, first 2 shown]
	v_cmp_lt_u32_e64 s[6:7], 48, v0
	s_waitcnt vmcnt(0)
	ds_write_b64 v106, v[104:105]
	s_waitcnt lgkmcnt(0)
	; wave barrier
	s_waitcnt lgkmcnt(0)
	s_and_saveexec_b64 s[10:11], s[6:7]
	s_cbranch_execz .LBB50_16
; %bb.11:
	s_andn2_b64 vcc, exec, s[8:9]
	s_cbranch_vccnz .LBB50_13
; %bb.12:
	buffer_load_dword v104, v107, s[0:3], 0 offen
	buffer_load_dword v105, v107, s[0:3], 0 offen offset:4
	ds_read_b64 v[156:157], v106
	s_waitcnt vmcnt(0) lgkmcnt(0)
	v_mul_f64 v[104:105], v[104:105], v[156:157]
	s_cbranch_execz .LBB50_14
	s_branch .LBB50_15
.LBB50_13:
                                        ; implicit-def: $vgpr104_vgpr105
.LBB50_14:
	ds_read_b64 v[104:105], v106
.LBB50_15:
	buffer_load_dword v160, off, s[0:3], 0 offset:392
	buffer_load_dword v161, off, s[0:3], 0 offset:396
	v_mov_b32_e32 v156, 0
	ds_read2_b64 v[156:159], v156 offset0:48 offset1:101
	s_waitcnt vmcnt(0) lgkmcnt(0)
	v_fma_f64 v[158:159], v[160:161], v[158:159], v[104:105]
	v_cndmask_b32_e64 v105, v105, v159, s[4:5]
	v_cndmask_b32_e64 v104, v104, v158, s[4:5]
	v_mul_f64 v[104:105], v[104:105], v[156:157]
	buffer_store_dword v105, off, s[0:3], 0 offset:388
	buffer_store_dword v104, off, s[0:3], 0 offset:384
.LBB50_16:
	s_or_b64 exec, exec, s[10:11]
	buffer_load_dword v104, off, s[0:3], 0 offset:376
	buffer_load_dword v105, off, s[0:3], 0 offset:380
	v_cmp_lt_u32_e64 s[4:5], 47, v0
	s_waitcnt vmcnt(0)
	ds_write_b64 v106, v[104:105]
	s_waitcnt lgkmcnt(0)
	; wave barrier
	s_waitcnt lgkmcnt(0)
	s_and_saveexec_b64 s[10:11], s[4:5]
	s_cbranch_execz .LBB50_26
; %bb.17:
	s_andn2_b64 vcc, exec, s[8:9]
	s_cbranch_vccnz .LBB50_19
; %bb.18:
	buffer_load_dword v104, v107, s[0:3], 0 offen
	buffer_load_dword v105, v107, s[0:3], 0 offen offset:4
	ds_read_b64 v[156:157], v106
	s_waitcnt vmcnt(0) lgkmcnt(0)
	v_mul_f64 v[104:105], v[104:105], v[156:157]
	s_cbranch_execz .LBB50_20
	s_branch .LBB50_21
.LBB50_19:
                                        ; implicit-def: $vgpr104_vgpr105
.LBB50_20:
	ds_read_b64 v[104:105], v106
.LBB50_21:
	s_and_saveexec_b64 s[12:13], s[6:7]
	s_cbranch_execz .LBB50_25
; %bb.22:
	v_subrev_u32_e32 v156, 48, v0
	s_movk_i32 s14, 0x320
	s_mov_b64 s[6:7], 0
.LBB50_23:                              ; =>This Inner Loop Header: Depth=1
	buffer_load_dword v158, v155, s[0:3], 0 offen
	buffer_load_dword v159, v155, s[0:3], 0 offen offset:4
	v_mov_b32_e32 v157, s14
	ds_read_b64 v[160:161], v157
	v_add_u32_e32 v156, -1, v156
	s_add_i32 s14, s14, 8
	v_cmp_eq_u32_e32 vcc, 0, v156
	v_add_u32_e32 v155, 8, v155
	s_or_b64 s[6:7], vcc, s[6:7]
	s_waitcnt vmcnt(0) lgkmcnt(0)
	v_fmac_f64_e32 v[104:105], v[158:159], v[160:161]
	s_andn2_b64 exec, exec, s[6:7]
	s_cbranch_execnz .LBB50_23
; %bb.24:
	s_or_b64 exec, exec, s[6:7]
.LBB50_25:
	s_or_b64 exec, exec, s[12:13]
	v_mov_b32_e32 v155, 0
	ds_read_b64 v[156:157], v155 offset:376
	s_waitcnt lgkmcnt(0)
	v_mul_f64 v[104:105], v[104:105], v[156:157]
	buffer_store_dword v105, off, s[0:3], 0 offset:380
	buffer_store_dword v104, off, s[0:3], 0 offset:376
.LBB50_26:
	s_or_b64 exec, exec, s[10:11]
	buffer_load_dword v104, off, s[0:3], 0 offset:368
	buffer_load_dword v105, off, s[0:3], 0 offset:372
	v_cmp_lt_u32_e64 s[6:7], 46, v0
	s_waitcnt vmcnt(0)
	ds_write_b64 v106, v[104:105]
	s_waitcnt lgkmcnt(0)
	; wave barrier
	s_waitcnt lgkmcnt(0)
	s_and_saveexec_b64 s[10:11], s[6:7]
	s_cbranch_execz .LBB50_36
; %bb.27:
	s_andn2_b64 vcc, exec, s[8:9]
	s_cbranch_vccnz .LBB50_29
; %bb.28:
	buffer_load_dword v104, v107, s[0:3], 0 offen
	buffer_load_dword v105, v107, s[0:3], 0 offen offset:4
	ds_read_b64 v[156:157], v106
	s_waitcnt vmcnt(0) lgkmcnt(0)
	v_mul_f64 v[104:105], v[104:105], v[156:157]
	s_cbranch_execz .LBB50_30
	s_branch .LBB50_31
.LBB50_29:
                                        ; implicit-def: $vgpr104_vgpr105
.LBB50_30:
	ds_read_b64 v[104:105], v106
.LBB50_31:
	s_and_saveexec_b64 s[12:13], s[4:5]
	s_cbranch_execz .LBB50_35
; %bb.32:
	v_subrev_u32_e32 v155, 47, v0
	s_movk_i32 s14, 0x318
	s_mov_b64 s[4:5], 0
.LBB50_33:                              ; =>This Inner Loop Header: Depth=1
	buffer_load_dword v156, v154, s[0:3], 0 offen
	buffer_load_dword v157, v154, s[0:3], 0 offen offset:4
	v_mov_b32_e32 v158, s14
	ds_read_b64 v[158:159], v158
	v_add_u32_e32 v155, -1, v155
	s_add_i32 s14, s14, 8
	v_cmp_eq_u32_e32 vcc, 0, v155
	v_add_u32_e32 v154, 8, v154
	s_or_b64 s[4:5], vcc, s[4:5]
	s_waitcnt vmcnt(0) lgkmcnt(0)
	v_fmac_f64_e32 v[104:105], v[156:157], v[158:159]
	s_andn2_b64 exec, exec, s[4:5]
	s_cbranch_execnz .LBB50_33
; %bb.34:
	s_or_b64 exec, exec, s[4:5]
.LBB50_35:
	s_or_b64 exec, exec, s[12:13]
	v_mov_b32_e32 v154, 0
	ds_read_b64 v[154:155], v154 offset:368
	s_waitcnt lgkmcnt(0)
	v_mul_f64 v[104:105], v[104:105], v[154:155]
	buffer_store_dword v105, off, s[0:3], 0 offset:372
	buffer_store_dword v104, off, s[0:3], 0 offset:368
.LBB50_36:
	;; [unrolled: 58-line block ×8, first 2 shown]
	s_or_b64 exec, exec, s[10:11]
	buffer_load_dword v104, off, s[0:3], 0 offset:312
	buffer_load_dword v105, off, s[0:3], 0 offset:316
	v_cmp_lt_u32_e64 s[4:5], 39, v0
	s_waitcnt vmcnt(0)
	ds_write_b64 v106, v[104:105]
	s_waitcnt lgkmcnt(0)
	; wave barrier
	s_waitcnt lgkmcnt(0)
	s_and_saveexec_b64 s[10:11], s[4:5]
	s_cbranch_execz .LBB50_106
; %bb.97:
	s_andn2_b64 vcc, exec, s[8:9]
	s_cbranch_vccnz .LBB50_99
; %bb.98:
	buffer_load_dword v104, v107, s[0:3], 0 offen
	buffer_load_dword v105, v107, s[0:3], 0 offen offset:4
	ds_read_b64 v[148:149], v106
	s_waitcnt vmcnt(0) lgkmcnt(0)
	v_mul_f64 v[104:105], v[104:105], v[148:149]
	s_cbranch_execz .LBB50_100
	s_branch .LBB50_101
.LBB50_99:
                                        ; implicit-def: $vgpr104_vgpr105
.LBB50_100:
	ds_read_b64 v[104:105], v106
.LBB50_101:
	s_and_saveexec_b64 s[12:13], s[6:7]
	s_cbranch_execz .LBB50_105
; %bb.102:
	v_subrev_u32_e32 v148, 40, v0
	s_movk_i32 s14, 0x2e0
	s_mov_b64 s[6:7], 0
.LBB50_103:                             ; =>This Inner Loop Header: Depth=1
	buffer_load_dword v150, v147, s[0:3], 0 offen
	buffer_load_dword v151, v147, s[0:3], 0 offen offset:4
	v_mov_b32_e32 v149, s14
	ds_read_b64 v[152:153], v149
	v_add_u32_e32 v148, -1, v148
	s_add_i32 s14, s14, 8
	v_cmp_eq_u32_e32 vcc, 0, v148
	v_add_u32_e32 v147, 8, v147
	s_or_b64 s[6:7], vcc, s[6:7]
	s_waitcnt vmcnt(0) lgkmcnt(0)
	v_fmac_f64_e32 v[104:105], v[150:151], v[152:153]
	s_andn2_b64 exec, exec, s[6:7]
	s_cbranch_execnz .LBB50_103
; %bb.104:
	s_or_b64 exec, exec, s[6:7]
.LBB50_105:
	s_or_b64 exec, exec, s[12:13]
	v_mov_b32_e32 v147, 0
	ds_read_b64 v[148:149], v147 offset:312
	s_waitcnt lgkmcnt(0)
	v_mul_f64 v[104:105], v[104:105], v[148:149]
	buffer_store_dword v105, off, s[0:3], 0 offset:316
	buffer_store_dword v104, off, s[0:3], 0 offset:312
.LBB50_106:
	s_or_b64 exec, exec, s[10:11]
	buffer_load_dword v104, off, s[0:3], 0 offset:304
	buffer_load_dword v105, off, s[0:3], 0 offset:308
	v_cmp_lt_u32_e64 s[6:7], 38, v0
	s_waitcnt vmcnt(0)
	ds_write_b64 v106, v[104:105]
	s_waitcnt lgkmcnt(0)
	; wave barrier
	s_waitcnt lgkmcnt(0)
	s_and_saveexec_b64 s[10:11], s[6:7]
	s_cbranch_execz .LBB50_116
; %bb.107:
	s_andn2_b64 vcc, exec, s[8:9]
	s_cbranch_vccnz .LBB50_109
; %bb.108:
	buffer_load_dword v104, v107, s[0:3], 0 offen
	buffer_load_dword v105, v107, s[0:3], 0 offen offset:4
	ds_read_b64 v[148:149], v106
	s_waitcnt vmcnt(0) lgkmcnt(0)
	v_mul_f64 v[104:105], v[104:105], v[148:149]
	s_cbranch_execz .LBB50_110
	s_branch .LBB50_111
.LBB50_109:
                                        ; implicit-def: $vgpr104_vgpr105
.LBB50_110:
	ds_read_b64 v[104:105], v106
.LBB50_111:
	s_and_saveexec_b64 s[12:13], s[4:5]
	s_cbranch_execz .LBB50_115
; %bb.112:
	v_subrev_u32_e32 v147, 39, v0
	s_movk_i32 s14, 0x2d8
	s_mov_b64 s[4:5], 0
.LBB50_113:                             ; =>This Inner Loop Header: Depth=1
	buffer_load_dword v148, v146, s[0:3], 0 offen
	buffer_load_dword v149, v146, s[0:3], 0 offen offset:4
	v_mov_b32_e32 v150, s14
	ds_read_b64 v[150:151], v150
	v_add_u32_e32 v147, -1, v147
	s_add_i32 s14, s14, 8
	v_cmp_eq_u32_e32 vcc, 0, v147
	v_add_u32_e32 v146, 8, v146
	s_or_b64 s[4:5], vcc, s[4:5]
	s_waitcnt vmcnt(0) lgkmcnt(0)
	v_fmac_f64_e32 v[104:105], v[148:149], v[150:151]
	s_andn2_b64 exec, exec, s[4:5]
	s_cbranch_execnz .LBB50_113
; %bb.114:
	s_or_b64 exec, exec, s[4:5]
.LBB50_115:
	s_or_b64 exec, exec, s[12:13]
	v_mov_b32_e32 v146, 0
	ds_read_b64 v[146:147], v146 offset:304
	s_waitcnt lgkmcnt(0)
	v_mul_f64 v[104:105], v[104:105], v[146:147]
	buffer_store_dword v105, off, s[0:3], 0 offset:308
	buffer_store_dword v104, off, s[0:3], 0 offset:304
.LBB50_116:
	;; [unrolled: 58-line block ×24, first 2 shown]
	s_or_b64 exec, exec, s[10:11]
	buffer_load_dword v104, off, s[0:3], 0 offset:120
	buffer_load_dword v105, off, s[0:3], 0 offset:124
	v_cmp_lt_u32_e64 s[4:5], 15, v0
	s_waitcnt vmcnt(0)
	ds_write_b64 v106, v[104:105]
	s_waitcnt lgkmcnt(0)
	; wave barrier
	s_waitcnt lgkmcnt(0)
	s_and_saveexec_b64 s[10:11], s[4:5]
	s_cbranch_execz .LBB50_346
; %bb.337:
	s_andn2_b64 vcc, exec, s[8:9]
	s_cbranch_vccnz .LBB50_339
; %bb.338:
	buffer_load_dword v104, v107, s[0:3], 0 offen
	buffer_load_dword v105, v107, s[0:3], 0 offen offset:4
	ds_read_b64 v[124:125], v106
	s_waitcnt vmcnt(0) lgkmcnt(0)
	v_mul_f64 v[104:105], v[104:105], v[124:125]
	s_cbranch_execz .LBB50_340
	s_branch .LBB50_341
.LBB50_339:
                                        ; implicit-def: $vgpr104_vgpr105
.LBB50_340:
	ds_read_b64 v[104:105], v106
.LBB50_341:
	s_and_saveexec_b64 s[12:13], s[6:7]
	s_cbranch_execz .LBB50_345
; %bb.342:
	v_add_u32_e32 v124, -16, v0
	s_movk_i32 s14, 0x220
	s_mov_b64 s[6:7], 0
.LBB50_343:                             ; =>This Inner Loop Header: Depth=1
	buffer_load_dword v126, v123, s[0:3], 0 offen
	buffer_load_dword v127, v123, s[0:3], 0 offen offset:4
	v_mov_b32_e32 v125, s14
	ds_read_b64 v[128:129], v125
	v_add_u32_e32 v124, -1, v124
	s_add_i32 s14, s14, 8
	v_cmp_eq_u32_e32 vcc, 0, v124
	v_add_u32_e32 v123, 8, v123
	s_or_b64 s[6:7], vcc, s[6:7]
	s_waitcnt vmcnt(0) lgkmcnt(0)
	v_fmac_f64_e32 v[104:105], v[126:127], v[128:129]
	s_andn2_b64 exec, exec, s[6:7]
	s_cbranch_execnz .LBB50_343
; %bb.344:
	s_or_b64 exec, exec, s[6:7]
.LBB50_345:
	s_or_b64 exec, exec, s[12:13]
	v_mov_b32_e32 v123, 0
	ds_read_b64 v[124:125], v123 offset:120
	s_waitcnt lgkmcnt(0)
	v_mul_f64 v[104:105], v[104:105], v[124:125]
	buffer_store_dword v105, off, s[0:3], 0 offset:124
	buffer_store_dword v104, off, s[0:3], 0 offset:120
.LBB50_346:
	s_or_b64 exec, exec, s[10:11]
	buffer_load_dword v104, off, s[0:3], 0 offset:112
	buffer_load_dword v105, off, s[0:3], 0 offset:116
	v_cmp_lt_u32_e64 s[6:7], 14, v0
	s_waitcnt vmcnt(0)
	ds_write_b64 v106, v[104:105]
	s_waitcnt lgkmcnt(0)
	; wave barrier
	s_waitcnt lgkmcnt(0)
	s_and_saveexec_b64 s[10:11], s[6:7]
	s_cbranch_execz .LBB50_356
; %bb.347:
	s_andn2_b64 vcc, exec, s[8:9]
	s_cbranch_vccnz .LBB50_349
; %bb.348:
	buffer_load_dword v104, v107, s[0:3], 0 offen
	buffer_load_dword v105, v107, s[0:3], 0 offen offset:4
	ds_read_b64 v[124:125], v106
	s_waitcnt vmcnt(0) lgkmcnt(0)
	v_mul_f64 v[104:105], v[104:105], v[124:125]
	s_cbranch_execz .LBB50_350
	s_branch .LBB50_351
.LBB50_349:
                                        ; implicit-def: $vgpr104_vgpr105
.LBB50_350:
	ds_read_b64 v[104:105], v106
.LBB50_351:
	s_and_saveexec_b64 s[12:13], s[4:5]
	s_cbranch_execz .LBB50_355
; %bb.352:
	v_add_u32_e32 v123, -15, v0
	s_movk_i32 s14, 0x218
	s_mov_b64 s[4:5], 0
.LBB50_353:                             ; =>This Inner Loop Header: Depth=1
	buffer_load_dword v124, v122, s[0:3], 0 offen
	buffer_load_dword v125, v122, s[0:3], 0 offen offset:4
	v_mov_b32_e32 v126, s14
	ds_read_b64 v[126:127], v126
	v_add_u32_e32 v123, -1, v123
	s_add_i32 s14, s14, 8
	v_cmp_eq_u32_e32 vcc, 0, v123
	v_add_u32_e32 v122, 8, v122
	s_or_b64 s[4:5], vcc, s[4:5]
	s_waitcnt vmcnt(0) lgkmcnt(0)
	v_fmac_f64_e32 v[104:105], v[124:125], v[126:127]
	s_andn2_b64 exec, exec, s[4:5]
	s_cbranch_execnz .LBB50_353
; %bb.354:
	s_or_b64 exec, exec, s[4:5]
.LBB50_355:
	s_or_b64 exec, exec, s[12:13]
	v_mov_b32_e32 v122, 0
	ds_read_b64 v[122:123], v122 offset:112
	s_waitcnt lgkmcnt(0)
	v_mul_f64 v[104:105], v[104:105], v[122:123]
	buffer_store_dword v105, off, s[0:3], 0 offset:116
	buffer_store_dword v104, off, s[0:3], 0 offset:112
.LBB50_356:
	s_or_b64 exec, exec, s[10:11]
	buffer_load_dword v104, off, s[0:3], 0 offset:104
	buffer_load_dword v105, off, s[0:3], 0 offset:108
	v_cmp_lt_u32_e64 s[4:5], 13, v0
	s_waitcnt vmcnt(0)
	ds_write_b64 v106, v[104:105]
	s_waitcnt lgkmcnt(0)
	; wave barrier
	s_waitcnt lgkmcnt(0)
	s_and_saveexec_b64 s[10:11], s[4:5]
	s_cbranch_execz .LBB50_366
; %bb.357:
	s_andn2_b64 vcc, exec, s[8:9]
	s_cbranch_vccnz .LBB50_359
; %bb.358:
	buffer_load_dword v104, v107, s[0:3], 0 offen
	buffer_load_dword v105, v107, s[0:3], 0 offen offset:4
	ds_read_b64 v[122:123], v106
	s_waitcnt vmcnt(0) lgkmcnt(0)
	v_mul_f64 v[104:105], v[104:105], v[122:123]
	s_cbranch_execz .LBB50_360
	s_branch .LBB50_361
.LBB50_359:
                                        ; implicit-def: $vgpr104_vgpr105
.LBB50_360:
	ds_read_b64 v[104:105], v106
.LBB50_361:
	s_and_saveexec_b64 s[12:13], s[6:7]
	s_cbranch_execz .LBB50_365
; %bb.362:
	v_add_u32_e32 v122, -14, v0
	s_movk_i32 s14, 0x210
	s_mov_b64 s[6:7], 0
.LBB50_363:                             ; =>This Inner Loop Header: Depth=1
	buffer_load_dword v124, v121, s[0:3], 0 offen
	buffer_load_dword v125, v121, s[0:3], 0 offen offset:4
	v_mov_b32_e32 v123, s14
	ds_read_b64 v[126:127], v123
	v_add_u32_e32 v122, -1, v122
	s_add_i32 s14, s14, 8
	v_cmp_eq_u32_e32 vcc, 0, v122
	v_add_u32_e32 v121, 8, v121
	s_or_b64 s[6:7], vcc, s[6:7]
	s_waitcnt vmcnt(0) lgkmcnt(0)
	v_fmac_f64_e32 v[104:105], v[124:125], v[126:127]
	s_andn2_b64 exec, exec, s[6:7]
	s_cbranch_execnz .LBB50_363
; %bb.364:
	s_or_b64 exec, exec, s[6:7]
.LBB50_365:
	s_or_b64 exec, exec, s[12:13]
	v_mov_b32_e32 v121, 0
	ds_read_b64 v[122:123], v121 offset:104
	s_waitcnt lgkmcnt(0)
	v_mul_f64 v[104:105], v[104:105], v[122:123]
	buffer_store_dword v105, off, s[0:3], 0 offset:108
	buffer_store_dword v104, off, s[0:3], 0 offset:104
.LBB50_366:
	s_or_b64 exec, exec, s[10:11]
	buffer_load_dword v104, off, s[0:3], 0 offset:96
	buffer_load_dword v105, off, s[0:3], 0 offset:100
	v_cmp_lt_u32_e64 s[6:7], 12, v0
	s_waitcnt vmcnt(0)
	ds_write_b64 v106, v[104:105]
	s_waitcnt lgkmcnt(0)
	; wave barrier
	s_waitcnt lgkmcnt(0)
	s_and_saveexec_b64 s[10:11], s[6:7]
	s_cbranch_execz .LBB50_376
; %bb.367:
	s_andn2_b64 vcc, exec, s[8:9]
	s_cbranch_vccnz .LBB50_369
; %bb.368:
	buffer_load_dword v104, v107, s[0:3], 0 offen
	buffer_load_dword v105, v107, s[0:3], 0 offen offset:4
	ds_read_b64 v[122:123], v106
	s_waitcnt vmcnt(0) lgkmcnt(0)
	v_mul_f64 v[104:105], v[104:105], v[122:123]
	s_cbranch_execz .LBB50_370
	s_branch .LBB50_371
.LBB50_369:
                                        ; implicit-def: $vgpr104_vgpr105
.LBB50_370:
	ds_read_b64 v[104:105], v106
.LBB50_371:
	s_and_saveexec_b64 s[12:13], s[4:5]
	s_cbranch_execz .LBB50_375
; %bb.372:
	v_add_u32_e32 v121, -13, v0
	s_movk_i32 s14, 0x208
	s_mov_b64 s[4:5], 0
.LBB50_373:                             ; =>This Inner Loop Header: Depth=1
	buffer_load_dword v122, v120, s[0:3], 0 offen
	buffer_load_dword v123, v120, s[0:3], 0 offen offset:4
	v_mov_b32_e32 v124, s14
	ds_read_b64 v[124:125], v124
	v_add_u32_e32 v121, -1, v121
	s_add_i32 s14, s14, 8
	v_cmp_eq_u32_e32 vcc, 0, v121
	v_add_u32_e32 v120, 8, v120
	s_or_b64 s[4:5], vcc, s[4:5]
	s_waitcnt vmcnt(0) lgkmcnt(0)
	v_fmac_f64_e32 v[104:105], v[122:123], v[124:125]
	s_andn2_b64 exec, exec, s[4:5]
	s_cbranch_execnz .LBB50_373
; %bb.374:
	s_or_b64 exec, exec, s[4:5]
.LBB50_375:
	s_or_b64 exec, exec, s[12:13]
	v_mov_b32_e32 v120, 0
	ds_read_b64 v[120:121], v120 offset:96
	s_waitcnt lgkmcnt(0)
	v_mul_f64 v[104:105], v[104:105], v[120:121]
	buffer_store_dword v105, off, s[0:3], 0 offset:100
	buffer_store_dword v104, off, s[0:3], 0 offset:96
.LBB50_376:
	s_or_b64 exec, exec, s[10:11]
	buffer_load_dword v104, off, s[0:3], 0 offset:88
	buffer_load_dword v105, off, s[0:3], 0 offset:92
	v_cmp_lt_u32_e64 s[4:5], 11, v0
	s_waitcnt vmcnt(0)
	ds_write_b64 v106, v[104:105]
	s_waitcnt lgkmcnt(0)
	; wave barrier
	s_waitcnt lgkmcnt(0)
	s_and_saveexec_b64 s[10:11], s[4:5]
	s_cbranch_execz .LBB50_386
; %bb.377:
	s_andn2_b64 vcc, exec, s[8:9]
	s_cbranch_vccnz .LBB50_379
; %bb.378:
	buffer_load_dword v104, v107, s[0:3], 0 offen
	buffer_load_dword v105, v107, s[0:3], 0 offen offset:4
	ds_read_b64 v[120:121], v106
	s_waitcnt vmcnt(0) lgkmcnt(0)
	v_mul_f64 v[104:105], v[104:105], v[120:121]
	s_cbranch_execz .LBB50_380
	s_branch .LBB50_381
.LBB50_379:
                                        ; implicit-def: $vgpr104_vgpr105
.LBB50_380:
	ds_read_b64 v[104:105], v106
.LBB50_381:
	s_and_saveexec_b64 s[12:13], s[6:7]
	s_cbranch_execz .LBB50_385
; %bb.382:
	v_add_u32_e32 v120, -12, v0
	s_movk_i32 s14, 0x200
	s_mov_b64 s[6:7], 0
.LBB50_383:                             ; =>This Inner Loop Header: Depth=1
	buffer_load_dword v122, v119, s[0:3], 0 offen
	buffer_load_dword v123, v119, s[0:3], 0 offen offset:4
	v_mov_b32_e32 v121, s14
	ds_read_b64 v[124:125], v121
	v_add_u32_e32 v120, -1, v120
	s_add_i32 s14, s14, 8
	v_cmp_eq_u32_e32 vcc, 0, v120
	v_add_u32_e32 v119, 8, v119
	s_or_b64 s[6:7], vcc, s[6:7]
	s_waitcnt vmcnt(0) lgkmcnt(0)
	v_fmac_f64_e32 v[104:105], v[122:123], v[124:125]
	s_andn2_b64 exec, exec, s[6:7]
	s_cbranch_execnz .LBB50_383
; %bb.384:
	s_or_b64 exec, exec, s[6:7]
.LBB50_385:
	s_or_b64 exec, exec, s[12:13]
	v_mov_b32_e32 v119, 0
	ds_read_b64 v[120:121], v119 offset:88
	s_waitcnt lgkmcnt(0)
	v_mul_f64 v[104:105], v[104:105], v[120:121]
	buffer_store_dword v105, off, s[0:3], 0 offset:92
	buffer_store_dword v104, off, s[0:3], 0 offset:88
.LBB50_386:
	s_or_b64 exec, exec, s[10:11]
	buffer_load_dword v104, off, s[0:3], 0 offset:80
	buffer_load_dword v105, off, s[0:3], 0 offset:84
	v_cmp_lt_u32_e64 s[6:7], 10, v0
	s_waitcnt vmcnt(0)
	ds_write_b64 v106, v[104:105]
	s_waitcnt lgkmcnt(0)
	; wave barrier
	s_waitcnt lgkmcnt(0)
	s_and_saveexec_b64 s[10:11], s[6:7]
	s_cbranch_execz .LBB50_396
; %bb.387:
	s_andn2_b64 vcc, exec, s[8:9]
	s_cbranch_vccnz .LBB50_389
; %bb.388:
	buffer_load_dword v104, v107, s[0:3], 0 offen
	buffer_load_dword v105, v107, s[0:3], 0 offen offset:4
	ds_read_b64 v[120:121], v106
	s_waitcnt vmcnt(0) lgkmcnt(0)
	v_mul_f64 v[104:105], v[104:105], v[120:121]
	s_cbranch_execz .LBB50_390
	s_branch .LBB50_391
.LBB50_389:
                                        ; implicit-def: $vgpr104_vgpr105
.LBB50_390:
	ds_read_b64 v[104:105], v106
.LBB50_391:
	s_and_saveexec_b64 s[12:13], s[4:5]
	s_cbranch_execz .LBB50_395
; %bb.392:
	v_add_u32_e32 v119, -11, v0
	s_movk_i32 s14, 0x1f8
	s_mov_b64 s[4:5], 0
.LBB50_393:                             ; =>This Inner Loop Header: Depth=1
	buffer_load_dword v120, v118, s[0:3], 0 offen
	buffer_load_dword v121, v118, s[0:3], 0 offen offset:4
	v_mov_b32_e32 v122, s14
	ds_read_b64 v[122:123], v122
	v_add_u32_e32 v119, -1, v119
	s_add_i32 s14, s14, 8
	v_cmp_eq_u32_e32 vcc, 0, v119
	v_add_u32_e32 v118, 8, v118
	s_or_b64 s[4:5], vcc, s[4:5]
	s_waitcnt vmcnt(0) lgkmcnt(0)
	v_fmac_f64_e32 v[104:105], v[120:121], v[122:123]
	s_andn2_b64 exec, exec, s[4:5]
	s_cbranch_execnz .LBB50_393
; %bb.394:
	s_or_b64 exec, exec, s[4:5]
.LBB50_395:
	s_or_b64 exec, exec, s[12:13]
	v_mov_b32_e32 v118, 0
	ds_read_b64 v[118:119], v118 offset:80
	s_waitcnt lgkmcnt(0)
	v_mul_f64 v[104:105], v[104:105], v[118:119]
	buffer_store_dword v105, off, s[0:3], 0 offset:84
	buffer_store_dword v104, off, s[0:3], 0 offset:80
.LBB50_396:
	s_or_b64 exec, exec, s[10:11]
	buffer_load_dword v104, off, s[0:3], 0 offset:72
	buffer_load_dword v105, off, s[0:3], 0 offset:76
	v_cmp_lt_u32_e64 s[4:5], 9, v0
	s_waitcnt vmcnt(0)
	ds_write_b64 v106, v[104:105]
	s_waitcnt lgkmcnt(0)
	; wave barrier
	s_waitcnt lgkmcnt(0)
	s_and_saveexec_b64 s[10:11], s[4:5]
	s_cbranch_execz .LBB50_406
; %bb.397:
	s_andn2_b64 vcc, exec, s[8:9]
	s_cbranch_vccnz .LBB50_399
; %bb.398:
	buffer_load_dword v104, v107, s[0:3], 0 offen
	buffer_load_dword v105, v107, s[0:3], 0 offen offset:4
	ds_read_b64 v[118:119], v106
	s_waitcnt vmcnt(0) lgkmcnt(0)
	v_mul_f64 v[104:105], v[104:105], v[118:119]
	s_cbranch_execz .LBB50_400
	s_branch .LBB50_401
.LBB50_399:
                                        ; implicit-def: $vgpr104_vgpr105
.LBB50_400:
	ds_read_b64 v[104:105], v106
.LBB50_401:
	s_and_saveexec_b64 s[12:13], s[6:7]
	s_cbranch_execz .LBB50_405
; %bb.402:
	v_add_u32_e32 v118, -10, v0
	s_movk_i32 s14, 0x1f0
	s_mov_b64 s[6:7], 0
.LBB50_403:                             ; =>This Inner Loop Header: Depth=1
	buffer_load_dword v120, v117, s[0:3], 0 offen
	buffer_load_dword v121, v117, s[0:3], 0 offen offset:4
	v_mov_b32_e32 v119, s14
	ds_read_b64 v[122:123], v119
	v_add_u32_e32 v118, -1, v118
	s_add_i32 s14, s14, 8
	v_cmp_eq_u32_e32 vcc, 0, v118
	v_add_u32_e32 v117, 8, v117
	s_or_b64 s[6:7], vcc, s[6:7]
	s_waitcnt vmcnt(0) lgkmcnt(0)
	v_fmac_f64_e32 v[104:105], v[120:121], v[122:123]
	s_andn2_b64 exec, exec, s[6:7]
	s_cbranch_execnz .LBB50_403
; %bb.404:
	s_or_b64 exec, exec, s[6:7]
.LBB50_405:
	s_or_b64 exec, exec, s[12:13]
	v_mov_b32_e32 v117, 0
	ds_read_b64 v[118:119], v117 offset:72
	s_waitcnt lgkmcnt(0)
	v_mul_f64 v[104:105], v[104:105], v[118:119]
	buffer_store_dword v105, off, s[0:3], 0 offset:76
	buffer_store_dword v104, off, s[0:3], 0 offset:72
.LBB50_406:
	s_or_b64 exec, exec, s[10:11]
	buffer_load_dword v104, off, s[0:3], 0 offset:64
	buffer_load_dword v105, off, s[0:3], 0 offset:68
	v_cmp_lt_u32_e64 s[6:7], 8, v0
	s_waitcnt vmcnt(0)
	ds_write_b64 v106, v[104:105]
	s_waitcnt lgkmcnt(0)
	; wave barrier
	s_waitcnt lgkmcnt(0)
	s_and_saveexec_b64 s[10:11], s[6:7]
	s_cbranch_execz .LBB50_416
; %bb.407:
	s_andn2_b64 vcc, exec, s[8:9]
	s_cbranch_vccnz .LBB50_409
; %bb.408:
	buffer_load_dword v104, v107, s[0:3], 0 offen
	buffer_load_dword v105, v107, s[0:3], 0 offen offset:4
	ds_read_b64 v[118:119], v106
	s_waitcnt vmcnt(0) lgkmcnt(0)
	v_mul_f64 v[104:105], v[104:105], v[118:119]
	s_cbranch_execz .LBB50_410
	s_branch .LBB50_411
.LBB50_409:
                                        ; implicit-def: $vgpr104_vgpr105
.LBB50_410:
	ds_read_b64 v[104:105], v106
.LBB50_411:
	s_and_saveexec_b64 s[12:13], s[4:5]
	s_cbranch_execz .LBB50_415
; %bb.412:
	v_add_u32_e32 v117, -9, v0
	s_movk_i32 s14, 0x1e8
	s_mov_b64 s[4:5], 0
.LBB50_413:                             ; =>This Inner Loop Header: Depth=1
	buffer_load_dword v118, v116, s[0:3], 0 offen
	buffer_load_dword v119, v116, s[0:3], 0 offen offset:4
	v_mov_b32_e32 v120, s14
	ds_read_b64 v[120:121], v120
	v_add_u32_e32 v117, -1, v117
	s_add_i32 s14, s14, 8
	v_cmp_eq_u32_e32 vcc, 0, v117
	v_add_u32_e32 v116, 8, v116
	s_or_b64 s[4:5], vcc, s[4:5]
	s_waitcnt vmcnt(0) lgkmcnt(0)
	v_fmac_f64_e32 v[104:105], v[118:119], v[120:121]
	s_andn2_b64 exec, exec, s[4:5]
	s_cbranch_execnz .LBB50_413
; %bb.414:
	s_or_b64 exec, exec, s[4:5]
.LBB50_415:
	s_or_b64 exec, exec, s[12:13]
	v_mov_b32_e32 v116, 0
	ds_read_b64 v[116:117], v116 offset:64
	s_waitcnt lgkmcnt(0)
	v_mul_f64 v[104:105], v[104:105], v[116:117]
	buffer_store_dword v105, off, s[0:3], 0 offset:68
	buffer_store_dword v104, off, s[0:3], 0 offset:64
.LBB50_416:
	s_or_b64 exec, exec, s[10:11]
	buffer_load_dword v104, off, s[0:3], 0 offset:56
	buffer_load_dword v105, off, s[0:3], 0 offset:60
	v_cmp_lt_u32_e64 s[4:5], 7, v0
	s_waitcnt vmcnt(0)
	ds_write_b64 v106, v[104:105]
	s_waitcnt lgkmcnt(0)
	; wave barrier
	s_waitcnt lgkmcnt(0)
	s_and_saveexec_b64 s[10:11], s[4:5]
	s_cbranch_execz .LBB50_426
; %bb.417:
	s_andn2_b64 vcc, exec, s[8:9]
	s_cbranch_vccnz .LBB50_419
; %bb.418:
	buffer_load_dword v104, v107, s[0:3], 0 offen
	buffer_load_dword v105, v107, s[0:3], 0 offen offset:4
	ds_read_b64 v[116:117], v106
	s_waitcnt vmcnt(0) lgkmcnt(0)
	v_mul_f64 v[104:105], v[104:105], v[116:117]
	s_cbranch_execz .LBB50_420
	s_branch .LBB50_421
.LBB50_419:
                                        ; implicit-def: $vgpr104_vgpr105
.LBB50_420:
	ds_read_b64 v[104:105], v106
.LBB50_421:
	s_and_saveexec_b64 s[12:13], s[6:7]
	s_cbranch_execz .LBB50_425
; %bb.422:
	v_add_u32_e32 v116, -8, v0
	s_movk_i32 s14, 0x1e0
	s_mov_b64 s[6:7], 0
.LBB50_423:                             ; =>This Inner Loop Header: Depth=1
	buffer_load_dword v118, v115, s[0:3], 0 offen
	buffer_load_dword v119, v115, s[0:3], 0 offen offset:4
	v_mov_b32_e32 v117, s14
	ds_read_b64 v[120:121], v117
	v_add_u32_e32 v116, -1, v116
	s_add_i32 s14, s14, 8
	v_cmp_eq_u32_e32 vcc, 0, v116
	v_add_u32_e32 v115, 8, v115
	s_or_b64 s[6:7], vcc, s[6:7]
	s_waitcnt vmcnt(0) lgkmcnt(0)
	v_fmac_f64_e32 v[104:105], v[118:119], v[120:121]
	s_andn2_b64 exec, exec, s[6:7]
	s_cbranch_execnz .LBB50_423
; %bb.424:
	s_or_b64 exec, exec, s[6:7]
.LBB50_425:
	s_or_b64 exec, exec, s[12:13]
	v_mov_b32_e32 v115, 0
	ds_read_b64 v[116:117], v115 offset:56
	s_waitcnt lgkmcnt(0)
	v_mul_f64 v[104:105], v[104:105], v[116:117]
	buffer_store_dword v105, off, s[0:3], 0 offset:60
	buffer_store_dword v104, off, s[0:3], 0 offset:56
.LBB50_426:
	s_or_b64 exec, exec, s[10:11]
	buffer_load_dword v104, off, s[0:3], 0 offset:48
	buffer_load_dword v105, off, s[0:3], 0 offset:52
	v_cmp_lt_u32_e64 s[6:7], 6, v0
	s_waitcnt vmcnt(0)
	ds_write_b64 v106, v[104:105]
	s_waitcnt lgkmcnt(0)
	; wave barrier
	s_waitcnt lgkmcnt(0)
	s_and_saveexec_b64 s[10:11], s[6:7]
	s_cbranch_execz .LBB50_436
; %bb.427:
	s_andn2_b64 vcc, exec, s[8:9]
	s_cbranch_vccnz .LBB50_429
; %bb.428:
	buffer_load_dword v104, v107, s[0:3], 0 offen
	buffer_load_dword v105, v107, s[0:3], 0 offen offset:4
	ds_read_b64 v[116:117], v106
	s_waitcnt vmcnt(0) lgkmcnt(0)
	v_mul_f64 v[104:105], v[104:105], v[116:117]
	s_cbranch_execz .LBB50_430
	s_branch .LBB50_431
.LBB50_429:
                                        ; implicit-def: $vgpr104_vgpr105
.LBB50_430:
	ds_read_b64 v[104:105], v106
.LBB50_431:
	s_and_saveexec_b64 s[12:13], s[4:5]
	s_cbranch_execz .LBB50_435
; %bb.432:
	v_add_u32_e32 v115, -7, v0
	s_movk_i32 s14, 0x1d8
	s_mov_b64 s[4:5], 0
.LBB50_433:                             ; =>This Inner Loop Header: Depth=1
	buffer_load_dword v116, v114, s[0:3], 0 offen
	buffer_load_dword v117, v114, s[0:3], 0 offen offset:4
	v_mov_b32_e32 v118, s14
	ds_read_b64 v[118:119], v118
	v_add_u32_e32 v115, -1, v115
	s_add_i32 s14, s14, 8
	v_cmp_eq_u32_e32 vcc, 0, v115
	v_add_u32_e32 v114, 8, v114
	s_or_b64 s[4:5], vcc, s[4:5]
	s_waitcnt vmcnt(0) lgkmcnt(0)
	v_fmac_f64_e32 v[104:105], v[116:117], v[118:119]
	s_andn2_b64 exec, exec, s[4:5]
	s_cbranch_execnz .LBB50_433
; %bb.434:
	s_or_b64 exec, exec, s[4:5]
.LBB50_435:
	s_or_b64 exec, exec, s[12:13]
	v_mov_b32_e32 v114, 0
	ds_read_b64 v[114:115], v114 offset:48
	s_waitcnt lgkmcnt(0)
	v_mul_f64 v[104:105], v[104:105], v[114:115]
	buffer_store_dword v105, off, s[0:3], 0 offset:52
	buffer_store_dword v104, off, s[0:3], 0 offset:48
.LBB50_436:
	s_or_b64 exec, exec, s[10:11]
	buffer_load_dword v104, off, s[0:3], 0 offset:40
	buffer_load_dword v105, off, s[0:3], 0 offset:44
	v_cmp_lt_u32_e64 s[4:5], 5, v0
	s_waitcnt vmcnt(0)
	ds_write_b64 v106, v[104:105]
	s_waitcnt lgkmcnt(0)
	; wave barrier
	s_waitcnt lgkmcnt(0)
	s_and_saveexec_b64 s[10:11], s[4:5]
	s_cbranch_execz .LBB50_446
; %bb.437:
	s_andn2_b64 vcc, exec, s[8:9]
	s_cbranch_vccnz .LBB50_439
; %bb.438:
	buffer_load_dword v104, v107, s[0:3], 0 offen
	buffer_load_dword v105, v107, s[0:3], 0 offen offset:4
	ds_read_b64 v[114:115], v106
	s_waitcnt vmcnt(0) lgkmcnt(0)
	v_mul_f64 v[104:105], v[104:105], v[114:115]
	s_cbranch_execz .LBB50_440
	s_branch .LBB50_441
.LBB50_439:
                                        ; implicit-def: $vgpr104_vgpr105
.LBB50_440:
	ds_read_b64 v[104:105], v106
.LBB50_441:
	s_and_saveexec_b64 s[12:13], s[6:7]
	s_cbranch_execz .LBB50_445
; %bb.442:
	v_add_u32_e32 v114, -6, v0
	s_movk_i32 s14, 0x1d0
	s_mov_b64 s[6:7], 0
.LBB50_443:                             ; =>This Inner Loop Header: Depth=1
	buffer_load_dword v116, v113, s[0:3], 0 offen
	buffer_load_dword v117, v113, s[0:3], 0 offen offset:4
	v_mov_b32_e32 v115, s14
	ds_read_b64 v[118:119], v115
	v_add_u32_e32 v114, -1, v114
	s_add_i32 s14, s14, 8
	v_cmp_eq_u32_e32 vcc, 0, v114
	v_add_u32_e32 v113, 8, v113
	s_or_b64 s[6:7], vcc, s[6:7]
	s_waitcnt vmcnt(0) lgkmcnt(0)
	v_fmac_f64_e32 v[104:105], v[116:117], v[118:119]
	s_andn2_b64 exec, exec, s[6:7]
	s_cbranch_execnz .LBB50_443
; %bb.444:
	s_or_b64 exec, exec, s[6:7]
.LBB50_445:
	s_or_b64 exec, exec, s[12:13]
	v_mov_b32_e32 v113, 0
	ds_read_b64 v[114:115], v113 offset:40
	s_waitcnt lgkmcnt(0)
	v_mul_f64 v[104:105], v[104:105], v[114:115]
	buffer_store_dword v105, off, s[0:3], 0 offset:44
	buffer_store_dword v104, off, s[0:3], 0 offset:40
.LBB50_446:
	s_or_b64 exec, exec, s[10:11]
	buffer_load_dword v104, off, s[0:3], 0 offset:32
	buffer_load_dword v105, off, s[0:3], 0 offset:36
	v_cmp_lt_u32_e64 s[6:7], 4, v0
	s_waitcnt vmcnt(0)
	ds_write_b64 v106, v[104:105]
	s_waitcnt lgkmcnt(0)
	; wave barrier
	s_waitcnt lgkmcnt(0)
	s_and_saveexec_b64 s[10:11], s[6:7]
	s_cbranch_execz .LBB50_456
; %bb.447:
	s_andn2_b64 vcc, exec, s[8:9]
	s_cbranch_vccnz .LBB50_449
; %bb.448:
	buffer_load_dword v104, v107, s[0:3], 0 offen
	buffer_load_dword v105, v107, s[0:3], 0 offen offset:4
	ds_read_b64 v[114:115], v106
	s_waitcnt vmcnt(0) lgkmcnt(0)
	v_mul_f64 v[104:105], v[104:105], v[114:115]
	s_cbranch_execz .LBB50_450
	s_branch .LBB50_451
.LBB50_449:
                                        ; implicit-def: $vgpr104_vgpr105
.LBB50_450:
	ds_read_b64 v[104:105], v106
.LBB50_451:
	s_and_saveexec_b64 s[12:13], s[4:5]
	s_cbranch_execz .LBB50_455
; %bb.452:
	v_add_u32_e32 v113, -5, v0
	s_movk_i32 s14, 0x1c8
	s_mov_b64 s[4:5], 0
.LBB50_453:                             ; =>This Inner Loop Header: Depth=1
	buffer_load_dword v114, v112, s[0:3], 0 offen
	buffer_load_dword v115, v112, s[0:3], 0 offen offset:4
	v_mov_b32_e32 v116, s14
	ds_read_b64 v[116:117], v116
	v_add_u32_e32 v113, -1, v113
	s_add_i32 s14, s14, 8
	v_cmp_eq_u32_e32 vcc, 0, v113
	v_add_u32_e32 v112, 8, v112
	s_or_b64 s[4:5], vcc, s[4:5]
	s_waitcnt vmcnt(0) lgkmcnt(0)
	v_fmac_f64_e32 v[104:105], v[114:115], v[116:117]
	s_andn2_b64 exec, exec, s[4:5]
	s_cbranch_execnz .LBB50_453
; %bb.454:
	s_or_b64 exec, exec, s[4:5]
.LBB50_455:
	s_or_b64 exec, exec, s[12:13]
	v_mov_b32_e32 v112, 0
	ds_read_b64 v[112:113], v112 offset:32
	s_waitcnt lgkmcnt(0)
	v_mul_f64 v[104:105], v[104:105], v[112:113]
	buffer_store_dword v105, off, s[0:3], 0 offset:36
	buffer_store_dword v104, off, s[0:3], 0 offset:32
.LBB50_456:
	s_or_b64 exec, exec, s[10:11]
	buffer_load_dword v104, off, s[0:3], 0 offset:24
	buffer_load_dword v105, off, s[0:3], 0 offset:28
	v_cmp_lt_u32_e64 s[4:5], 3, v0
	s_waitcnt vmcnt(0)
	ds_write_b64 v106, v[104:105]
	s_waitcnt lgkmcnt(0)
	; wave barrier
	s_waitcnt lgkmcnt(0)
	s_and_saveexec_b64 s[10:11], s[4:5]
	s_cbranch_execz .LBB50_466
; %bb.457:
	s_andn2_b64 vcc, exec, s[8:9]
	s_cbranch_vccnz .LBB50_459
; %bb.458:
	buffer_load_dword v104, v107, s[0:3], 0 offen
	buffer_load_dword v105, v107, s[0:3], 0 offen offset:4
	ds_read_b64 v[112:113], v106
	s_waitcnt vmcnt(0) lgkmcnt(0)
	v_mul_f64 v[104:105], v[104:105], v[112:113]
	s_cbranch_execz .LBB50_460
	s_branch .LBB50_461
.LBB50_459:
                                        ; implicit-def: $vgpr104_vgpr105
.LBB50_460:
	ds_read_b64 v[104:105], v106
.LBB50_461:
	s_and_saveexec_b64 s[12:13], s[6:7]
	s_cbranch_execz .LBB50_465
; %bb.462:
	v_add_u32_e32 v112, -4, v0
	s_movk_i32 s14, 0x1c0
	s_mov_b64 s[6:7], 0
.LBB50_463:                             ; =>This Inner Loop Header: Depth=1
	buffer_load_dword v114, v111, s[0:3], 0 offen
	buffer_load_dword v115, v111, s[0:3], 0 offen offset:4
	v_mov_b32_e32 v113, s14
	ds_read_b64 v[116:117], v113
	v_add_u32_e32 v112, -1, v112
	s_add_i32 s14, s14, 8
	v_cmp_eq_u32_e32 vcc, 0, v112
	v_add_u32_e32 v111, 8, v111
	s_or_b64 s[6:7], vcc, s[6:7]
	s_waitcnt vmcnt(0) lgkmcnt(0)
	v_fmac_f64_e32 v[104:105], v[114:115], v[116:117]
	s_andn2_b64 exec, exec, s[6:7]
	s_cbranch_execnz .LBB50_463
; %bb.464:
	s_or_b64 exec, exec, s[6:7]
.LBB50_465:
	s_or_b64 exec, exec, s[12:13]
	v_mov_b32_e32 v111, 0
	ds_read_b64 v[112:113], v111 offset:24
	s_waitcnt lgkmcnt(0)
	v_mul_f64 v[104:105], v[104:105], v[112:113]
	buffer_store_dword v105, off, s[0:3], 0 offset:28
	buffer_store_dword v104, off, s[0:3], 0 offset:24
.LBB50_466:
	s_or_b64 exec, exec, s[10:11]
	buffer_load_dword v104, off, s[0:3], 0 offset:16
	buffer_load_dword v105, off, s[0:3], 0 offset:20
	v_cmp_lt_u32_e64 s[6:7], 2, v0
	s_waitcnt vmcnt(0)
	ds_write_b64 v106, v[104:105]
	s_waitcnt lgkmcnt(0)
	; wave barrier
	s_waitcnt lgkmcnt(0)
	s_and_saveexec_b64 s[10:11], s[6:7]
	s_cbranch_execz .LBB50_476
; %bb.467:
	s_andn2_b64 vcc, exec, s[8:9]
	s_cbranch_vccnz .LBB50_469
; %bb.468:
	buffer_load_dword v104, v107, s[0:3], 0 offen
	buffer_load_dword v105, v107, s[0:3], 0 offen offset:4
	ds_read_b64 v[112:113], v106
	s_waitcnt vmcnt(0) lgkmcnt(0)
	v_mul_f64 v[104:105], v[104:105], v[112:113]
	s_cbranch_execz .LBB50_470
	s_branch .LBB50_471
.LBB50_469:
                                        ; implicit-def: $vgpr104_vgpr105
.LBB50_470:
	ds_read_b64 v[104:105], v106
.LBB50_471:
	s_and_saveexec_b64 s[12:13], s[4:5]
	s_cbranch_execz .LBB50_475
; %bb.472:
	v_add_u32_e32 v111, -3, v0
	s_movk_i32 s14, 0x1b8
	s_mov_b64 s[4:5], 0
.LBB50_473:                             ; =>This Inner Loop Header: Depth=1
	buffer_load_dword v112, v110, s[0:3], 0 offen
	buffer_load_dword v113, v110, s[0:3], 0 offen offset:4
	v_mov_b32_e32 v114, s14
	ds_read_b64 v[114:115], v114
	v_add_u32_e32 v111, -1, v111
	s_add_i32 s14, s14, 8
	v_cmp_eq_u32_e32 vcc, 0, v111
	v_add_u32_e32 v110, 8, v110
	s_or_b64 s[4:5], vcc, s[4:5]
	s_waitcnt vmcnt(0) lgkmcnt(0)
	v_fmac_f64_e32 v[104:105], v[112:113], v[114:115]
	s_andn2_b64 exec, exec, s[4:5]
	s_cbranch_execnz .LBB50_473
; %bb.474:
	s_or_b64 exec, exec, s[4:5]
.LBB50_475:
	s_or_b64 exec, exec, s[12:13]
	v_mov_b32_e32 v110, 0
	ds_read_b64 v[110:111], v110 offset:16
	s_waitcnt lgkmcnt(0)
	v_mul_f64 v[104:105], v[104:105], v[110:111]
	buffer_store_dword v105, off, s[0:3], 0 offset:20
	buffer_store_dword v104, off, s[0:3], 0 offset:16
.LBB50_476:
	s_or_b64 exec, exec, s[10:11]
	buffer_load_dword v104, off, s[0:3], 0 offset:8
	buffer_load_dword v105, off, s[0:3], 0 offset:12
	v_cmp_lt_u32_e64 s[4:5], 1, v0
	s_waitcnt vmcnt(0)
	ds_write_b64 v106, v[104:105]
	s_waitcnt lgkmcnt(0)
	; wave barrier
	s_waitcnt lgkmcnt(0)
	s_and_saveexec_b64 s[10:11], s[4:5]
	s_cbranch_execz .LBB50_486
; %bb.477:
	s_andn2_b64 vcc, exec, s[8:9]
	s_cbranch_vccnz .LBB50_479
; %bb.478:
	buffer_load_dword v104, v107, s[0:3], 0 offen
	buffer_load_dword v105, v107, s[0:3], 0 offen offset:4
	ds_read_b64 v[110:111], v106
	s_waitcnt vmcnt(0) lgkmcnt(0)
	v_mul_f64 v[104:105], v[104:105], v[110:111]
	s_cbranch_execz .LBB50_480
	s_branch .LBB50_481
.LBB50_479:
                                        ; implicit-def: $vgpr104_vgpr105
.LBB50_480:
	ds_read_b64 v[104:105], v106
.LBB50_481:
	s_and_saveexec_b64 s[12:13], s[6:7]
	s_cbranch_execz .LBB50_485
; %bb.482:
	v_add_u32_e32 v110, -2, v0
	s_movk_i32 s14, 0x1b0
	s_mov_b64 s[6:7], 0
.LBB50_483:                             ; =>This Inner Loop Header: Depth=1
	buffer_load_dword v112, v109, s[0:3], 0 offen
	buffer_load_dword v113, v109, s[0:3], 0 offen offset:4
	v_mov_b32_e32 v111, s14
	ds_read_b64 v[114:115], v111
	v_add_u32_e32 v110, -1, v110
	s_add_i32 s14, s14, 8
	v_cmp_eq_u32_e32 vcc, 0, v110
	v_add_u32_e32 v109, 8, v109
	s_or_b64 s[6:7], vcc, s[6:7]
	s_waitcnt vmcnt(0) lgkmcnt(0)
	v_fmac_f64_e32 v[104:105], v[112:113], v[114:115]
	s_andn2_b64 exec, exec, s[6:7]
	s_cbranch_execnz .LBB50_483
; %bb.484:
	s_or_b64 exec, exec, s[6:7]
.LBB50_485:
	s_or_b64 exec, exec, s[12:13]
	v_mov_b32_e32 v109, 0
	ds_read_b64 v[110:111], v109 offset:8
	s_waitcnt lgkmcnt(0)
	v_mul_f64 v[104:105], v[104:105], v[110:111]
	buffer_store_dword v105, off, s[0:3], 0 offset:12
	buffer_store_dword v104, off, s[0:3], 0 offset:8
.LBB50_486:
	s_or_b64 exec, exec, s[10:11]
	buffer_load_dword v104, off, s[0:3], 0
	buffer_load_dword v105, off, s[0:3], 0 offset:4
	v_cmp_ne_u32_e32 vcc, 0, v0
	s_waitcnt vmcnt(0)
	ds_write_b64 v106, v[104:105]
	s_waitcnt lgkmcnt(0)
	; wave barrier
	s_waitcnt lgkmcnt(0)
	s_and_saveexec_b64 s[6:7], vcc
	s_cbranch_execz .LBB50_496
; %bb.487:
	s_andn2_b64 vcc, exec, s[8:9]
	s_cbranch_vccnz .LBB50_489
; %bb.488:
	buffer_load_dword v104, v107, s[0:3], 0 offen
	buffer_load_dword v105, v107, s[0:3], 0 offen offset:4
	ds_read_b64 v[110:111], v106
	s_waitcnt vmcnt(0) lgkmcnt(0)
	v_mul_f64 v[104:105], v[104:105], v[110:111]
	s_cbranch_execz .LBB50_490
	s_branch .LBB50_491
.LBB50_489:
                                        ; implicit-def: $vgpr104_vgpr105
.LBB50_490:
	ds_read_b64 v[104:105], v106
.LBB50_491:
	s_and_saveexec_b64 s[10:11], s[4:5]
	s_cbranch_execz .LBB50_495
; %bb.492:
	v_add_u32_e32 v109, -1, v0
	s_movk_i32 s12, 0x1a8
	s_mov_b64 s[4:5], 0
.LBB50_493:                             ; =>This Inner Loop Header: Depth=1
	buffer_load_dword v110, v108, s[0:3], 0 offen
	buffer_load_dword v111, v108, s[0:3], 0 offen offset:4
	v_mov_b32_e32 v112, s12
	ds_read_b64 v[112:113], v112
	v_add_u32_e32 v109, -1, v109
	s_add_i32 s12, s12, 8
	v_cmp_eq_u32_e32 vcc, 0, v109
	v_add_u32_e32 v108, 8, v108
	s_or_b64 s[4:5], vcc, s[4:5]
	s_waitcnt vmcnt(0) lgkmcnt(0)
	v_fmac_f64_e32 v[104:105], v[110:111], v[112:113]
	s_andn2_b64 exec, exec, s[4:5]
	s_cbranch_execnz .LBB50_493
; %bb.494:
	s_or_b64 exec, exec, s[4:5]
.LBB50_495:
	s_or_b64 exec, exec, s[10:11]
	v_mov_b32_e32 v108, 0
	ds_read_b64 v[108:109], v108
	s_waitcnt lgkmcnt(0)
	v_mul_f64 v[104:105], v[104:105], v[108:109]
	buffer_store_dword v105, off, s[0:3], 0 offset:4
	buffer_store_dword v104, off, s[0:3], 0
.LBB50_496:
	s_or_b64 exec, exec, s[6:7]
	s_mov_b64 s[4:5], 0
.LBB50_497:
	s_and_b64 vcc, exec, s[4:5]
	s_cbranch_vccz .LBB50_991
; %bb.498:
	buffer_load_dword v104, off, s[0:3], 0 offset:8
	buffer_load_dword v105, off, s[0:3], 0 offset:12
	v_cmp_eq_u32_e64 s[6:7], 0, v0
	s_waitcnt vmcnt(0)
	ds_write_b64 v106, v[104:105]
	s_waitcnt lgkmcnt(0)
	; wave barrier
	s_waitcnt lgkmcnt(0)
	s_and_saveexec_b64 s[4:5], s[6:7]
	s_cbranch_execz .LBB50_504
; %bb.499:
	s_and_b64 vcc, exec, s[8:9]
	s_cbranch_vccz .LBB50_501
; %bb.500:
	buffer_load_dword v104, v107, s[0:3], 0 offen
	buffer_load_dword v105, v107, s[0:3], 0 offen offset:4
	ds_read_b64 v[108:109], v106
	s_waitcnt vmcnt(0) lgkmcnt(0)
	v_mul_f64 v[104:105], v[104:105], v[108:109]
	s_cbranch_execz .LBB50_502
	s_branch .LBB50_503
.LBB50_501:
                                        ; implicit-def: $vgpr104_vgpr105
.LBB50_502:
	ds_read_b64 v[104:105], v106
.LBB50_503:
	v_mov_b32_e32 v108, 0
	ds_read_b64 v[108:109], v108 offset:8
	s_waitcnt lgkmcnt(0)
	v_mul_f64 v[104:105], v[104:105], v[108:109]
	buffer_store_dword v105, off, s[0:3], 0 offset:12
	buffer_store_dword v104, off, s[0:3], 0 offset:8
.LBB50_504:
	s_or_b64 exec, exec, s[4:5]
	buffer_load_dword v104, off, s[0:3], 0 offset:16
	buffer_load_dword v105, off, s[0:3], 0 offset:20
	v_cndmask_b32_e64 v108, 0, 1, s[8:9]
	v_cmp_gt_u32_e32 vcc, 2, v0
	v_cmp_ne_u32_e64 s[4:5], 1, v108
	s_waitcnt vmcnt(0)
	ds_write_b64 v106, v[104:105]
	s_waitcnt lgkmcnt(0)
	; wave barrier
	s_waitcnt lgkmcnt(0)
	s_and_saveexec_b64 s[8:9], vcc
	s_cbranch_execz .LBB50_512
; %bb.505:
	s_and_b64 vcc, exec, s[4:5]
	s_cbranch_vccnz .LBB50_507
; %bb.506:
	buffer_load_dword v104, v107, s[0:3], 0 offen
	buffer_load_dword v105, v107, s[0:3], 0 offen offset:4
	ds_read_b64 v[108:109], v106
	s_waitcnt vmcnt(0) lgkmcnt(0)
	v_mul_f64 v[104:105], v[104:105], v[108:109]
	s_cbranch_execz .LBB50_508
	s_branch .LBB50_509
.LBB50_507:
                                        ; implicit-def: $vgpr104_vgpr105
.LBB50_508:
	ds_read_b64 v[104:105], v106
.LBB50_509:
	s_and_saveexec_b64 s[10:11], s[6:7]
	s_cbranch_execz .LBB50_511
; %bb.510:
	buffer_load_dword v108, v107, s[0:3], 0 offen offset:8
	buffer_load_dword v109, v107, s[0:3], 0 offen offset:12
	ds_read_b64 v[110:111], v106 offset:8
	s_waitcnt vmcnt(0) lgkmcnt(0)
	v_fmac_f64_e32 v[104:105], v[108:109], v[110:111]
.LBB50_511:
	s_or_b64 exec, exec, s[10:11]
	v_mov_b32_e32 v108, 0
	ds_read_b64 v[108:109], v108 offset:16
	s_waitcnt lgkmcnt(0)
	v_mul_f64 v[104:105], v[104:105], v[108:109]
	buffer_store_dword v105, off, s[0:3], 0 offset:20
	buffer_store_dword v104, off, s[0:3], 0 offset:16
.LBB50_512:
	s_or_b64 exec, exec, s[8:9]
	buffer_load_dword v104, off, s[0:3], 0 offset:24
	buffer_load_dword v105, off, s[0:3], 0 offset:28
	v_cmp_gt_u32_e32 vcc, 3, v0
	s_waitcnt vmcnt(0)
	ds_write_b64 v106, v[104:105]
	s_waitcnt lgkmcnt(0)
	; wave barrier
	s_waitcnt lgkmcnt(0)
	s_and_saveexec_b64 s[8:9], vcc
	s_cbranch_execz .LBB50_520
; %bb.513:
	s_and_b64 vcc, exec, s[4:5]
	s_cbranch_vccnz .LBB50_515
; %bb.514:
	buffer_load_dword v104, v107, s[0:3], 0 offen
	buffer_load_dword v105, v107, s[0:3], 0 offen offset:4
	ds_read_b64 v[108:109], v106
	s_waitcnt vmcnt(0) lgkmcnt(0)
	v_mul_f64 v[104:105], v[104:105], v[108:109]
	s_cbranch_execz .LBB50_516
	s_branch .LBB50_517
.LBB50_515:
                                        ; implicit-def: $vgpr104_vgpr105
.LBB50_516:
	ds_read_b64 v[104:105], v106
.LBB50_517:
	v_cmp_ne_u32_e32 vcc, 2, v0
	s_and_saveexec_b64 s[10:11], vcc
	s_cbranch_execz .LBB50_519
; %bb.518:
	buffer_load_dword v109, v107, s[0:3], 0 offen offset:12
	buffer_load_dword v110, off, s[0:3], 0 offset:16
	buffer_load_dword v108, v107, s[0:3], 0 offen offset:8
	buffer_load_dword v111, off, s[0:3], 0 offset:20
	v_mov_b32_e32 v114, 0
	ds_read_b64 v[112:113], v106 offset:8
	ds_read_b64 v[114:115], v114 offset:432
	s_waitcnt vmcnt(1) lgkmcnt(1)
	v_fmac_f64_e32 v[104:105], v[108:109], v[112:113]
	s_waitcnt vmcnt(0) lgkmcnt(0)
	v_fma_f64 v[108:109], v[110:111], v[114:115], v[104:105]
	v_cndmask_b32_e64 v105, v105, v109, s[6:7]
	v_cndmask_b32_e64 v104, v104, v108, s[6:7]
.LBB50_519:
	s_or_b64 exec, exec, s[10:11]
	v_mov_b32_e32 v108, 0
	ds_read_b64 v[108:109], v108 offset:24
	s_waitcnt lgkmcnt(0)
	v_mul_f64 v[104:105], v[104:105], v[108:109]
	buffer_store_dword v105, off, s[0:3], 0 offset:28
	buffer_store_dword v104, off, s[0:3], 0 offset:24
.LBB50_520:
	s_or_b64 exec, exec, s[8:9]
	buffer_load_dword v104, off, s[0:3], 0 offset:32
	buffer_load_dword v105, off, s[0:3], 0 offset:36
	v_cmp_gt_u32_e32 vcc, 4, v0
	s_waitcnt vmcnt(0)
	ds_write_b64 v106, v[104:105]
	s_waitcnt lgkmcnt(0)
	; wave barrier
	s_waitcnt lgkmcnt(0)
	s_and_saveexec_b64 s[6:7], vcc
	s_cbranch_execz .LBB50_530
; %bb.521:
	s_and_b64 vcc, exec, s[4:5]
	s_cbranch_vccnz .LBB50_523
; %bb.522:
	buffer_load_dword v104, v107, s[0:3], 0 offen
	buffer_load_dword v105, v107, s[0:3], 0 offen offset:4
	ds_read_b64 v[108:109], v106
	s_waitcnt vmcnt(0) lgkmcnt(0)
	v_mul_f64 v[104:105], v[104:105], v[108:109]
	s_cbranch_execz .LBB50_524
	s_branch .LBB50_525
.LBB50_523:
                                        ; implicit-def: $vgpr104_vgpr105
.LBB50_524:
	ds_read_b64 v[104:105], v106
.LBB50_525:
	v_cmp_ne_u32_e32 vcc, 3, v0
	s_and_saveexec_b64 s[8:9], vcc
	s_cbranch_execz .LBB50_529
; %bb.526:
	v_mov_b32_e32 v109, 0
	v_add_u32_e32 v108, 0x1a8, v1
	v_add3_u32 v109, v1, v109, 8
	s_mov_b64 s[10:11], 0
	v_mov_b32_e32 v110, v0
.LBB50_527:                             ; =>This Inner Loop Header: Depth=1
	buffer_load_dword v112, v109, s[0:3], 0 offen
	buffer_load_dword v113, v109, s[0:3], 0 offen offset:4
	ds_read_b64 v[114:115], v108
	v_add_u32_e32 v110, 1, v110
	v_cmp_lt_u32_e32 vcc, 2, v110
	v_add_u32_e32 v108, 8, v108
	v_add_u32_e32 v109, 8, v109
	s_or_b64 s[10:11], vcc, s[10:11]
	s_waitcnt vmcnt(0) lgkmcnt(0)
	v_fmac_f64_e32 v[104:105], v[112:113], v[114:115]
	s_andn2_b64 exec, exec, s[10:11]
	s_cbranch_execnz .LBB50_527
; %bb.528:
	s_or_b64 exec, exec, s[10:11]
.LBB50_529:
	s_or_b64 exec, exec, s[8:9]
	v_mov_b32_e32 v108, 0
	ds_read_b64 v[108:109], v108 offset:32
	s_waitcnt lgkmcnt(0)
	v_mul_f64 v[104:105], v[104:105], v[108:109]
	buffer_store_dword v105, off, s[0:3], 0 offset:36
	buffer_store_dword v104, off, s[0:3], 0 offset:32
.LBB50_530:
	s_or_b64 exec, exec, s[6:7]
	buffer_load_dword v104, off, s[0:3], 0 offset:40
	buffer_load_dword v105, off, s[0:3], 0 offset:44
	v_cmp_gt_u32_e32 vcc, 5, v0
	s_waitcnt vmcnt(0)
	ds_write_b64 v106, v[104:105]
	s_waitcnt lgkmcnt(0)
	; wave barrier
	s_waitcnt lgkmcnt(0)
	s_and_saveexec_b64 s[6:7], vcc
	s_cbranch_execz .LBB50_540
; %bb.531:
	s_and_b64 vcc, exec, s[4:5]
	s_cbranch_vccnz .LBB50_533
; %bb.532:
	buffer_load_dword v104, v107, s[0:3], 0 offen
	buffer_load_dword v105, v107, s[0:3], 0 offen offset:4
	ds_read_b64 v[108:109], v106
	s_waitcnt vmcnt(0) lgkmcnt(0)
	v_mul_f64 v[104:105], v[104:105], v[108:109]
	s_cbranch_execz .LBB50_534
	s_branch .LBB50_535
.LBB50_533:
                                        ; implicit-def: $vgpr104_vgpr105
.LBB50_534:
	ds_read_b64 v[104:105], v106
.LBB50_535:
	v_cmp_ne_u32_e32 vcc, 4, v0
	s_and_saveexec_b64 s[8:9], vcc
	s_cbranch_execz .LBB50_539
; %bb.536:
	v_mov_b32_e32 v109, 0
	v_add_u32_e32 v108, 0x1a8, v1
	v_add3_u32 v109, v1, v109, 8
	s_mov_b64 s[10:11], 0
	v_mov_b32_e32 v110, v0
.LBB50_537:                             ; =>This Inner Loop Header: Depth=1
	buffer_load_dword v112, v109, s[0:3], 0 offen
	buffer_load_dword v113, v109, s[0:3], 0 offen offset:4
	ds_read_b64 v[114:115], v108
	v_add_u32_e32 v110, 1, v110
	v_cmp_lt_u32_e32 vcc, 3, v110
	v_add_u32_e32 v108, 8, v108
	v_add_u32_e32 v109, 8, v109
	s_or_b64 s[10:11], vcc, s[10:11]
	s_waitcnt vmcnt(0) lgkmcnt(0)
	v_fmac_f64_e32 v[104:105], v[112:113], v[114:115]
	s_andn2_b64 exec, exec, s[10:11]
	s_cbranch_execnz .LBB50_537
; %bb.538:
	s_or_b64 exec, exec, s[10:11]
.LBB50_539:
	s_or_b64 exec, exec, s[8:9]
	v_mov_b32_e32 v108, 0
	ds_read_b64 v[108:109], v108 offset:40
	s_waitcnt lgkmcnt(0)
	v_mul_f64 v[104:105], v[104:105], v[108:109]
	buffer_store_dword v105, off, s[0:3], 0 offset:44
	buffer_store_dword v104, off, s[0:3], 0 offset:40
.LBB50_540:
	;; [unrolled: 60-line block ×45, first 2 shown]
	s_or_b64 exec, exec, s[6:7]
	buffer_load_dword v104, off, s[0:3], 0 offset:392
	buffer_load_dword v105, off, s[0:3], 0 offset:396
	v_cmp_gt_u32_e64 s[6:7], 49, v0
	s_waitcnt vmcnt(0)
	ds_write_b64 v106, v[104:105]
	s_waitcnt lgkmcnt(0)
	; wave barrier
	s_waitcnt lgkmcnt(0)
	s_and_saveexec_b64 s[8:9], s[6:7]
	s_cbranch_execz .LBB50_980
; %bb.971:
	s_and_b64 vcc, exec, s[4:5]
	s_cbranch_vccnz .LBB50_973
; %bb.972:
	buffer_load_dword v104, v107, s[0:3], 0 offen
	buffer_load_dword v105, v107, s[0:3], 0 offen offset:4
	ds_read_b64 v[108:109], v106
	s_waitcnt vmcnt(0) lgkmcnt(0)
	v_mul_f64 v[104:105], v[104:105], v[108:109]
	s_cbranch_execz .LBB50_974
	s_branch .LBB50_975
.LBB50_973:
                                        ; implicit-def: $vgpr104_vgpr105
.LBB50_974:
	ds_read_b64 v[104:105], v106
.LBB50_975:
	v_cmp_ne_u32_e32 vcc, 48, v0
	s_and_saveexec_b64 s[10:11], vcc
	s_cbranch_execz .LBB50_979
; %bb.976:
	v_mov_b32_e32 v109, 0
	v_add_u32_e32 v108, 0x1a8, v1
	v_add3_u32 v109, v1, v109, 8
	s_mov_b64 s[12:13], 0
	v_mov_b32_e32 v110, v0
.LBB50_977:                             ; =>This Inner Loop Header: Depth=1
	buffer_load_dword v112, v109, s[0:3], 0 offen
	buffer_load_dword v113, v109, s[0:3], 0 offen offset:4
	ds_read_b64 v[114:115], v108
	v_add_u32_e32 v110, 1, v110
	v_cmp_lt_u32_e32 vcc, 47, v110
	v_add_u32_e32 v108, 8, v108
	v_add_u32_e32 v109, 8, v109
	s_or_b64 s[12:13], vcc, s[12:13]
	s_waitcnt vmcnt(0) lgkmcnt(0)
	v_fmac_f64_e32 v[104:105], v[112:113], v[114:115]
	s_andn2_b64 exec, exec, s[12:13]
	s_cbranch_execnz .LBB50_977
; %bb.978:
	s_or_b64 exec, exec, s[12:13]
.LBB50_979:
	s_or_b64 exec, exec, s[10:11]
	v_mov_b32_e32 v108, 0
	ds_read_b64 v[108:109], v108 offset:392
	s_waitcnt lgkmcnt(0)
	v_mul_f64 v[104:105], v[104:105], v[108:109]
	buffer_store_dword v105, off, s[0:3], 0 offset:396
	buffer_store_dword v104, off, s[0:3], 0 offset:392
.LBB50_980:
	s_or_b64 exec, exec, s[8:9]
	buffer_load_dword v104, off, s[0:3], 0 offset:400
	buffer_load_dword v105, off, s[0:3], 0 offset:404
	v_cmp_ne_u32_e32 vcc, 50, v0
	s_waitcnt vmcnt(0)
	ds_write_b64 v106, v[104:105]
	s_waitcnt lgkmcnt(0)
	; wave barrier
	s_waitcnt lgkmcnt(0)
	s_and_saveexec_b64 s[8:9], vcc
	s_cbranch_execz .LBB50_990
; %bb.981:
	s_and_b64 vcc, exec, s[4:5]
	s_cbranch_vccnz .LBB50_983
; %bb.982:
	buffer_load_dword v104, v107, s[0:3], 0 offen
	buffer_load_dword v105, v107, s[0:3], 0 offen offset:4
	ds_read_b64 v[108:109], v106
	s_waitcnt vmcnt(0) lgkmcnt(0)
	v_mul_f64 v[104:105], v[104:105], v[108:109]
	s_cbranch_execz .LBB50_984
	s_branch .LBB50_985
.LBB50_983:
                                        ; implicit-def: $vgpr104_vgpr105
.LBB50_984:
	ds_read_b64 v[104:105], v106
.LBB50_985:
	s_and_saveexec_b64 s[4:5], s[6:7]
	s_cbranch_execz .LBB50_989
; %bb.986:
	v_mov_b32_e32 v107, 0
	v_add_u32_e32 v106, 0x1a8, v1
	v_add3_u32 v1, v1, v107, 8
	s_mov_b64 s[6:7], 0
.LBB50_987:                             ; =>This Inner Loop Header: Depth=1
	buffer_load_dword v108, v1, s[0:3], 0 offen
	buffer_load_dword v109, v1, s[0:3], 0 offen offset:4
	ds_read_b64 v[110:111], v106
	v_add_u32_e32 v0, 1, v0
	v_cmp_lt_u32_e32 vcc, 48, v0
	v_add_u32_e32 v106, 8, v106
	v_add_u32_e32 v1, 8, v1
	s_or_b64 s[6:7], vcc, s[6:7]
	s_waitcnt vmcnt(0) lgkmcnt(0)
	v_fmac_f64_e32 v[104:105], v[108:109], v[110:111]
	s_andn2_b64 exec, exec, s[6:7]
	s_cbranch_execnz .LBB50_987
; %bb.988:
	s_or_b64 exec, exec, s[6:7]
.LBB50_989:
	s_or_b64 exec, exec, s[4:5]
	v_mov_b32_e32 v0, 0
	ds_read_b64 v[0:1], v0 offset:400
	s_waitcnt lgkmcnt(0)
	v_mul_f64 v[0:1], v[104:105], v[0:1]
	buffer_store_dword v1, off, s[0:3], 0 offset:404
	buffer_store_dword v0, off, s[0:3], 0 offset:400
.LBB50_990:
	s_or_b64 exec, exec, s[8:9]
.LBB50_991:
	buffer_load_dword v0, off, s[0:3], 0
	buffer_load_dword v1, off, s[0:3], 0 offset:4
	buffer_load_dword v104, off, s[0:3], 0 offset:8
	;; [unrolled: 1-line block ×15, first 2 shown]
	s_waitcnt vmcnt(14)
	global_store_dwordx2 v[100:101], v[0:1], off
	s_waitcnt vmcnt(13)
	global_store_dwordx2 v[102:103], v[104:105], off
	;; [unrolled: 2-line block ×8, first 2 shown]
	buffer_load_dword v1, off, s[0:3], 0 offset:68
	buffer_load_dword v0, off, s[0:3], 0 offset:64
	s_waitcnt vmcnt(0)
	global_store_dwordx2 v[20:21], v[0:1], off
	buffer_load_dword v0, off, s[0:3], 0 offset:72
	s_nop 0
	buffer_load_dword v1, off, s[0:3], 0 offset:76
	s_waitcnt vmcnt(0)
	global_store_dwordx2 v[12:13], v[0:1], off
	buffer_load_dword v0, off, s[0:3], 0 offset:80
	s_nop 0
	;; [unrolled: 5-line block ×42, first 2 shown]
	buffer_load_dword v1, off, s[0:3], 0 offset:404
	s_waitcnt vmcnt(0)
	global_store_dwordx2 v[84:85], v[0:1], off
.LBB50_992:
	s_endpgm
	.section	.rodata,"a",@progbits
	.p2align	6, 0x0
	.amdhsa_kernel _ZN9rocsolver6v33100L18trti2_kernel_smallILi51EdPdEEv13rocblas_fill_17rocblas_diagonal_T1_iil
		.amdhsa_group_segment_fixed_size 824
		.amdhsa_private_segment_fixed_size 416
		.amdhsa_kernarg_size 32
		.amdhsa_user_sgpr_count 8
		.amdhsa_user_sgpr_private_segment_buffer 1
		.amdhsa_user_sgpr_dispatch_ptr 0
		.amdhsa_user_sgpr_queue_ptr 0
		.amdhsa_user_sgpr_kernarg_segment_ptr 1
		.amdhsa_user_sgpr_dispatch_id 0
		.amdhsa_user_sgpr_flat_scratch_init 1
		.amdhsa_user_sgpr_kernarg_preload_length 0
		.amdhsa_user_sgpr_kernarg_preload_offset 0
		.amdhsa_user_sgpr_private_segment_size 0
		.amdhsa_uses_dynamic_stack 0
		.amdhsa_system_sgpr_private_segment_wavefront_offset 1
		.amdhsa_system_sgpr_workgroup_id_x 1
		.amdhsa_system_sgpr_workgroup_id_y 0
		.amdhsa_system_sgpr_workgroup_id_z 0
		.amdhsa_system_sgpr_workgroup_info 0
		.amdhsa_system_vgpr_workitem_id 0
		.amdhsa_next_free_vgpr 164
		.amdhsa_next_free_sgpr 20
		.amdhsa_accum_offset 164
		.amdhsa_reserve_vcc 1
		.amdhsa_reserve_flat_scratch 0
		.amdhsa_float_round_mode_32 0
		.amdhsa_float_round_mode_16_64 0
		.amdhsa_float_denorm_mode_32 3
		.amdhsa_float_denorm_mode_16_64 3
		.amdhsa_dx10_clamp 1
		.amdhsa_ieee_mode 1
		.amdhsa_fp16_overflow 0
		.amdhsa_tg_split 0
		.amdhsa_exception_fp_ieee_invalid_op 0
		.amdhsa_exception_fp_denorm_src 0
		.amdhsa_exception_fp_ieee_div_zero 0
		.amdhsa_exception_fp_ieee_overflow 0
		.amdhsa_exception_fp_ieee_underflow 0
		.amdhsa_exception_fp_ieee_inexact 0
		.amdhsa_exception_int_div_zero 0
	.end_amdhsa_kernel
	.section	.text._ZN9rocsolver6v33100L18trti2_kernel_smallILi51EdPdEEv13rocblas_fill_17rocblas_diagonal_T1_iil,"axG",@progbits,_ZN9rocsolver6v33100L18trti2_kernel_smallILi51EdPdEEv13rocblas_fill_17rocblas_diagonal_T1_iil,comdat
.Lfunc_end50:
	.size	_ZN9rocsolver6v33100L18trti2_kernel_smallILi51EdPdEEv13rocblas_fill_17rocblas_diagonal_T1_iil, .Lfunc_end50-_ZN9rocsolver6v33100L18trti2_kernel_smallILi51EdPdEEv13rocblas_fill_17rocblas_diagonal_T1_iil
                                        ; -- End function
	.section	.AMDGPU.csdata,"",@progbits
; Kernel info:
; codeLenInByte = 29972
; NumSgprs: 24
; NumVgprs: 164
; NumAgprs: 0
; TotalNumVgprs: 164
; ScratchSize: 416
; MemoryBound: 0
; FloatMode: 240
; IeeeMode: 1
; LDSByteSize: 824 bytes/workgroup (compile time only)
; SGPRBlocks: 2
; VGPRBlocks: 20
; NumSGPRsForWavesPerEU: 24
; NumVGPRsForWavesPerEU: 164
; AccumOffset: 164
; Occupancy: 3
; WaveLimiterHint : 0
; COMPUTE_PGM_RSRC2:SCRATCH_EN: 1
; COMPUTE_PGM_RSRC2:USER_SGPR: 8
; COMPUTE_PGM_RSRC2:TRAP_HANDLER: 0
; COMPUTE_PGM_RSRC2:TGID_X_EN: 1
; COMPUTE_PGM_RSRC2:TGID_Y_EN: 0
; COMPUTE_PGM_RSRC2:TGID_Z_EN: 0
; COMPUTE_PGM_RSRC2:TIDIG_COMP_CNT: 0
; COMPUTE_PGM_RSRC3_GFX90A:ACCUM_OFFSET: 40
; COMPUTE_PGM_RSRC3_GFX90A:TG_SPLIT: 0
	.section	.text._ZN9rocsolver6v33100L18trti2_kernel_smallILi52EdPdEEv13rocblas_fill_17rocblas_diagonal_T1_iil,"axG",@progbits,_ZN9rocsolver6v33100L18trti2_kernel_smallILi52EdPdEEv13rocblas_fill_17rocblas_diagonal_T1_iil,comdat
	.globl	_ZN9rocsolver6v33100L18trti2_kernel_smallILi52EdPdEEv13rocblas_fill_17rocblas_diagonal_T1_iil ; -- Begin function _ZN9rocsolver6v33100L18trti2_kernel_smallILi52EdPdEEv13rocblas_fill_17rocblas_diagonal_T1_iil
	.p2align	8
	.type	_ZN9rocsolver6v33100L18trti2_kernel_smallILi52EdPdEEv13rocblas_fill_17rocblas_diagonal_T1_iil,@function
_ZN9rocsolver6v33100L18trti2_kernel_smallILi52EdPdEEv13rocblas_fill_17rocblas_diagonal_T1_iil: ; @_ZN9rocsolver6v33100L18trti2_kernel_smallILi52EdPdEEv13rocblas_fill_17rocblas_diagonal_T1_iil
; %bb.0:
	s_add_u32 s0, s0, s9
	s_addc_u32 s1, s1, 0
	v_cmp_gt_u32_e32 vcc, 52, v0
	s_and_saveexec_b64 s[6:7], vcc
	s_cbranch_execz .LBB51_1012
; %bb.1:
	s_load_dwordx8 s[12:19], s[4:5], 0x0
	s_ashr_i32 s6, s8, 31
	s_waitcnt lgkmcnt(0)
	s_mul_i32 s7, s8, s19
	s_mul_hi_u32 s9, s8, s18
	s_add_i32 s7, s9, s7
	s_mul_i32 s6, s6, s18
	s_add_i32 s7, s7, s6
	s_mul_i32 s6, s8, s18
	s_ashr_i32 s5, s16, 31
	s_lshl_b64 s[6:7], s[6:7], 3
	s_mov_b32 s4, s16
	s_add_u32 s6, s14, s6
	s_addc_u32 s7, s15, s7
	s_lshl_b64 s[4:5], s[4:5], 3
	s_add_u32 s4, s6, s4
	s_addc_u32 s5, s7, s5
	s_add_i32 s6, s17, s17
	v_add_u32_e32 v4, s6, v0
	v_ashrrev_i32_e32 v5, 31, v4
	v_lshlrev_b64 v[2:3], 3, v[4:5]
	v_add_u32_e32 v6, s17, v4
	v_mov_b32_e32 v1, s5
	v_add_co_u32_e32 v2, vcc, s4, v2
	v_ashrrev_i32_e32 v7, 31, v6
	v_addc_co_u32_e32 v3, vcc, v1, v3, vcc
	v_lshlrev_b64 v[4:5], 3, v[6:7]
	v_add_u32_e32 v8, s17, v6
	v_add_co_u32_e32 v4, vcc, s4, v4
	v_ashrrev_i32_e32 v9, 31, v8
	v_addc_co_u32_e32 v5, vcc, v1, v5, vcc
	v_lshlrev_b64 v[6:7], 3, v[8:9]
	v_add_u32_e32 v10, s17, v8
	;; [unrolled: 5-line block ×5, first 2 shown]
	v_add_co_u32_e32 v14, vcc, s4, v14
	v_ashrrev_i32_e32 v13, 31, v12
	v_addc_co_u32_e32 v15, vcc, v1, v15, vcc
	v_lshlrev_b64 v[16:17], 3, v[12:13]
	v_add_co_u32_e32 v20, vcc, s4, v16
	v_add_u32_e32 v16, s17, v12
	v_addc_co_u32_e32 v21, vcc, v1, v17, vcc
	v_ashrrev_i32_e32 v17, 31, v16
	v_lshlrev_b64 v[12:13], 3, v[16:17]
	v_add_u32_e32 v18, s17, v16
	v_add_co_u32_e32 v12, vcc, s4, v12
	v_ashrrev_i32_e32 v19, 31, v18
	v_addc_co_u32_e32 v13, vcc, v1, v13, vcc
	v_lshlrev_b64 v[16:17], 3, v[18:19]
	v_add_u32_e32 v22, s17, v18
	v_add_co_u32_e32 v16, vcc, s4, v16
	v_ashrrev_i32_e32 v23, 31, v22
	v_addc_co_u32_e32 v17, vcc, v1, v17, vcc
	;; [unrolled: 5-line block ×35, first 2 shown]
	v_lshlrev_b64 v[86:87], 3, v[88:89]
	v_add_co_u32_e32 v86, vcc, s4, v86
	v_addc_co_u32_e32 v87, vcc, v1, v87, vcc
	v_lshlrev_b32_e32 v1, 3, v0
	v_mov_b32_e32 v89, s5
	v_add_co_u32_e32 v102, vcc, s4, v1
	s_ashr_i32 s7, s17, 31
	s_mov_b32 s6, s17
	v_addc_co_u32_e32 v103, vcc, 0, v89, vcc
	s_lshl_b64 s[6:7], s[6:7], 3
	v_mov_b32_e32 v89, s7
	v_add_co_u32_e32 v104, vcc, s6, v102
	v_addc_co_u32_e32 v105, vcc, v103, v89, vcc
	global_load_dwordx2 v[106:107], v1, s[4:5]
	global_load_dwordx2 v[110:111], v[2:3], off
	global_load_dwordx2 v[112:113], v[4:5], off
	;; [unrolled: 1-line block ×19, first 2 shown]
	v_add_u32_e32 v88, s17, v88
	v_ashrrev_i32_e32 v89, 31, v88
	v_lshlrev_b64 v[90:91], 3, v[88:89]
	v_add_u32_e32 v88, s17, v88
	v_mov_b32_e32 v92, s5
	v_add_co_u32_e32 v90, vcc, s4, v90
	v_ashrrev_i32_e32 v89, 31, v88
	v_addc_co_u32_e32 v91, vcc, v92, v91, vcc
	v_lshlrev_b64 v[92:93], 3, v[88:89]
	v_add_u32_e32 v88, s17, v88
	v_mov_b32_e32 v94, s5
	v_add_co_u32_e32 v92, vcc, s4, v92
	v_ashrrev_i32_e32 v89, 31, v88
	v_addc_co_u32_e32 v93, vcc, v94, v93, vcc
	v_lshlrev_b64 v[94:95], 3, v[88:89]
	v_add_u32_e32 v88, s17, v88
	global_load_dwordx2 v[146:147], v[38:39], off
	global_load_dwordx2 v[148:149], v[40:41], off
	v_mov_b32_e32 v96, s5
	v_add_co_u32_e32 v94, vcc, s4, v94
	v_ashrrev_i32_e32 v89, 31, v88
	v_addc_co_u32_e32 v95, vcc, v96, v95, vcc
	v_lshlrev_b64 v[96:97], 3, v[88:89]
	v_add_u32_e32 v88, s17, v88
	v_mov_b32_e32 v98, s5
	v_add_co_u32_e32 v96, vcc, s4, v96
	v_ashrrev_i32_e32 v89, 31, v88
	v_addc_co_u32_e32 v97, vcc, v98, v97, vcc
	v_lshlrev_b64 v[98:99], 3, v[88:89]
	v_add_u32_e32 v88, s17, v88
	v_mov_b32_e32 v100, s5
	v_add_co_u32_e32 v98, vcc, s4, v98
	v_ashrrev_i32_e32 v89, 31, v88
	v_addc_co_u32_e32 v99, vcc, v100, v99, vcc
	v_lshlrev_b64 v[100:101], 3, v[88:89]
	v_mov_b32_e32 v150, s5
	v_add_co_u32_e32 v100, vcc, s4, v100
	v_addc_co_u32_e32 v101, vcc, v150, v101, vcc
	global_load_dwordx2 v[150:151], v[42:43], off
	v_add_u32_e32 v88, s17, v88
	v_ashrrev_i32_e32 v89, 31, v88
	v_lshlrev_b64 v[88:89], 3, v[88:89]
	v_mov_b32_e32 v152, s5
	v_add_co_u32_e32 v88, vcc, s4, v88
	v_addc_co_u32_e32 v89, vcc, v152, v89, vcc
	global_load_dwordx2 v[152:153], v[88:89], off
	s_waitcnt vmcnt(23)
	buffer_store_dword v107, off, s[0:3], 0 offset:4
	buffer_store_dword v106, off, s[0:3], 0
	s_waitcnt vmcnt(22)
	buffer_store_dword v109, off, s[0:3], 0 offset:12
	buffer_store_dword v108, off, s[0:3], 0 offset:8
	;; [unrolled: 1-line block ×6, first 2 shown]
	s_waitcnt vmcnt(27)
	buffer_store_dword v115, off, s[0:3], 0 offset:36
	buffer_store_dword v114, off, s[0:3], 0 offset:32
	s_waitcnt vmcnt(28)
	buffer_store_dword v117, off, s[0:3], 0 offset:44
	buffer_store_dword v116, off, s[0:3], 0 offset:40
	;; [unrolled: 3-line block ×5, first 2 shown]
	s_waitcnt vmcnt(32)
	buffer_store_dword v124, off, s[0:3], 0 offset:72
	global_load_dwordx2 v[106:107], v[44:45], off
	global_load_dwordx2 v[108:109], v[46:47], off
	;; [unrolled: 1-line block ×14, first 2 shown]
	s_cmpk_lg_i32 s13, 0x84
	buffer_store_dword v125, off, s[0:3], 0 offset:76
	global_load_dwordx2 v[124:125], v[62:63], off
	s_cselect_b64 s[8:9], -1, 0
	s_waitcnt vmcnt(48)
	buffer_store_dword v126, off, s[0:3], 0 offset:80
	buffer_store_dword v127, off, s[0:3], 0 offset:84
	global_load_dwordx2 v[126:127], v[64:65], off
	s_cmpk_eq_i32 s13, 0x84
	s_waitcnt vmcnt(50)
	buffer_store_dword v128, off, s[0:3], 0 offset:88
	buffer_store_dword v129, off, s[0:3], 0 offset:92
	global_load_dwordx2 v[128:129], v[66:67], off
	s_waitcnt vmcnt(52)
	buffer_store_dword v130, off, s[0:3], 0 offset:96
	buffer_store_dword v131, off, s[0:3], 0 offset:100
	global_load_dwordx2 v[130:131], v[68:69], off
	;; [unrolled: 4-line block ×8, first 2 shown]
	s_nop 0
	buffer_store_dword v145, off, s[0:3], 0 offset:156
	buffer_store_dword v144, off, s[0:3], 0 offset:152
	global_load_dwordx2 v[144:145], v[86:87], off
	s_nop 0
	buffer_store_dword v147, off, s[0:3], 0 offset:164
	buffer_store_dword v146, off, s[0:3], 0 offset:160
	global_load_dwordx2 v[146:147], v[92:93], off
	s_waitcnt vmcnt(62)
	buffer_store_dword v148, off, s[0:3], 0 offset:168
	buffer_store_dword v149, off, s[0:3], 0 offset:172
	global_load_dwordx2 v[148:149], v[96:97], off
	s_nop 0
	buffer_store_dword v150, off, s[0:3], 0 offset:176
	buffer_store_dword v151, off, s[0:3], 0 offset:180
	global_load_dwordx2 v[150:151], v[100:101], off
	s_waitcnt vmcnt(54)
	buffer_store_dword v106, off, s[0:3], 0 offset:184
	buffer_store_dword v107, off, s[0:3], 0 offset:188
	s_waitcnt vmcnt(55)
	buffer_store_dword v108, off, s[0:3], 0 offset:192
	buffer_store_dword v109, off, s[0:3], 0 offset:196
	s_waitcnt vmcnt(56)
	buffer_store_dword v111, off, s[0:3], 0 offset:204
	buffer_store_dword v110, off, s[0:3], 0 offset:200
	s_waitcnt vmcnt(57)
	buffer_store_dword v113, off, s[0:3], 0 offset:212
	buffer_store_dword v112, off, s[0:3], 0 offset:208
	s_waitcnt vmcnt(58)
	buffer_store_dword v114, off, s[0:3], 0 offset:216
	buffer_store_dword v115, off, s[0:3], 0 offset:220
	s_waitcnt vmcnt(59)
	buffer_store_dword v116, off, s[0:3], 0 offset:224
	buffer_store_dword v117, off, s[0:3], 0 offset:228
	s_waitcnt vmcnt(60)
	buffer_store_dword v118, off, s[0:3], 0 offset:232
	buffer_store_dword v119, off, s[0:3], 0 offset:236
	s_waitcnt vmcnt(61)
	buffer_store_dword v120, off, s[0:3], 0 offset:240
	buffer_store_dword v121, off, s[0:3], 0 offset:244
	s_waitcnt vmcnt(62)
	buffer_store_dword v123, off, s[0:3], 0 offset:252
	buffer_store_dword v122, off, s[0:3], 0 offset:248
	s_waitcnt vmcnt(57)
	buffer_store_dword v125, off, s[0:3], 0 offset:260
	buffer_store_dword v124, off, s[0:3], 0 offset:256
	s_waitcnt vmcnt(56)
	buffer_store_dword v126, off, s[0:3], 0 offset:264
	buffer_store_dword v127, off, s[0:3], 0 offset:268
	s_waitcnt vmcnt(55)
	buffer_store_dword v128, off, s[0:3], 0 offset:272
	buffer_store_dword v129, off, s[0:3], 0 offset:276
	s_waitcnt vmcnt(54)
	buffer_store_dword v130, off, s[0:3], 0 offset:280
	buffer_store_dword v131, off, s[0:3], 0 offset:284
	s_waitcnt vmcnt(53)
	buffer_store_dword v132, off, s[0:3], 0 offset:288
	buffer_store_dword v133, off, s[0:3], 0 offset:292
	s_waitcnt vmcnt(52)
	buffer_store_dword v135, off, s[0:3], 0 offset:300
	buffer_store_dword v134, off, s[0:3], 0 offset:296
	s_waitcnt vmcnt(51)
	buffer_store_dword v137, off, s[0:3], 0 offset:308
	buffer_store_dword v136, off, s[0:3], 0 offset:304
	s_waitcnt vmcnt(50)
	buffer_store_dword v138, off, s[0:3], 0 offset:312
	buffer_store_dword v139, off, s[0:3], 0 offset:316
	s_waitcnt vmcnt(49)
	buffer_store_dword v140, off, s[0:3], 0 offset:320
	buffer_store_dword v141, off, s[0:3], 0 offset:324
	buffer_store_dword v154, off, s[0:3], 0 offset:328
	buffer_store_dword v155, off, s[0:3], 0 offset:332
	s_waitcnt vmcnt(50)
	buffer_store_dword v142, off, s[0:3], 0 offset:336
	buffer_store_dword v143, off, s[0:3], 0 offset:340
	buffer_store_dword v157, off, s[0:3], 0 offset:348
	buffer_store_dword v156, off, s[0:3], 0 offset:344
	s_waitcnt vmcnt(51)
	buffer_store_dword v145, off, s[0:3], 0 offset:356
	buffer_store_dword v144, off, s[0:3], 0 offset:352
	;; [unrolled: 5-line block ×5, first 2 shown]
	buffer_store_dword v152, off, s[0:3], 0 offset:408
	buffer_store_dword v153, off, s[0:3], 0 offset:412
	v_mov_b32_e32 v106, 0
	v_mov_b32_e32 v158, 0
	;; [unrolled: 1-line block ×3, first 2 shown]
	s_cbranch_scc1 .LBB51_3
; %bb.2:
	v_lshl_add_u32 v116, v0, 3, v158
	buffer_load_dword v106, v116, s[0:3], 0 offen
	buffer_load_dword v107, v116, s[0:3], 0 offen offset:4
	s_waitcnt vmcnt(0)
	v_div_scale_f64 v[108:109], s[4:5], v[106:107], v[106:107], 1.0
	v_rcp_f64_e32 v[110:111], v[108:109]
	v_div_scale_f64 v[112:113], vcc, 1.0, v[106:107], 1.0
	v_fma_f64 v[114:115], -v[108:109], v[110:111], 1.0
	v_fmac_f64_e32 v[110:111], v[110:111], v[114:115]
	v_fma_f64 v[114:115], -v[108:109], v[110:111], 1.0
	v_fmac_f64_e32 v[110:111], v[110:111], v[114:115]
	v_mul_f64 v[114:115], v[112:113], v[110:111]
	v_fma_f64 v[108:109], -v[108:109], v[114:115], v[112:113]
	v_div_fmas_f64 v[108:109], v[108:109], v[110:111], v[114:115]
	v_div_fixup_f64 v[106:107], v[108:109], v[106:107], 1.0
	buffer_store_dword v106, v116, s[0:3], 0 offen
	buffer_store_dword v107, v116, s[0:3], 0 offen offset:4
	v_xor_b32_e32 v107, 0x80000000, v107
.LBB51_3:
	s_cmpk_eq_i32 s12, 0x79
	v_add_u32_e32 v108, 0x1a0, v1
	v_add_u32_e32 v109, 0, v1
	s_mov_b64 s[4:5], -1
	ds_write_b64 v1, v[106:107]
	s_cbranch_scc1 .LBB51_507
; %bb.4:
	buffer_load_dword v106, off, s[0:3], 0 offset:400
	buffer_load_dword v107, off, s[0:3], 0 offset:404
	v_cmp_eq_u32_e64 s[4:5], 51, v0
	s_waitcnt vmcnt(0)
	ds_write_b64 v108, v[106:107]
	s_waitcnt lgkmcnt(0)
	; wave barrier
	s_waitcnt lgkmcnt(0)
	s_and_saveexec_b64 s[6:7], s[4:5]
	s_cbranch_execz .LBB51_10
; %bb.5:
	s_and_b64 vcc, exec, s[8:9]
	s_cbranch_vccz .LBB51_7
; %bb.6:
	buffer_load_dword v106, v109, s[0:3], 0 offen
	buffer_load_dword v107, v109, s[0:3], 0 offen offset:4
	ds_read_b64 v[110:111], v108
	s_waitcnt vmcnt(0) lgkmcnt(0)
	v_mul_f64 v[106:107], v[106:107], v[110:111]
	s_cbranch_execz .LBB51_8
	s_branch .LBB51_9
.LBB51_7:
                                        ; implicit-def: $vgpr106_vgpr107
.LBB51_8:
	ds_read_b64 v[106:107], v108
.LBB51_9:
	v_mov_b32_e32 v110, 0
	ds_read_b64 v[110:111], v110 offset:400
	s_waitcnt lgkmcnt(0)
	v_mul_f64 v[106:107], v[106:107], v[110:111]
	buffer_store_dword v107, off, s[0:3], 0 offset:404
	buffer_store_dword v106, off, s[0:3], 0 offset:400
.LBB51_10:
	s_or_b64 exec, exec, s[6:7]
	buffer_load_dword v106, off, s[0:3], 0 offset:392
	buffer_load_dword v107, off, s[0:3], 0 offset:396
	v_or_b32_e32 v110, 8, v158
	v_add_u32_e32 v111, 16, v158
	v_add_u32_e32 v112, 24, v158
	;; [unrolled: 1-line block ×48, first 2 shown]
	v_cmp_lt_u32_e64 s[6:7], 49, v0
	s_waitcnt vmcnt(0)
	ds_write_b64 v108, v[106:107]
	s_waitcnt lgkmcnt(0)
	; wave barrier
	s_waitcnt lgkmcnt(0)
	s_and_saveexec_b64 s[10:11], s[6:7]
	s_cbranch_execz .LBB51_16
; %bb.11:
	s_andn2_b64 vcc, exec, s[8:9]
	s_cbranch_vccnz .LBB51_13
; %bb.12:
	buffer_load_dword v106, v109, s[0:3], 0 offen
	buffer_load_dword v107, v109, s[0:3], 0 offen offset:4
	ds_read_b64 v[160:161], v108
	s_waitcnt vmcnt(0) lgkmcnt(0)
	v_mul_f64 v[106:107], v[106:107], v[160:161]
	s_cbranch_execz .LBB51_14
	s_branch .LBB51_15
.LBB51_13:
                                        ; implicit-def: $vgpr106_vgpr107
.LBB51_14:
	ds_read_b64 v[106:107], v108
.LBB51_15:
	buffer_load_dword v164, off, s[0:3], 0 offset:400
	buffer_load_dword v165, off, s[0:3], 0 offset:404
	v_mov_b32_e32 v159, 0
	ds_read2_b64 v[160:163], v159 offset0:49 offset1:102
	s_waitcnt vmcnt(0) lgkmcnt(0)
	v_fma_f64 v[162:163], v[164:165], v[162:163], v[106:107]
	v_cndmask_b32_e64 v107, v107, v163, s[4:5]
	v_cndmask_b32_e64 v106, v106, v162, s[4:5]
	v_mul_f64 v[106:107], v[106:107], v[160:161]
	buffer_store_dword v107, off, s[0:3], 0 offset:396
	buffer_store_dword v106, off, s[0:3], 0 offset:392
.LBB51_16:
	s_or_b64 exec, exec, s[10:11]
	buffer_load_dword v106, off, s[0:3], 0 offset:384
	buffer_load_dword v107, off, s[0:3], 0 offset:388
	v_cmp_lt_u32_e64 s[4:5], 48, v0
	s_waitcnt vmcnt(0)
	ds_write_b64 v108, v[106:107]
	s_waitcnt lgkmcnt(0)
	; wave barrier
	s_waitcnt lgkmcnt(0)
	s_and_saveexec_b64 s[10:11], s[4:5]
	s_cbranch_execz .LBB51_26
; %bb.17:
	s_andn2_b64 vcc, exec, s[8:9]
	s_cbranch_vccnz .LBB51_19
; %bb.18:
	buffer_load_dword v106, v109, s[0:3], 0 offen
	buffer_load_dword v107, v109, s[0:3], 0 offen offset:4
	ds_read_b64 v[160:161], v108
	s_waitcnt vmcnt(0) lgkmcnt(0)
	v_mul_f64 v[106:107], v[106:107], v[160:161]
	s_cbranch_execz .LBB51_20
	s_branch .LBB51_21
.LBB51_19:
                                        ; implicit-def: $vgpr106_vgpr107
.LBB51_20:
	ds_read_b64 v[106:107], v108
.LBB51_21:
	s_and_saveexec_b64 s[12:13], s[6:7]
	s_cbranch_execz .LBB51_25
; %bb.22:
	v_subrev_u32_e32 v159, 49, v0
	s_movk_i32 s14, 0x328
	s_mov_b64 s[6:7], 0
.LBB51_23:                              ; =>This Inner Loop Header: Depth=1
	buffer_load_dword v160, v158, s[0:3], 0 offen
	buffer_load_dword v161, v158, s[0:3], 0 offen offset:4
	v_mov_b32_e32 v162, s14
	ds_read_b64 v[162:163], v162
	v_add_u32_e32 v159, -1, v159
	s_add_i32 s14, s14, 8
	v_cmp_eq_u32_e32 vcc, 0, v159
	v_add_u32_e32 v158, 8, v158
	s_or_b64 s[6:7], vcc, s[6:7]
	s_waitcnt vmcnt(0) lgkmcnt(0)
	v_fmac_f64_e32 v[106:107], v[160:161], v[162:163]
	s_andn2_b64 exec, exec, s[6:7]
	s_cbranch_execnz .LBB51_23
; %bb.24:
	s_or_b64 exec, exec, s[6:7]
.LBB51_25:
	s_or_b64 exec, exec, s[12:13]
	v_mov_b32_e32 v158, 0
	ds_read_b64 v[158:159], v158 offset:384
	s_waitcnt lgkmcnt(0)
	v_mul_f64 v[106:107], v[106:107], v[158:159]
	buffer_store_dword v107, off, s[0:3], 0 offset:388
	buffer_store_dword v106, off, s[0:3], 0 offset:384
.LBB51_26:
	s_or_b64 exec, exec, s[10:11]
	buffer_load_dword v106, off, s[0:3], 0 offset:376
	buffer_load_dword v107, off, s[0:3], 0 offset:380
	v_cmp_lt_u32_e64 s[6:7], 47, v0
	s_waitcnt vmcnt(0)
	ds_write_b64 v108, v[106:107]
	s_waitcnt lgkmcnt(0)
	; wave barrier
	s_waitcnt lgkmcnt(0)
	s_and_saveexec_b64 s[10:11], s[6:7]
	s_cbranch_execz .LBB51_36
; %bb.27:
	s_andn2_b64 vcc, exec, s[8:9]
	s_cbranch_vccnz .LBB51_29
; %bb.28:
	buffer_load_dword v106, v109, s[0:3], 0 offen
	buffer_load_dword v107, v109, s[0:3], 0 offen offset:4
	ds_read_b64 v[158:159], v108
	s_waitcnt vmcnt(0) lgkmcnt(0)
	v_mul_f64 v[106:107], v[106:107], v[158:159]
	s_cbranch_execz .LBB51_30
	s_branch .LBB51_31
.LBB51_29:
                                        ; implicit-def: $vgpr106_vgpr107
.LBB51_30:
	ds_read_b64 v[106:107], v108
.LBB51_31:
	s_and_saveexec_b64 s[12:13], s[4:5]
	s_cbranch_execz .LBB51_35
; %bb.32:
	v_subrev_u32_e32 v158, 48, v0
	s_movk_i32 s14, 0x320
	s_mov_b64 s[4:5], 0
.LBB51_33:                              ; =>This Inner Loop Header: Depth=1
	buffer_load_dword v160, v157, s[0:3], 0 offen
	buffer_load_dword v161, v157, s[0:3], 0 offen offset:4
	v_mov_b32_e32 v159, s14
	ds_read_b64 v[162:163], v159
	v_add_u32_e32 v158, -1, v158
	s_add_i32 s14, s14, 8
	v_cmp_eq_u32_e32 vcc, 0, v158
	v_add_u32_e32 v157, 8, v157
	s_or_b64 s[4:5], vcc, s[4:5]
	s_waitcnt vmcnt(0) lgkmcnt(0)
	v_fmac_f64_e32 v[106:107], v[160:161], v[162:163]
	s_andn2_b64 exec, exec, s[4:5]
	s_cbranch_execnz .LBB51_33
; %bb.34:
	s_or_b64 exec, exec, s[4:5]
.LBB51_35:
	s_or_b64 exec, exec, s[12:13]
	v_mov_b32_e32 v157, 0
	ds_read_b64 v[158:159], v157 offset:376
	s_waitcnt lgkmcnt(0)
	v_mul_f64 v[106:107], v[106:107], v[158:159]
	buffer_store_dword v107, off, s[0:3], 0 offset:380
	buffer_store_dword v106, off, s[0:3], 0 offset:376
.LBB51_36:
	s_or_b64 exec, exec, s[10:11]
	buffer_load_dword v106, off, s[0:3], 0 offset:368
	buffer_load_dword v107, off, s[0:3], 0 offset:372
	v_cmp_lt_u32_e64 s[4:5], 46, v0
	s_waitcnt vmcnt(0)
	ds_write_b64 v108, v[106:107]
	s_waitcnt lgkmcnt(0)
	; wave barrier
	s_waitcnt lgkmcnt(0)
	s_and_saveexec_b64 s[10:11], s[4:5]
	s_cbranch_execz .LBB51_46
; %bb.37:
	s_andn2_b64 vcc, exec, s[8:9]
	s_cbranch_vccnz .LBB51_39
; %bb.38:
	buffer_load_dword v106, v109, s[0:3], 0 offen
	buffer_load_dword v107, v109, s[0:3], 0 offen offset:4
	ds_read_b64 v[158:159], v108
	s_waitcnt vmcnt(0) lgkmcnt(0)
	v_mul_f64 v[106:107], v[106:107], v[158:159]
	s_cbranch_execz .LBB51_40
	s_branch .LBB51_41
.LBB51_39:
                                        ; implicit-def: $vgpr106_vgpr107
.LBB51_40:
	ds_read_b64 v[106:107], v108
.LBB51_41:
	s_and_saveexec_b64 s[12:13], s[6:7]
	s_cbranch_execz .LBB51_45
; %bb.42:
	v_subrev_u32_e32 v157, 47, v0
	s_movk_i32 s14, 0x318
	s_mov_b64 s[6:7], 0
.LBB51_43:                              ; =>This Inner Loop Header: Depth=1
	buffer_load_dword v158, v156, s[0:3], 0 offen
	buffer_load_dword v159, v156, s[0:3], 0 offen offset:4
	v_mov_b32_e32 v160, s14
	ds_read_b64 v[160:161], v160
	v_add_u32_e32 v157, -1, v157
	s_add_i32 s14, s14, 8
	v_cmp_eq_u32_e32 vcc, 0, v157
	v_add_u32_e32 v156, 8, v156
	s_or_b64 s[6:7], vcc, s[6:7]
	s_waitcnt vmcnt(0) lgkmcnt(0)
	v_fmac_f64_e32 v[106:107], v[158:159], v[160:161]
	s_andn2_b64 exec, exec, s[6:7]
	s_cbranch_execnz .LBB51_43
; %bb.44:
	s_or_b64 exec, exec, s[6:7]
.LBB51_45:
	s_or_b64 exec, exec, s[12:13]
	v_mov_b32_e32 v156, 0
	ds_read_b64 v[156:157], v156 offset:368
	s_waitcnt lgkmcnt(0)
	v_mul_f64 v[106:107], v[106:107], v[156:157]
	buffer_store_dword v107, off, s[0:3], 0 offset:372
	buffer_store_dword v106, off, s[0:3], 0 offset:368
.LBB51_46:
	s_or_b64 exec, exec, s[10:11]
	buffer_load_dword v106, off, s[0:3], 0 offset:360
	buffer_load_dword v107, off, s[0:3], 0 offset:364
	v_cmp_lt_u32_e64 s[6:7], 45, v0
	s_waitcnt vmcnt(0)
	ds_write_b64 v108, v[106:107]
	s_waitcnt lgkmcnt(0)
	; wave barrier
	s_waitcnt lgkmcnt(0)
	s_and_saveexec_b64 s[10:11], s[6:7]
	s_cbranch_execz .LBB51_56
; %bb.47:
	s_andn2_b64 vcc, exec, s[8:9]
	s_cbranch_vccnz .LBB51_49
; %bb.48:
	buffer_load_dword v106, v109, s[0:3], 0 offen
	buffer_load_dword v107, v109, s[0:3], 0 offen offset:4
	ds_read_b64 v[156:157], v108
	s_waitcnt vmcnt(0) lgkmcnt(0)
	v_mul_f64 v[106:107], v[106:107], v[156:157]
	s_cbranch_execz .LBB51_50
	s_branch .LBB51_51
.LBB51_49:
                                        ; implicit-def: $vgpr106_vgpr107
.LBB51_50:
	ds_read_b64 v[106:107], v108
.LBB51_51:
	s_and_saveexec_b64 s[12:13], s[4:5]
	s_cbranch_execz .LBB51_55
; %bb.52:
	v_subrev_u32_e32 v156, 46, v0
	s_movk_i32 s14, 0x310
	s_mov_b64 s[4:5], 0
.LBB51_53:                              ; =>This Inner Loop Header: Depth=1
	buffer_load_dword v158, v155, s[0:3], 0 offen
	buffer_load_dword v159, v155, s[0:3], 0 offen offset:4
	v_mov_b32_e32 v157, s14
	ds_read_b64 v[160:161], v157
	v_add_u32_e32 v156, -1, v156
	s_add_i32 s14, s14, 8
	v_cmp_eq_u32_e32 vcc, 0, v156
	v_add_u32_e32 v155, 8, v155
	s_or_b64 s[4:5], vcc, s[4:5]
	s_waitcnt vmcnt(0) lgkmcnt(0)
	v_fmac_f64_e32 v[106:107], v[158:159], v[160:161]
	s_andn2_b64 exec, exec, s[4:5]
	s_cbranch_execnz .LBB51_53
; %bb.54:
	s_or_b64 exec, exec, s[4:5]
.LBB51_55:
	s_or_b64 exec, exec, s[12:13]
	v_mov_b32_e32 v155, 0
	ds_read_b64 v[156:157], v155 offset:360
	s_waitcnt lgkmcnt(0)
	v_mul_f64 v[106:107], v[106:107], v[156:157]
	buffer_store_dword v107, off, s[0:3], 0 offset:364
	buffer_store_dword v106, off, s[0:3], 0 offset:360
.LBB51_56:
	s_or_b64 exec, exec, s[10:11]
	buffer_load_dword v106, off, s[0:3], 0 offset:352
	buffer_load_dword v107, off, s[0:3], 0 offset:356
	v_cmp_lt_u32_e64 s[4:5], 44, v0
	s_waitcnt vmcnt(0)
	ds_write_b64 v108, v[106:107]
	s_waitcnt lgkmcnt(0)
	; wave barrier
	s_waitcnt lgkmcnt(0)
	s_and_saveexec_b64 s[10:11], s[4:5]
	s_cbranch_execz .LBB51_66
; %bb.57:
	s_andn2_b64 vcc, exec, s[8:9]
	s_cbranch_vccnz .LBB51_59
; %bb.58:
	buffer_load_dword v106, v109, s[0:3], 0 offen
	buffer_load_dword v107, v109, s[0:3], 0 offen offset:4
	ds_read_b64 v[156:157], v108
	s_waitcnt vmcnt(0) lgkmcnt(0)
	v_mul_f64 v[106:107], v[106:107], v[156:157]
	s_cbranch_execz .LBB51_60
	s_branch .LBB51_61
.LBB51_59:
                                        ; implicit-def: $vgpr106_vgpr107
.LBB51_60:
	ds_read_b64 v[106:107], v108
.LBB51_61:
	s_and_saveexec_b64 s[12:13], s[6:7]
	s_cbranch_execz .LBB51_65
; %bb.62:
	v_subrev_u32_e32 v155, 45, v0
	s_movk_i32 s14, 0x308
	s_mov_b64 s[6:7], 0
.LBB51_63:                              ; =>This Inner Loop Header: Depth=1
	buffer_load_dword v156, v154, s[0:3], 0 offen
	buffer_load_dword v157, v154, s[0:3], 0 offen offset:4
	v_mov_b32_e32 v158, s14
	ds_read_b64 v[158:159], v158
	v_add_u32_e32 v155, -1, v155
	s_add_i32 s14, s14, 8
	v_cmp_eq_u32_e32 vcc, 0, v155
	v_add_u32_e32 v154, 8, v154
	s_or_b64 s[6:7], vcc, s[6:7]
	s_waitcnt vmcnt(0) lgkmcnt(0)
	v_fmac_f64_e32 v[106:107], v[156:157], v[158:159]
	s_andn2_b64 exec, exec, s[6:7]
	s_cbranch_execnz .LBB51_63
; %bb.64:
	s_or_b64 exec, exec, s[6:7]
.LBB51_65:
	s_or_b64 exec, exec, s[12:13]
	v_mov_b32_e32 v154, 0
	ds_read_b64 v[154:155], v154 offset:352
	s_waitcnt lgkmcnt(0)
	v_mul_f64 v[106:107], v[106:107], v[154:155]
	buffer_store_dword v107, off, s[0:3], 0 offset:356
	buffer_store_dword v106, off, s[0:3], 0 offset:352
.LBB51_66:
	s_or_b64 exec, exec, s[10:11]
	buffer_load_dword v106, off, s[0:3], 0 offset:344
	buffer_load_dword v107, off, s[0:3], 0 offset:348
	v_cmp_lt_u32_e64 s[6:7], 43, v0
	s_waitcnt vmcnt(0)
	ds_write_b64 v108, v[106:107]
	s_waitcnt lgkmcnt(0)
	; wave barrier
	s_waitcnt lgkmcnt(0)
	s_and_saveexec_b64 s[10:11], s[6:7]
	s_cbranch_execz .LBB51_76
; %bb.67:
	s_andn2_b64 vcc, exec, s[8:9]
	s_cbranch_vccnz .LBB51_69
; %bb.68:
	buffer_load_dword v106, v109, s[0:3], 0 offen
	buffer_load_dword v107, v109, s[0:3], 0 offen offset:4
	ds_read_b64 v[154:155], v108
	s_waitcnt vmcnt(0) lgkmcnt(0)
	v_mul_f64 v[106:107], v[106:107], v[154:155]
	s_cbranch_execz .LBB51_70
	s_branch .LBB51_71
.LBB51_69:
                                        ; implicit-def: $vgpr106_vgpr107
.LBB51_70:
	ds_read_b64 v[106:107], v108
.LBB51_71:
	s_and_saveexec_b64 s[12:13], s[4:5]
	s_cbranch_execz .LBB51_75
; %bb.72:
	v_subrev_u32_e32 v154, 44, v0
	s_movk_i32 s14, 0x300
	s_mov_b64 s[4:5], 0
.LBB51_73:                              ; =>This Inner Loop Header: Depth=1
	buffer_load_dword v156, v153, s[0:3], 0 offen
	buffer_load_dword v157, v153, s[0:3], 0 offen offset:4
	v_mov_b32_e32 v155, s14
	ds_read_b64 v[158:159], v155
	v_add_u32_e32 v154, -1, v154
	s_add_i32 s14, s14, 8
	v_cmp_eq_u32_e32 vcc, 0, v154
	v_add_u32_e32 v153, 8, v153
	s_or_b64 s[4:5], vcc, s[4:5]
	s_waitcnt vmcnt(0) lgkmcnt(0)
	v_fmac_f64_e32 v[106:107], v[156:157], v[158:159]
	s_andn2_b64 exec, exec, s[4:5]
	s_cbranch_execnz .LBB51_73
; %bb.74:
	s_or_b64 exec, exec, s[4:5]
.LBB51_75:
	s_or_b64 exec, exec, s[12:13]
	v_mov_b32_e32 v153, 0
	ds_read_b64 v[154:155], v153 offset:344
	s_waitcnt lgkmcnt(0)
	v_mul_f64 v[106:107], v[106:107], v[154:155]
	buffer_store_dword v107, off, s[0:3], 0 offset:348
	buffer_store_dword v106, off, s[0:3], 0 offset:344
.LBB51_76:
	s_or_b64 exec, exec, s[10:11]
	buffer_load_dword v106, off, s[0:3], 0 offset:336
	buffer_load_dword v107, off, s[0:3], 0 offset:340
	v_cmp_lt_u32_e64 s[4:5], 42, v0
	s_waitcnt vmcnt(0)
	ds_write_b64 v108, v[106:107]
	s_waitcnt lgkmcnt(0)
	; wave barrier
	s_waitcnt lgkmcnt(0)
	s_and_saveexec_b64 s[10:11], s[4:5]
	s_cbranch_execz .LBB51_86
; %bb.77:
	s_andn2_b64 vcc, exec, s[8:9]
	s_cbranch_vccnz .LBB51_79
; %bb.78:
	buffer_load_dword v106, v109, s[0:3], 0 offen
	buffer_load_dword v107, v109, s[0:3], 0 offen offset:4
	ds_read_b64 v[154:155], v108
	s_waitcnt vmcnt(0) lgkmcnt(0)
	v_mul_f64 v[106:107], v[106:107], v[154:155]
	s_cbranch_execz .LBB51_80
	s_branch .LBB51_81
.LBB51_79:
                                        ; implicit-def: $vgpr106_vgpr107
.LBB51_80:
	ds_read_b64 v[106:107], v108
.LBB51_81:
	s_and_saveexec_b64 s[12:13], s[6:7]
	s_cbranch_execz .LBB51_85
; %bb.82:
	v_subrev_u32_e32 v153, 43, v0
	s_movk_i32 s14, 0x2f8
	s_mov_b64 s[6:7], 0
.LBB51_83:                              ; =>This Inner Loop Header: Depth=1
	buffer_load_dword v154, v152, s[0:3], 0 offen
	buffer_load_dword v155, v152, s[0:3], 0 offen offset:4
	v_mov_b32_e32 v156, s14
	ds_read_b64 v[156:157], v156
	v_add_u32_e32 v153, -1, v153
	s_add_i32 s14, s14, 8
	v_cmp_eq_u32_e32 vcc, 0, v153
	v_add_u32_e32 v152, 8, v152
	s_or_b64 s[6:7], vcc, s[6:7]
	s_waitcnt vmcnt(0) lgkmcnt(0)
	v_fmac_f64_e32 v[106:107], v[154:155], v[156:157]
	s_andn2_b64 exec, exec, s[6:7]
	s_cbranch_execnz .LBB51_83
; %bb.84:
	s_or_b64 exec, exec, s[6:7]
.LBB51_85:
	s_or_b64 exec, exec, s[12:13]
	v_mov_b32_e32 v152, 0
	ds_read_b64 v[152:153], v152 offset:336
	s_waitcnt lgkmcnt(0)
	v_mul_f64 v[106:107], v[106:107], v[152:153]
	buffer_store_dword v107, off, s[0:3], 0 offset:340
	buffer_store_dword v106, off, s[0:3], 0 offset:336
.LBB51_86:
	s_or_b64 exec, exec, s[10:11]
	buffer_load_dword v106, off, s[0:3], 0 offset:328
	buffer_load_dword v107, off, s[0:3], 0 offset:332
	v_cmp_lt_u32_e64 s[6:7], 41, v0
	s_waitcnt vmcnt(0)
	ds_write_b64 v108, v[106:107]
	s_waitcnt lgkmcnt(0)
	; wave barrier
	s_waitcnt lgkmcnt(0)
	s_and_saveexec_b64 s[10:11], s[6:7]
	s_cbranch_execz .LBB51_96
; %bb.87:
	s_andn2_b64 vcc, exec, s[8:9]
	s_cbranch_vccnz .LBB51_89
; %bb.88:
	buffer_load_dword v106, v109, s[0:3], 0 offen
	buffer_load_dword v107, v109, s[0:3], 0 offen offset:4
	ds_read_b64 v[152:153], v108
	s_waitcnt vmcnt(0) lgkmcnt(0)
	v_mul_f64 v[106:107], v[106:107], v[152:153]
	s_cbranch_execz .LBB51_90
	s_branch .LBB51_91
.LBB51_89:
                                        ; implicit-def: $vgpr106_vgpr107
.LBB51_90:
	ds_read_b64 v[106:107], v108
.LBB51_91:
	s_and_saveexec_b64 s[12:13], s[4:5]
	s_cbranch_execz .LBB51_95
; %bb.92:
	v_subrev_u32_e32 v152, 42, v0
	s_movk_i32 s14, 0x2f0
	s_mov_b64 s[4:5], 0
.LBB51_93:                              ; =>This Inner Loop Header: Depth=1
	buffer_load_dword v154, v151, s[0:3], 0 offen
	buffer_load_dword v155, v151, s[0:3], 0 offen offset:4
	v_mov_b32_e32 v153, s14
	ds_read_b64 v[156:157], v153
	v_add_u32_e32 v152, -1, v152
	s_add_i32 s14, s14, 8
	v_cmp_eq_u32_e32 vcc, 0, v152
	v_add_u32_e32 v151, 8, v151
	s_or_b64 s[4:5], vcc, s[4:5]
	s_waitcnt vmcnt(0) lgkmcnt(0)
	v_fmac_f64_e32 v[106:107], v[154:155], v[156:157]
	s_andn2_b64 exec, exec, s[4:5]
	s_cbranch_execnz .LBB51_93
; %bb.94:
	s_or_b64 exec, exec, s[4:5]
.LBB51_95:
	s_or_b64 exec, exec, s[12:13]
	v_mov_b32_e32 v151, 0
	ds_read_b64 v[152:153], v151 offset:328
	s_waitcnt lgkmcnt(0)
	v_mul_f64 v[106:107], v[106:107], v[152:153]
	buffer_store_dword v107, off, s[0:3], 0 offset:332
	buffer_store_dword v106, off, s[0:3], 0 offset:328
.LBB51_96:
	s_or_b64 exec, exec, s[10:11]
	buffer_load_dword v106, off, s[0:3], 0 offset:320
	buffer_load_dword v107, off, s[0:3], 0 offset:324
	v_cmp_lt_u32_e64 s[4:5], 40, v0
	s_waitcnt vmcnt(0)
	ds_write_b64 v108, v[106:107]
	s_waitcnt lgkmcnt(0)
	; wave barrier
	s_waitcnt lgkmcnt(0)
	s_and_saveexec_b64 s[10:11], s[4:5]
	s_cbranch_execz .LBB51_106
; %bb.97:
	s_andn2_b64 vcc, exec, s[8:9]
	s_cbranch_vccnz .LBB51_99
; %bb.98:
	buffer_load_dword v106, v109, s[0:3], 0 offen
	buffer_load_dword v107, v109, s[0:3], 0 offen offset:4
	ds_read_b64 v[152:153], v108
	s_waitcnt vmcnt(0) lgkmcnt(0)
	v_mul_f64 v[106:107], v[106:107], v[152:153]
	s_cbranch_execz .LBB51_100
	s_branch .LBB51_101
.LBB51_99:
                                        ; implicit-def: $vgpr106_vgpr107
.LBB51_100:
	ds_read_b64 v[106:107], v108
.LBB51_101:
	s_and_saveexec_b64 s[12:13], s[6:7]
	s_cbranch_execz .LBB51_105
; %bb.102:
	v_subrev_u32_e32 v151, 41, v0
	s_movk_i32 s14, 0x2e8
	s_mov_b64 s[6:7], 0
.LBB51_103:                             ; =>This Inner Loop Header: Depth=1
	buffer_load_dword v152, v150, s[0:3], 0 offen
	buffer_load_dword v153, v150, s[0:3], 0 offen offset:4
	v_mov_b32_e32 v154, s14
	ds_read_b64 v[154:155], v154
	v_add_u32_e32 v151, -1, v151
	s_add_i32 s14, s14, 8
	v_cmp_eq_u32_e32 vcc, 0, v151
	v_add_u32_e32 v150, 8, v150
	s_or_b64 s[6:7], vcc, s[6:7]
	s_waitcnt vmcnt(0) lgkmcnt(0)
	v_fmac_f64_e32 v[106:107], v[152:153], v[154:155]
	s_andn2_b64 exec, exec, s[6:7]
	s_cbranch_execnz .LBB51_103
; %bb.104:
	s_or_b64 exec, exec, s[6:7]
.LBB51_105:
	s_or_b64 exec, exec, s[12:13]
	v_mov_b32_e32 v150, 0
	ds_read_b64 v[150:151], v150 offset:320
	s_waitcnt lgkmcnt(0)
	v_mul_f64 v[106:107], v[106:107], v[150:151]
	buffer_store_dword v107, off, s[0:3], 0 offset:324
	buffer_store_dword v106, off, s[0:3], 0 offset:320
.LBB51_106:
	s_or_b64 exec, exec, s[10:11]
	buffer_load_dword v106, off, s[0:3], 0 offset:312
	buffer_load_dword v107, off, s[0:3], 0 offset:316
	v_cmp_lt_u32_e64 s[6:7], 39, v0
	s_waitcnt vmcnt(0)
	ds_write_b64 v108, v[106:107]
	s_waitcnt lgkmcnt(0)
	; wave barrier
	s_waitcnt lgkmcnt(0)
	s_and_saveexec_b64 s[10:11], s[6:7]
	s_cbranch_execz .LBB51_116
; %bb.107:
	s_andn2_b64 vcc, exec, s[8:9]
	s_cbranch_vccnz .LBB51_109
; %bb.108:
	buffer_load_dword v106, v109, s[0:3], 0 offen
	buffer_load_dword v107, v109, s[0:3], 0 offen offset:4
	ds_read_b64 v[150:151], v108
	s_waitcnt vmcnt(0) lgkmcnt(0)
	v_mul_f64 v[106:107], v[106:107], v[150:151]
	s_cbranch_execz .LBB51_110
	s_branch .LBB51_111
.LBB51_109:
                                        ; implicit-def: $vgpr106_vgpr107
.LBB51_110:
	ds_read_b64 v[106:107], v108
.LBB51_111:
	s_and_saveexec_b64 s[12:13], s[4:5]
	s_cbranch_execz .LBB51_115
; %bb.112:
	v_subrev_u32_e32 v150, 40, v0
	s_movk_i32 s14, 0x2e0
	s_mov_b64 s[4:5], 0
.LBB51_113:                             ; =>This Inner Loop Header: Depth=1
	buffer_load_dword v152, v149, s[0:3], 0 offen
	buffer_load_dword v153, v149, s[0:3], 0 offen offset:4
	v_mov_b32_e32 v151, s14
	ds_read_b64 v[154:155], v151
	v_add_u32_e32 v150, -1, v150
	s_add_i32 s14, s14, 8
	v_cmp_eq_u32_e32 vcc, 0, v150
	v_add_u32_e32 v149, 8, v149
	s_or_b64 s[4:5], vcc, s[4:5]
	s_waitcnt vmcnt(0) lgkmcnt(0)
	v_fmac_f64_e32 v[106:107], v[152:153], v[154:155]
	s_andn2_b64 exec, exec, s[4:5]
	s_cbranch_execnz .LBB51_113
; %bb.114:
	s_or_b64 exec, exec, s[4:5]
.LBB51_115:
	s_or_b64 exec, exec, s[12:13]
	v_mov_b32_e32 v149, 0
	ds_read_b64 v[150:151], v149 offset:312
	s_waitcnt lgkmcnt(0)
	v_mul_f64 v[106:107], v[106:107], v[150:151]
	buffer_store_dword v107, off, s[0:3], 0 offset:316
	buffer_store_dword v106, off, s[0:3], 0 offset:312
.LBB51_116:
	;; [unrolled: 58-line block ×25, first 2 shown]
	s_or_b64 exec, exec, s[10:11]
	buffer_load_dword v106, off, s[0:3], 0 offset:120
	buffer_load_dword v107, off, s[0:3], 0 offset:124
	v_cmp_lt_u32_e64 s[6:7], 15, v0
	s_waitcnt vmcnt(0)
	ds_write_b64 v108, v[106:107]
	s_waitcnt lgkmcnt(0)
	; wave barrier
	s_waitcnt lgkmcnt(0)
	s_and_saveexec_b64 s[10:11], s[6:7]
	s_cbranch_execz .LBB51_356
; %bb.347:
	s_andn2_b64 vcc, exec, s[8:9]
	s_cbranch_vccnz .LBB51_349
; %bb.348:
	buffer_load_dword v106, v109, s[0:3], 0 offen
	buffer_load_dword v107, v109, s[0:3], 0 offen offset:4
	ds_read_b64 v[126:127], v108
	s_waitcnt vmcnt(0) lgkmcnt(0)
	v_mul_f64 v[106:107], v[106:107], v[126:127]
	s_cbranch_execz .LBB51_350
	s_branch .LBB51_351
.LBB51_349:
                                        ; implicit-def: $vgpr106_vgpr107
.LBB51_350:
	ds_read_b64 v[106:107], v108
.LBB51_351:
	s_and_saveexec_b64 s[12:13], s[4:5]
	s_cbranch_execz .LBB51_355
; %bb.352:
	v_add_u32_e32 v126, -16, v0
	s_movk_i32 s14, 0x220
	s_mov_b64 s[4:5], 0
.LBB51_353:                             ; =>This Inner Loop Header: Depth=1
	buffer_load_dword v128, v125, s[0:3], 0 offen
	buffer_load_dword v129, v125, s[0:3], 0 offen offset:4
	v_mov_b32_e32 v127, s14
	ds_read_b64 v[130:131], v127
	v_add_u32_e32 v126, -1, v126
	s_add_i32 s14, s14, 8
	v_cmp_eq_u32_e32 vcc, 0, v126
	v_add_u32_e32 v125, 8, v125
	s_or_b64 s[4:5], vcc, s[4:5]
	s_waitcnt vmcnt(0) lgkmcnt(0)
	v_fmac_f64_e32 v[106:107], v[128:129], v[130:131]
	s_andn2_b64 exec, exec, s[4:5]
	s_cbranch_execnz .LBB51_353
; %bb.354:
	s_or_b64 exec, exec, s[4:5]
.LBB51_355:
	s_or_b64 exec, exec, s[12:13]
	v_mov_b32_e32 v125, 0
	ds_read_b64 v[126:127], v125 offset:120
	s_waitcnt lgkmcnt(0)
	v_mul_f64 v[106:107], v[106:107], v[126:127]
	buffer_store_dword v107, off, s[0:3], 0 offset:124
	buffer_store_dword v106, off, s[0:3], 0 offset:120
.LBB51_356:
	s_or_b64 exec, exec, s[10:11]
	buffer_load_dword v106, off, s[0:3], 0 offset:112
	buffer_load_dword v107, off, s[0:3], 0 offset:116
	v_cmp_lt_u32_e64 s[4:5], 14, v0
	s_waitcnt vmcnt(0)
	ds_write_b64 v108, v[106:107]
	s_waitcnt lgkmcnt(0)
	; wave barrier
	s_waitcnt lgkmcnt(0)
	s_and_saveexec_b64 s[10:11], s[4:5]
	s_cbranch_execz .LBB51_366
; %bb.357:
	s_andn2_b64 vcc, exec, s[8:9]
	s_cbranch_vccnz .LBB51_359
; %bb.358:
	buffer_load_dword v106, v109, s[0:3], 0 offen
	buffer_load_dword v107, v109, s[0:3], 0 offen offset:4
	ds_read_b64 v[126:127], v108
	s_waitcnt vmcnt(0) lgkmcnt(0)
	v_mul_f64 v[106:107], v[106:107], v[126:127]
	s_cbranch_execz .LBB51_360
	s_branch .LBB51_361
.LBB51_359:
                                        ; implicit-def: $vgpr106_vgpr107
.LBB51_360:
	ds_read_b64 v[106:107], v108
.LBB51_361:
	s_and_saveexec_b64 s[12:13], s[6:7]
	s_cbranch_execz .LBB51_365
; %bb.362:
	v_add_u32_e32 v125, -15, v0
	s_movk_i32 s14, 0x218
	s_mov_b64 s[6:7], 0
.LBB51_363:                             ; =>This Inner Loop Header: Depth=1
	buffer_load_dword v126, v124, s[0:3], 0 offen
	buffer_load_dword v127, v124, s[0:3], 0 offen offset:4
	v_mov_b32_e32 v128, s14
	ds_read_b64 v[128:129], v128
	v_add_u32_e32 v125, -1, v125
	s_add_i32 s14, s14, 8
	v_cmp_eq_u32_e32 vcc, 0, v125
	v_add_u32_e32 v124, 8, v124
	s_or_b64 s[6:7], vcc, s[6:7]
	s_waitcnt vmcnt(0) lgkmcnt(0)
	v_fmac_f64_e32 v[106:107], v[126:127], v[128:129]
	s_andn2_b64 exec, exec, s[6:7]
	s_cbranch_execnz .LBB51_363
; %bb.364:
	s_or_b64 exec, exec, s[6:7]
.LBB51_365:
	s_or_b64 exec, exec, s[12:13]
	v_mov_b32_e32 v124, 0
	ds_read_b64 v[124:125], v124 offset:112
	s_waitcnt lgkmcnt(0)
	v_mul_f64 v[106:107], v[106:107], v[124:125]
	buffer_store_dword v107, off, s[0:3], 0 offset:116
	buffer_store_dword v106, off, s[0:3], 0 offset:112
.LBB51_366:
	;; [unrolled: 58-line block ×15, first 2 shown]
	s_or_b64 exec, exec, s[10:11]
	buffer_load_dword v106, off, s[0:3], 0
	buffer_load_dword v107, off, s[0:3], 0 offset:4
	v_cmp_ne_u32_e32 vcc, 0, v0
	s_waitcnt vmcnt(0)
	ds_write_b64 v108, v[106:107]
	s_waitcnt lgkmcnt(0)
	; wave barrier
	s_waitcnt lgkmcnt(0)
	s_and_saveexec_b64 s[4:5], vcc
	s_cbranch_execz .LBB51_506
; %bb.497:
	s_andn2_b64 vcc, exec, s[8:9]
	s_cbranch_vccnz .LBB51_499
; %bb.498:
	buffer_load_dword v106, v109, s[0:3], 0 offen
	buffer_load_dword v107, v109, s[0:3], 0 offen offset:4
	ds_read_b64 v[112:113], v108
	s_waitcnt vmcnt(0) lgkmcnt(0)
	v_mul_f64 v[106:107], v[106:107], v[112:113]
	s_cbranch_execz .LBB51_500
	s_branch .LBB51_501
.LBB51_499:
                                        ; implicit-def: $vgpr106_vgpr107
.LBB51_500:
	ds_read_b64 v[106:107], v108
.LBB51_501:
	s_and_saveexec_b64 s[10:11], s[6:7]
	s_cbranch_execz .LBB51_505
; %bb.502:
	v_add_u32_e32 v111, -1, v0
	s_movk_i32 s12, 0x1a8
	s_mov_b64 s[6:7], 0
.LBB51_503:                             ; =>This Inner Loop Header: Depth=1
	buffer_load_dword v112, v110, s[0:3], 0 offen
	buffer_load_dword v113, v110, s[0:3], 0 offen offset:4
	v_mov_b32_e32 v114, s12
	ds_read_b64 v[114:115], v114
	v_add_u32_e32 v111, -1, v111
	s_add_i32 s12, s12, 8
	v_cmp_eq_u32_e32 vcc, 0, v111
	v_add_u32_e32 v110, 8, v110
	s_or_b64 s[6:7], vcc, s[6:7]
	s_waitcnt vmcnt(0) lgkmcnt(0)
	v_fmac_f64_e32 v[106:107], v[112:113], v[114:115]
	s_andn2_b64 exec, exec, s[6:7]
	s_cbranch_execnz .LBB51_503
; %bb.504:
	s_or_b64 exec, exec, s[6:7]
.LBB51_505:
	s_or_b64 exec, exec, s[10:11]
	v_mov_b32_e32 v110, 0
	ds_read_b64 v[110:111], v110
	s_waitcnt lgkmcnt(0)
	v_mul_f64 v[106:107], v[106:107], v[110:111]
	buffer_store_dword v107, off, s[0:3], 0 offset:4
	buffer_store_dword v106, off, s[0:3], 0
.LBB51_506:
	s_or_b64 exec, exec, s[4:5]
	s_mov_b64 s[4:5], 0
.LBB51_507:
	s_and_b64 vcc, exec, s[4:5]
	s_cbranch_vccz .LBB51_1011
; %bb.508:
	buffer_load_dword v106, off, s[0:3], 0 offset:8
	buffer_load_dword v107, off, s[0:3], 0 offset:12
	v_cmp_eq_u32_e64 s[6:7], 0, v0
	s_waitcnt vmcnt(0)
	ds_write_b64 v108, v[106:107]
	s_waitcnt lgkmcnt(0)
	; wave barrier
	s_waitcnt lgkmcnt(0)
	s_and_saveexec_b64 s[4:5], s[6:7]
	s_cbranch_execz .LBB51_514
; %bb.509:
	s_and_b64 vcc, exec, s[8:9]
	s_cbranch_vccz .LBB51_511
; %bb.510:
	buffer_load_dword v106, v109, s[0:3], 0 offen
	buffer_load_dword v107, v109, s[0:3], 0 offen offset:4
	ds_read_b64 v[110:111], v108
	s_waitcnt vmcnt(0) lgkmcnt(0)
	v_mul_f64 v[106:107], v[106:107], v[110:111]
	s_cbranch_execz .LBB51_512
	s_branch .LBB51_513
.LBB51_511:
                                        ; implicit-def: $vgpr106_vgpr107
.LBB51_512:
	ds_read_b64 v[106:107], v108
.LBB51_513:
	v_mov_b32_e32 v110, 0
	ds_read_b64 v[110:111], v110 offset:8
	s_waitcnt lgkmcnt(0)
	v_mul_f64 v[106:107], v[106:107], v[110:111]
	buffer_store_dword v107, off, s[0:3], 0 offset:12
	buffer_store_dword v106, off, s[0:3], 0 offset:8
.LBB51_514:
	s_or_b64 exec, exec, s[4:5]
	buffer_load_dword v106, off, s[0:3], 0 offset:16
	buffer_load_dword v107, off, s[0:3], 0 offset:20
	v_cndmask_b32_e64 v110, 0, 1, s[8:9]
	v_cmp_gt_u32_e32 vcc, 2, v0
	v_cmp_ne_u32_e64 s[4:5], 1, v110
	s_waitcnt vmcnt(0)
	ds_write_b64 v108, v[106:107]
	s_waitcnt lgkmcnt(0)
	; wave barrier
	s_waitcnt lgkmcnt(0)
	s_and_saveexec_b64 s[8:9], vcc
	s_cbranch_execz .LBB51_522
; %bb.515:
	s_and_b64 vcc, exec, s[4:5]
	s_cbranch_vccnz .LBB51_517
; %bb.516:
	buffer_load_dword v106, v109, s[0:3], 0 offen
	buffer_load_dword v107, v109, s[0:3], 0 offen offset:4
	ds_read_b64 v[110:111], v108
	s_waitcnt vmcnt(0) lgkmcnt(0)
	v_mul_f64 v[106:107], v[106:107], v[110:111]
	s_cbranch_execz .LBB51_518
	s_branch .LBB51_519
.LBB51_517:
                                        ; implicit-def: $vgpr106_vgpr107
.LBB51_518:
	ds_read_b64 v[106:107], v108
.LBB51_519:
	s_and_saveexec_b64 s[10:11], s[6:7]
	s_cbranch_execz .LBB51_521
; %bb.520:
	buffer_load_dword v110, v109, s[0:3], 0 offen offset:8
	buffer_load_dword v111, v109, s[0:3], 0 offen offset:12
	ds_read_b64 v[112:113], v108 offset:8
	s_waitcnt vmcnt(0) lgkmcnt(0)
	v_fmac_f64_e32 v[106:107], v[110:111], v[112:113]
.LBB51_521:
	s_or_b64 exec, exec, s[10:11]
	v_mov_b32_e32 v110, 0
	ds_read_b64 v[110:111], v110 offset:16
	s_waitcnt lgkmcnt(0)
	v_mul_f64 v[106:107], v[106:107], v[110:111]
	buffer_store_dword v107, off, s[0:3], 0 offset:20
	buffer_store_dword v106, off, s[0:3], 0 offset:16
.LBB51_522:
	s_or_b64 exec, exec, s[8:9]
	buffer_load_dword v106, off, s[0:3], 0 offset:24
	buffer_load_dword v107, off, s[0:3], 0 offset:28
	v_cmp_gt_u32_e32 vcc, 3, v0
	s_waitcnt vmcnt(0)
	ds_write_b64 v108, v[106:107]
	s_waitcnt lgkmcnt(0)
	; wave barrier
	s_waitcnt lgkmcnt(0)
	s_and_saveexec_b64 s[8:9], vcc
	s_cbranch_execz .LBB51_530
; %bb.523:
	s_and_b64 vcc, exec, s[4:5]
	s_cbranch_vccnz .LBB51_525
; %bb.524:
	buffer_load_dword v106, v109, s[0:3], 0 offen
	buffer_load_dword v107, v109, s[0:3], 0 offen offset:4
	ds_read_b64 v[110:111], v108
	s_waitcnt vmcnt(0) lgkmcnt(0)
	v_mul_f64 v[106:107], v[106:107], v[110:111]
	s_cbranch_execz .LBB51_526
	s_branch .LBB51_527
.LBB51_525:
                                        ; implicit-def: $vgpr106_vgpr107
.LBB51_526:
	ds_read_b64 v[106:107], v108
.LBB51_527:
	v_cmp_ne_u32_e32 vcc, 2, v0
	s_and_saveexec_b64 s[10:11], vcc
	s_cbranch_execz .LBB51_529
; %bb.528:
	buffer_load_dword v111, v109, s[0:3], 0 offen offset:12
	buffer_load_dword v112, off, s[0:3], 0 offset:16
	buffer_load_dword v110, v109, s[0:3], 0 offen offset:8
	buffer_load_dword v113, off, s[0:3], 0 offset:20
	v_mov_b32_e32 v116, 0
	ds_read_b64 v[114:115], v108 offset:8
	ds_read_b64 v[116:117], v116 offset:432
	s_waitcnt vmcnt(1) lgkmcnt(1)
	v_fmac_f64_e32 v[106:107], v[110:111], v[114:115]
	s_waitcnt vmcnt(0) lgkmcnt(0)
	v_fma_f64 v[110:111], v[112:113], v[116:117], v[106:107]
	v_cndmask_b32_e64 v107, v107, v111, s[6:7]
	v_cndmask_b32_e64 v106, v106, v110, s[6:7]
.LBB51_529:
	s_or_b64 exec, exec, s[10:11]
	v_mov_b32_e32 v110, 0
	ds_read_b64 v[110:111], v110 offset:24
	s_waitcnt lgkmcnt(0)
	v_mul_f64 v[106:107], v[106:107], v[110:111]
	buffer_store_dword v107, off, s[0:3], 0 offset:28
	buffer_store_dword v106, off, s[0:3], 0 offset:24
.LBB51_530:
	s_or_b64 exec, exec, s[8:9]
	buffer_load_dword v106, off, s[0:3], 0 offset:32
	buffer_load_dword v107, off, s[0:3], 0 offset:36
	v_cmp_gt_u32_e32 vcc, 4, v0
	s_waitcnt vmcnt(0)
	ds_write_b64 v108, v[106:107]
	s_waitcnt lgkmcnt(0)
	; wave barrier
	s_waitcnt lgkmcnt(0)
	s_and_saveexec_b64 s[6:7], vcc
	s_cbranch_execz .LBB51_540
; %bb.531:
	s_and_b64 vcc, exec, s[4:5]
	s_cbranch_vccnz .LBB51_533
; %bb.532:
	buffer_load_dword v106, v109, s[0:3], 0 offen
	buffer_load_dword v107, v109, s[0:3], 0 offen offset:4
	ds_read_b64 v[110:111], v108
	s_waitcnt vmcnt(0) lgkmcnt(0)
	v_mul_f64 v[106:107], v[106:107], v[110:111]
	s_cbranch_execz .LBB51_534
	s_branch .LBB51_535
.LBB51_533:
                                        ; implicit-def: $vgpr106_vgpr107
.LBB51_534:
	ds_read_b64 v[106:107], v108
.LBB51_535:
	v_cmp_ne_u32_e32 vcc, 3, v0
	s_and_saveexec_b64 s[8:9], vcc
	s_cbranch_execz .LBB51_539
; %bb.536:
	v_mov_b32_e32 v111, 0
	v_add_u32_e32 v110, 0x1a8, v1
	v_add3_u32 v111, v1, v111, 8
	s_mov_b64 s[10:11], 0
	v_mov_b32_e32 v112, v0
.LBB51_537:                             ; =>This Inner Loop Header: Depth=1
	buffer_load_dword v114, v111, s[0:3], 0 offen
	buffer_load_dword v115, v111, s[0:3], 0 offen offset:4
	ds_read_b64 v[116:117], v110
	v_add_u32_e32 v112, 1, v112
	v_cmp_lt_u32_e32 vcc, 2, v112
	v_add_u32_e32 v110, 8, v110
	v_add_u32_e32 v111, 8, v111
	s_or_b64 s[10:11], vcc, s[10:11]
	s_waitcnt vmcnt(0) lgkmcnt(0)
	v_fmac_f64_e32 v[106:107], v[114:115], v[116:117]
	s_andn2_b64 exec, exec, s[10:11]
	s_cbranch_execnz .LBB51_537
; %bb.538:
	s_or_b64 exec, exec, s[10:11]
.LBB51_539:
	s_or_b64 exec, exec, s[8:9]
	v_mov_b32_e32 v110, 0
	ds_read_b64 v[110:111], v110 offset:32
	s_waitcnt lgkmcnt(0)
	v_mul_f64 v[106:107], v[106:107], v[110:111]
	buffer_store_dword v107, off, s[0:3], 0 offset:36
	buffer_store_dword v106, off, s[0:3], 0 offset:32
.LBB51_540:
	s_or_b64 exec, exec, s[6:7]
	buffer_load_dword v106, off, s[0:3], 0 offset:40
	buffer_load_dword v107, off, s[0:3], 0 offset:44
	v_cmp_gt_u32_e32 vcc, 5, v0
	s_waitcnt vmcnt(0)
	ds_write_b64 v108, v[106:107]
	s_waitcnt lgkmcnt(0)
	; wave barrier
	s_waitcnt lgkmcnt(0)
	s_and_saveexec_b64 s[6:7], vcc
	s_cbranch_execz .LBB51_550
; %bb.541:
	s_and_b64 vcc, exec, s[4:5]
	s_cbranch_vccnz .LBB51_543
; %bb.542:
	buffer_load_dword v106, v109, s[0:3], 0 offen
	buffer_load_dword v107, v109, s[0:3], 0 offen offset:4
	ds_read_b64 v[110:111], v108
	s_waitcnt vmcnt(0) lgkmcnt(0)
	v_mul_f64 v[106:107], v[106:107], v[110:111]
	s_cbranch_execz .LBB51_544
	s_branch .LBB51_545
.LBB51_543:
                                        ; implicit-def: $vgpr106_vgpr107
.LBB51_544:
	ds_read_b64 v[106:107], v108
.LBB51_545:
	v_cmp_ne_u32_e32 vcc, 4, v0
	s_and_saveexec_b64 s[8:9], vcc
	s_cbranch_execz .LBB51_549
; %bb.546:
	v_mov_b32_e32 v111, 0
	v_add_u32_e32 v110, 0x1a8, v1
	v_add3_u32 v111, v1, v111, 8
	s_mov_b64 s[10:11], 0
	v_mov_b32_e32 v112, v0
.LBB51_547:                             ; =>This Inner Loop Header: Depth=1
	buffer_load_dword v114, v111, s[0:3], 0 offen
	buffer_load_dword v115, v111, s[0:3], 0 offen offset:4
	ds_read_b64 v[116:117], v110
	v_add_u32_e32 v112, 1, v112
	v_cmp_lt_u32_e32 vcc, 3, v112
	v_add_u32_e32 v110, 8, v110
	v_add_u32_e32 v111, 8, v111
	s_or_b64 s[10:11], vcc, s[10:11]
	s_waitcnt vmcnt(0) lgkmcnt(0)
	v_fmac_f64_e32 v[106:107], v[114:115], v[116:117]
	s_andn2_b64 exec, exec, s[10:11]
	s_cbranch_execnz .LBB51_547
; %bb.548:
	s_or_b64 exec, exec, s[10:11]
.LBB51_549:
	s_or_b64 exec, exec, s[8:9]
	v_mov_b32_e32 v110, 0
	ds_read_b64 v[110:111], v110 offset:40
	s_waitcnt lgkmcnt(0)
	v_mul_f64 v[106:107], v[106:107], v[110:111]
	buffer_store_dword v107, off, s[0:3], 0 offset:44
	buffer_store_dword v106, off, s[0:3], 0 offset:40
.LBB51_550:
	;; [unrolled: 60-line block ×46, first 2 shown]
	s_or_b64 exec, exec, s[6:7]
	buffer_load_dword v106, off, s[0:3], 0 offset:400
	buffer_load_dword v107, off, s[0:3], 0 offset:404
	v_cmp_gt_u32_e64 s[6:7], 50, v0
	s_waitcnt vmcnt(0)
	ds_write_b64 v108, v[106:107]
	s_waitcnt lgkmcnt(0)
	; wave barrier
	s_waitcnt lgkmcnt(0)
	s_and_saveexec_b64 s[8:9], s[6:7]
	s_cbranch_execz .LBB51_1000
; %bb.991:
	s_and_b64 vcc, exec, s[4:5]
	s_cbranch_vccnz .LBB51_993
; %bb.992:
	buffer_load_dword v106, v109, s[0:3], 0 offen
	buffer_load_dword v107, v109, s[0:3], 0 offen offset:4
	ds_read_b64 v[110:111], v108
	s_waitcnt vmcnt(0) lgkmcnt(0)
	v_mul_f64 v[106:107], v[106:107], v[110:111]
	s_cbranch_execz .LBB51_994
	s_branch .LBB51_995
.LBB51_993:
                                        ; implicit-def: $vgpr106_vgpr107
.LBB51_994:
	ds_read_b64 v[106:107], v108
.LBB51_995:
	v_cmp_ne_u32_e32 vcc, 49, v0
	s_and_saveexec_b64 s[10:11], vcc
	s_cbranch_execz .LBB51_999
; %bb.996:
	v_mov_b32_e32 v111, 0
	v_add_u32_e32 v110, 0x1a8, v1
	v_add3_u32 v111, v1, v111, 8
	s_mov_b64 s[12:13], 0
	v_mov_b32_e32 v112, v0
.LBB51_997:                             ; =>This Inner Loop Header: Depth=1
	buffer_load_dword v114, v111, s[0:3], 0 offen
	buffer_load_dword v115, v111, s[0:3], 0 offen offset:4
	ds_read_b64 v[116:117], v110
	v_add_u32_e32 v112, 1, v112
	v_cmp_lt_u32_e32 vcc, 48, v112
	v_add_u32_e32 v110, 8, v110
	v_add_u32_e32 v111, 8, v111
	s_or_b64 s[12:13], vcc, s[12:13]
	s_waitcnt vmcnt(0) lgkmcnt(0)
	v_fmac_f64_e32 v[106:107], v[114:115], v[116:117]
	s_andn2_b64 exec, exec, s[12:13]
	s_cbranch_execnz .LBB51_997
; %bb.998:
	s_or_b64 exec, exec, s[12:13]
.LBB51_999:
	s_or_b64 exec, exec, s[10:11]
	v_mov_b32_e32 v110, 0
	ds_read_b64 v[110:111], v110 offset:400
	s_waitcnt lgkmcnt(0)
	v_mul_f64 v[106:107], v[106:107], v[110:111]
	buffer_store_dword v107, off, s[0:3], 0 offset:404
	buffer_store_dword v106, off, s[0:3], 0 offset:400
.LBB51_1000:
	s_or_b64 exec, exec, s[8:9]
	buffer_load_dword v106, off, s[0:3], 0 offset:408
	buffer_load_dword v107, off, s[0:3], 0 offset:412
	v_cmp_ne_u32_e32 vcc, 51, v0
	s_waitcnt vmcnt(0)
	ds_write_b64 v108, v[106:107]
	s_waitcnt lgkmcnt(0)
	; wave barrier
	s_waitcnt lgkmcnt(0)
	s_and_saveexec_b64 s[8:9], vcc
	s_cbranch_execz .LBB51_1010
; %bb.1001:
	s_and_b64 vcc, exec, s[4:5]
	s_cbranch_vccnz .LBB51_1003
; %bb.1002:
	buffer_load_dword v106, v109, s[0:3], 0 offen
	buffer_load_dword v107, v109, s[0:3], 0 offen offset:4
	ds_read_b64 v[110:111], v108
	s_waitcnt vmcnt(0) lgkmcnt(0)
	v_mul_f64 v[106:107], v[106:107], v[110:111]
	s_cbranch_execz .LBB51_1004
	s_branch .LBB51_1005
.LBB51_1003:
                                        ; implicit-def: $vgpr106_vgpr107
.LBB51_1004:
	ds_read_b64 v[106:107], v108
.LBB51_1005:
	s_and_saveexec_b64 s[4:5], s[6:7]
	s_cbranch_execz .LBB51_1009
; %bb.1006:
	v_mov_b32_e32 v109, 0
	v_add_u32_e32 v108, 0x1a8, v1
	v_add3_u32 v1, v1, v109, 8
	s_mov_b64 s[6:7], 0
.LBB51_1007:                            ; =>This Inner Loop Header: Depth=1
	buffer_load_dword v110, v1, s[0:3], 0 offen
	buffer_load_dword v111, v1, s[0:3], 0 offen offset:4
	ds_read_b64 v[112:113], v108
	v_add_u32_e32 v0, 1, v0
	v_cmp_lt_u32_e32 vcc, 49, v0
	v_add_u32_e32 v108, 8, v108
	v_add_u32_e32 v1, 8, v1
	s_or_b64 s[6:7], vcc, s[6:7]
	s_waitcnt vmcnt(0) lgkmcnt(0)
	v_fmac_f64_e32 v[106:107], v[110:111], v[112:113]
	s_andn2_b64 exec, exec, s[6:7]
	s_cbranch_execnz .LBB51_1007
; %bb.1008:
	s_or_b64 exec, exec, s[6:7]
.LBB51_1009:
	s_or_b64 exec, exec, s[4:5]
	v_mov_b32_e32 v0, 0
	ds_read_b64 v[0:1], v0 offset:408
	s_waitcnt lgkmcnt(0)
	v_mul_f64 v[0:1], v[106:107], v[0:1]
	buffer_store_dword v1, off, s[0:3], 0 offset:412
	buffer_store_dword v0, off, s[0:3], 0 offset:408
.LBB51_1010:
	s_or_b64 exec, exec, s[8:9]
.LBB51_1011:
	buffer_load_dword v0, off, s[0:3], 0
	buffer_load_dword v1, off, s[0:3], 0 offset:4
	buffer_load_dword v106, off, s[0:3], 0 offset:8
	;; [unrolled: 1-line block ×15, first 2 shown]
	s_waitcnt vmcnt(14)
	global_store_dwordx2 v[102:103], v[0:1], off
	s_waitcnt vmcnt(13)
	global_store_dwordx2 v[104:105], v[106:107], off
	s_waitcnt vmcnt(12)
	global_store_dwordx2 v[2:3], v[108:109], off
	s_waitcnt vmcnt(11)
	global_store_dwordx2 v[4:5], v[110:111], off
	s_waitcnt vmcnt(10)
	global_store_dwordx2 v[6:7], v[112:113], off
	s_waitcnt vmcnt(9)
	global_store_dwordx2 v[8:9], v[114:115], off
	s_waitcnt vmcnt(8)
	global_store_dwordx2 v[10:11], v[116:117], off
	s_waitcnt vmcnt(7)
	global_store_dwordx2 v[14:15], v[118:119], off
	buffer_load_dword v1, off, s[0:3], 0 offset:68
	buffer_load_dword v0, off, s[0:3], 0 offset:64
	s_waitcnt vmcnt(0)
	global_store_dwordx2 v[20:21], v[0:1], off
	buffer_load_dword v0, off, s[0:3], 0 offset:72
	s_nop 0
	buffer_load_dword v1, off, s[0:3], 0 offset:76
	s_waitcnt vmcnt(0)
	global_store_dwordx2 v[12:13], v[0:1], off
	buffer_load_dword v0, off, s[0:3], 0 offset:80
	s_nop 0
	;; [unrolled: 5-line block ×43, first 2 shown]
	buffer_load_dword v1, off, s[0:3], 0 offset:412
	s_waitcnt vmcnt(0)
	global_store_dwordx2 v[88:89], v[0:1], off
.LBB51_1012:
	s_endpgm
	.section	.rodata,"a",@progbits
	.p2align	6, 0x0
	.amdhsa_kernel _ZN9rocsolver6v33100L18trti2_kernel_smallILi52EdPdEEv13rocblas_fill_17rocblas_diagonal_T1_iil
		.amdhsa_group_segment_fixed_size 832
		.amdhsa_private_segment_fixed_size 432
		.amdhsa_kernarg_size 32
		.amdhsa_user_sgpr_count 8
		.amdhsa_user_sgpr_private_segment_buffer 1
		.amdhsa_user_sgpr_dispatch_ptr 0
		.amdhsa_user_sgpr_queue_ptr 0
		.amdhsa_user_sgpr_kernarg_segment_ptr 1
		.amdhsa_user_sgpr_dispatch_id 0
		.amdhsa_user_sgpr_flat_scratch_init 1
		.amdhsa_user_sgpr_kernarg_preload_length 0
		.amdhsa_user_sgpr_kernarg_preload_offset 0
		.amdhsa_user_sgpr_private_segment_size 0
		.amdhsa_uses_dynamic_stack 0
		.amdhsa_system_sgpr_private_segment_wavefront_offset 1
		.amdhsa_system_sgpr_workgroup_id_x 1
		.amdhsa_system_sgpr_workgroup_id_y 0
		.amdhsa_system_sgpr_workgroup_id_z 0
		.amdhsa_system_sgpr_workgroup_info 0
		.amdhsa_system_vgpr_workitem_id 0
		.amdhsa_next_free_vgpr 166
		.amdhsa_next_free_sgpr 20
		.amdhsa_accum_offset 168
		.amdhsa_reserve_vcc 1
		.amdhsa_reserve_flat_scratch 0
		.amdhsa_float_round_mode_32 0
		.amdhsa_float_round_mode_16_64 0
		.amdhsa_float_denorm_mode_32 3
		.amdhsa_float_denorm_mode_16_64 3
		.amdhsa_dx10_clamp 1
		.amdhsa_ieee_mode 1
		.amdhsa_fp16_overflow 0
		.amdhsa_tg_split 0
		.amdhsa_exception_fp_ieee_invalid_op 0
		.amdhsa_exception_fp_denorm_src 0
		.amdhsa_exception_fp_ieee_div_zero 0
		.amdhsa_exception_fp_ieee_overflow 0
		.amdhsa_exception_fp_ieee_underflow 0
		.amdhsa_exception_fp_ieee_inexact 0
		.amdhsa_exception_int_div_zero 0
	.end_amdhsa_kernel
	.section	.text._ZN9rocsolver6v33100L18trti2_kernel_smallILi52EdPdEEv13rocblas_fill_17rocblas_diagonal_T1_iil,"axG",@progbits,_ZN9rocsolver6v33100L18trti2_kernel_smallILi52EdPdEEv13rocblas_fill_17rocblas_diagonal_T1_iil,comdat
.Lfunc_end51:
	.size	_ZN9rocsolver6v33100L18trti2_kernel_smallILi52EdPdEEv13rocblas_fill_17rocblas_diagonal_T1_iil, .Lfunc_end51-_ZN9rocsolver6v33100L18trti2_kernel_smallILi52EdPdEEv13rocblas_fill_17rocblas_diagonal_T1_iil
                                        ; -- End function
	.section	.AMDGPU.csdata,"",@progbits
; Kernel info:
; codeLenInByte = 30588
; NumSgprs: 24
; NumVgprs: 166
; NumAgprs: 0
; TotalNumVgprs: 166
; ScratchSize: 432
; MemoryBound: 0
; FloatMode: 240
; IeeeMode: 1
; LDSByteSize: 832 bytes/workgroup (compile time only)
; SGPRBlocks: 2
; VGPRBlocks: 20
; NumSGPRsForWavesPerEU: 24
; NumVGPRsForWavesPerEU: 166
; AccumOffset: 168
; Occupancy: 3
; WaveLimiterHint : 0
; COMPUTE_PGM_RSRC2:SCRATCH_EN: 1
; COMPUTE_PGM_RSRC2:USER_SGPR: 8
; COMPUTE_PGM_RSRC2:TRAP_HANDLER: 0
; COMPUTE_PGM_RSRC2:TGID_X_EN: 1
; COMPUTE_PGM_RSRC2:TGID_Y_EN: 0
; COMPUTE_PGM_RSRC2:TGID_Z_EN: 0
; COMPUTE_PGM_RSRC2:TIDIG_COMP_CNT: 0
; COMPUTE_PGM_RSRC3_GFX90A:ACCUM_OFFSET: 41
; COMPUTE_PGM_RSRC3_GFX90A:TG_SPLIT: 0
	.section	.text._ZN9rocsolver6v33100L18trti2_kernel_smallILi53EdPdEEv13rocblas_fill_17rocblas_diagonal_T1_iil,"axG",@progbits,_ZN9rocsolver6v33100L18trti2_kernel_smallILi53EdPdEEv13rocblas_fill_17rocblas_diagonal_T1_iil,comdat
	.globl	_ZN9rocsolver6v33100L18trti2_kernel_smallILi53EdPdEEv13rocblas_fill_17rocblas_diagonal_T1_iil ; -- Begin function _ZN9rocsolver6v33100L18trti2_kernel_smallILi53EdPdEEv13rocblas_fill_17rocblas_diagonal_T1_iil
	.p2align	8
	.type	_ZN9rocsolver6v33100L18trti2_kernel_smallILi53EdPdEEv13rocblas_fill_17rocblas_diagonal_T1_iil,@function
_ZN9rocsolver6v33100L18trti2_kernel_smallILi53EdPdEEv13rocblas_fill_17rocblas_diagonal_T1_iil: ; @_ZN9rocsolver6v33100L18trti2_kernel_smallILi53EdPdEEv13rocblas_fill_17rocblas_diagonal_T1_iil
; %bb.0:
	s_add_u32 s0, s0, s9
	s_addc_u32 s1, s1, 0
	v_cmp_gt_u32_e32 vcc, 53, v0
	s_and_saveexec_b64 s[6:7], vcc
	s_cbranch_execz .LBB52_1032
; %bb.1:
	s_load_dwordx8 s[12:19], s[4:5], 0x0
	s_ashr_i32 s6, s8, 31
	s_waitcnt lgkmcnt(0)
	s_mul_i32 s7, s8, s19
	s_mul_hi_u32 s9, s8, s18
	s_add_i32 s7, s9, s7
	s_mul_i32 s6, s6, s18
	s_add_i32 s7, s7, s6
	s_mul_i32 s6, s8, s18
	s_ashr_i32 s5, s16, 31
	s_lshl_b64 s[6:7], s[6:7], 3
	s_mov_b32 s4, s16
	s_add_u32 s6, s14, s6
	s_addc_u32 s7, s15, s7
	s_lshl_b64 s[4:5], s[4:5], 3
	s_add_u32 s4, s6, s4
	s_addc_u32 s5, s7, s5
	s_add_i32 s6, s17, s17
	v_add_u32_e32 v4, s6, v0
	v_ashrrev_i32_e32 v5, 31, v4
	v_lshlrev_b64 v[2:3], 3, v[4:5]
	v_add_u32_e32 v6, s17, v4
	v_mov_b32_e32 v1, s5
	v_add_co_u32_e32 v2, vcc, s4, v2
	v_ashrrev_i32_e32 v7, 31, v6
	v_addc_co_u32_e32 v3, vcc, v1, v3, vcc
	v_lshlrev_b64 v[4:5], 3, v[6:7]
	v_add_u32_e32 v8, s17, v6
	v_add_co_u32_e32 v4, vcc, s4, v4
	v_ashrrev_i32_e32 v9, 31, v8
	v_addc_co_u32_e32 v5, vcc, v1, v5, vcc
	v_lshlrev_b64 v[6:7], 3, v[8:9]
	v_add_u32_e32 v10, s17, v8
	;; [unrolled: 5-line block ×42, first 2 shown]
	v_add_co_u32_e32 v86, vcc, s4, v86
	v_ashrrev_i32_e32 v91, 31, v90
	v_addc_co_u32_e32 v87, vcc, v1, v87, vcc
	v_lshlrev_b64 v[88:89], 3, v[90:91]
	v_add_co_u32_e32 v88, vcc, s4, v88
	v_add_u32_e32 v92, s17, v90
	v_addc_co_u32_e32 v89, vcc, v1, v89, vcc
	v_ashrrev_i32_e32 v93, 31, v92
	v_lshlrev_b32_e32 v1, 3, v0
	v_lshlrev_b64 v[90:91], 3, v[92:93]
	global_load_dwordx2 v[108:109], v1, s[4:5]
	global_load_dwordx2 v[112:113], v[2:3], off
	global_load_dwordx2 v[114:115], v[4:5], off
	;; [unrolled: 1-line block ×3, first 2 shown]
	v_mov_b32_e32 v93, s5
	v_add_co_u32_e32 v96, vcc, s4, v1
	s_ashr_i32 s7, s17, 31
	s_mov_b32 s6, s17
	v_addc_co_u32_e32 v97, vcc, 0, v93, vcc
	s_lshl_b64 s[6:7], s[6:7], 3
	v_mov_b32_e32 v93, s7
	v_add_co_u32_e32 v100, vcc, s6, v96
	v_addc_co_u32_e32 v101, vcc, v97, v93, vcc
	global_load_dwordx2 v[110:111], v[100:101], off
	global_load_dwordx2 v[122:123], v[12:13], off
	;; [unrolled: 1-line block ×4, first 2 shown]
	v_mov_b32_e32 v94, s5
	v_add_co_u32_e32 v90, vcc, s4, v90
	v_addc_co_u32_e32 v91, vcc, v94, v91, vcc
	v_add_u32_e32 v94, s17, v92
	v_ashrrev_i32_e32 v95, 31, v94
	v_lshlrev_b64 v[92:93], 3, v[94:95]
	v_mov_b32_e32 v98, s5
	v_add_co_u32_e32 v92, vcc, s4, v92
	v_addc_co_u32_e32 v93, vcc, v98, v93, vcc
	v_add_u32_e32 v98, s17, v94
	v_ashrrev_i32_e32 v99, 31, v98
	v_lshlrev_b64 v[94:95], 3, v[98:99]
	global_load_dwordx2 v[124:125], v[14:15], off
	global_load_dwordx2 v[126:127], v[16:17], off
	v_mov_b32_e32 v102, s5
	v_add_co_u32_e32 v94, vcc, s4, v94
	v_addc_co_u32_e32 v95, vcc, v102, v95, vcc
	v_add_u32_e32 v102, s17, v98
	v_ashrrev_i32_e32 v103, 31, v102
	v_lshlrev_b64 v[98:99], 3, v[102:103]
	v_mov_b32_e32 v104, s5
	v_add_co_u32_e32 v98, vcc, s4, v98
	v_addc_co_u32_e32 v99, vcc, v104, v99, vcc
	v_add_u32_e32 v104, s17, v102
	v_ashrrev_i32_e32 v105, 31, v104
	global_load_dwordx2 v[128:129], v[18:19], off
	global_load_dwordx2 v[130:131], v[20:21], off
	;; [unrolled: 1-line block ×4, first 2 shown]
	v_lshlrev_b64 v[102:103], 3, v[104:105]
	v_mov_b32_e32 v106, s5
	v_add_co_u32_e32 v102, vcc, s4, v102
	v_addc_co_u32_e32 v103, vcc, v106, v103, vcc
	v_add_u32_e32 v106, s17, v104
	v_ashrrev_i32_e32 v107, 31, v106
	v_lshlrev_b64 v[104:105], 3, v[106:107]
	v_mov_b32_e32 v146, s5
	v_add_co_u32_e32 v104, vcc, s4, v104
	global_load_dwordx2 v[136:137], v[26:27], off
	global_load_dwordx2 v[138:139], v[28:29], off
	;; [unrolled: 1-line block ×5, first 2 shown]
	v_addc_co_u32_e32 v105, vcc, v146, v105, vcc
	global_load_dwordx2 v[146:147], v[36:37], off
	global_load_dwordx2 v[148:149], v[38:39], off
	global_load_dwordx2 v[150:151], v[40:41], off
	global_load_dwordx2 v[152:153], v[42:43], off
	global_load_dwordx2 v[154:155], v[44:45], off
	global_load_dwordx2 v[156:157], v[46:47], off
	global_load_dwordx2 v[158:159], v[48:49], off
	global_load_dwordx2 v[160:161], v[50:51], off
	v_add_u32_e32 v106, s17, v106
	v_ashrrev_i32_e32 v107, 31, v106
	v_lshlrev_b64 v[106:107], 3, v[106:107]
	v_mov_b32_e32 v162, s5
	v_add_co_u32_e32 v106, vcc, s4, v106
	v_addc_co_u32_e32 v107, vcc, v162, v107, vcc
	global_load_dwordx2 v[162:163], v[52:53], off
	global_load_dwordx2 v[164:165], v[54:55], off
	;; [unrolled: 1-line block ×14, first 2 shown]
	s_cmpk_lg_i32 s13, 0x84
	s_waitcnt vmcnt(40)
	buffer_store_dword v109, off, s[0:3], 0 offset:4
	buffer_store_dword v108, off, s[0:3], 0
	global_load_dwordx2 v[108:109], v[56:57], off
	s_cselect_b64 s[8:9], -1, 0
	s_waitcnt vmcnt(39)
	buffer_store_dword v111, off, s[0:3], 0 offset:12
	buffer_store_dword v110, off, s[0:3], 0 offset:8
	global_load_dwordx2 v[110:111], v[60:61], off
	s_cmpk_eq_i32 s13, 0x84
	buffer_store_dword v113, off, s[0:3], 0 offset:20
	buffer_store_dword v112, off, s[0:3], 0 offset:16
	global_load_dwordx2 v[112:113], v[64:65], off
	s_nop 0
	buffer_store_dword v115, off, s[0:3], 0 offset:28
	buffer_store_dword v114, off, s[0:3], 0 offset:24
	global_load_dwordx2 v[114:115], v[68:69], off
	s_nop 0
	buffer_store_dword v117, off, s[0:3], 0 offset:36
	buffer_store_dword v116, off, s[0:3], 0 offset:32
	global_load_dwordx2 v[116:117], v[72:73], off
	s_waitcnt vmcnt(49)
	buffer_store_dword v119, off, s[0:3], 0 offset:44
	buffer_store_dword v118, off, s[0:3], 0 offset:40
	global_load_dwordx2 v[118:119], v[76:77], off
	s_waitcnt vmcnt(51)
	buffer_store_dword v121, off, s[0:3], 0 offset:52
	buffer_store_dword v120, off, s[0:3], 0 offset:48
	global_load_dwordx2 v[120:121], v[80:81], off
	s_nop 0
	buffer_store_dword v123, off, s[0:3], 0 offset:60
	buffer_store_dword v122, off, s[0:3], 0 offset:56
	global_load_dwordx2 v[122:123], v[84:85], off
	s_waitcnt vmcnt(56)
	buffer_store_dword v125, off, s[0:3], 0 offset:68
	buffer_store_dword v124, off, s[0:3], 0 offset:64
	global_load_dwordx2 v[124:125], v[88:89], off
	s_waitcnt vmcnt(58)
	;; [unrolled: 4-line block ×5, first 2 shown]
	buffer_store_dword v132, off, s[0:3], 0 offset:96
	buffer_store_dword v133, off, s[0:3], 0 offset:100
	;; [unrolled: 1-line block ×6, first 2 shown]
	s_waitcnt vmcnt(62)
	buffer_store_dword v138, off, s[0:3], 0 offset:120
	buffer_store_dword v139, off, s[0:3], 0 offset:124
	buffer_store_dword v140, off, s[0:3], 0 offset:128
	buffer_store_dword v141, off, s[0:3], 0 offset:132
	buffer_store_dword v142, off, s[0:3], 0 offset:136
	buffer_store_dword v143, off, s[0:3], 0 offset:140
	buffer_store_dword v144, off, s[0:3], 0 offset:144
	buffer_store_dword v145, off, s[0:3], 0 offset:148
	buffer_store_dword v147, off, s[0:3], 0 offset:156
	buffer_store_dword v146, off, s[0:3], 0 offset:152
	buffer_store_dword v149, off, s[0:3], 0 offset:164
	buffer_store_dword v148, off, s[0:3], 0 offset:160
	s_waitcnt vmcnt(62)
	buffer_store_dword v150, off, s[0:3], 0 offset:168
	buffer_store_dword v151, off, s[0:3], 0 offset:172
	buffer_store_dword v152, off, s[0:3], 0 offset:176
	buffer_store_dword v153, off, s[0:3], 0 offset:180
	buffer_store_dword v154, off, s[0:3], 0 offset:184
	buffer_store_dword v155, off, s[0:3], 0 offset:188
	buffer_store_dword v156, off, s[0:3], 0 offset:192
	buffer_store_dword v157, off, s[0:3], 0 offset:196
	buffer_store_dword v159, off, s[0:3], 0 offset:204
	buffer_store_dword v158, off, s[0:3], 0 offset:200
	buffer_store_dword v161, off, s[0:3], 0 offset:212
	buffer_store_dword v160, off, s[0:3], 0 offset:208
	buffer_store_dword v162, off, s[0:3], 0 offset:216
	buffer_store_dword v163, off, s[0:3], 0 offset:220
	buffer_store_dword v164, off, s[0:3], 0 offset:224
	buffer_store_dword v165, off, s[0:3], 0 offset:228
	s_waitcnt vmcnt(62)
	buffer_store_dword v108, off, s[0:3], 0 offset:232
	buffer_store_dword v109, off, s[0:3], 0 offset:236
	;; [unrolled: 1-line block ×8, first 2 shown]
	s_waitcnt vmcnt(62)
	buffer_store_dword v112, off, s[0:3], 0 offset:264
	buffer_store_dword v113, off, s[0:3], 0 offset:268
	;; [unrolled: 1-line block ×12, first 2 shown]
	s_waitcnt vmcnt(62)
	buffer_store_dword v118, off, s[0:3], 0 offset:312
	buffer_store_dword v119, off, s[0:3], 0 offset:316
	;; [unrolled: 1-line block ×16, first 2 shown]
	s_waitcnt vmcnt(62)
	buffer_store_dword v126, off, s[0:3], 0 offset:376
	buffer_store_dword v127, off, s[0:3], 0 offset:380
	;; [unrolled: 1-line block ×12, first 2 shown]
	v_mov_b32_e32 v108, 0
	v_mov_b32_e32 v161, 0
	;; [unrolled: 1-line block ×3, first 2 shown]
	s_cbranch_scc1 .LBB52_3
; %bb.2:
	v_lshl_add_u32 v118, v0, 3, v161
	buffer_load_dword v108, v118, s[0:3], 0 offen
	buffer_load_dword v109, v118, s[0:3], 0 offen offset:4
	s_waitcnt vmcnt(0)
	v_div_scale_f64 v[110:111], s[4:5], v[108:109], v[108:109], 1.0
	v_rcp_f64_e32 v[112:113], v[110:111]
	v_div_scale_f64 v[114:115], vcc, 1.0, v[108:109], 1.0
	v_fma_f64 v[116:117], -v[110:111], v[112:113], 1.0
	v_fmac_f64_e32 v[112:113], v[112:113], v[116:117]
	v_fma_f64 v[116:117], -v[110:111], v[112:113], 1.0
	v_fmac_f64_e32 v[112:113], v[112:113], v[116:117]
	v_mul_f64 v[116:117], v[114:115], v[112:113]
	v_fma_f64 v[110:111], -v[110:111], v[116:117], v[114:115]
	v_div_fmas_f64 v[110:111], v[110:111], v[112:113], v[116:117]
	v_div_fixup_f64 v[108:109], v[110:111], v[108:109], 1.0
	buffer_store_dword v108, v118, s[0:3], 0 offen
	buffer_store_dword v109, v118, s[0:3], 0 offen offset:4
	v_xor_b32_e32 v109, 0x80000000, v109
.LBB52_3:
	s_cmpk_eq_i32 s12, 0x79
	v_add_u32_e32 v110, 0x1b0, v1
	v_add_u32_e32 v111, 0, v1
	s_mov_b64 s[4:5], -1
	ds_write_b64 v1, v[108:109]
	s_cbranch_scc1 .LBB52_517
; %bb.4:
	buffer_load_dword v108, off, s[0:3], 0 offset:408
	buffer_load_dword v109, off, s[0:3], 0 offset:412
	v_cmp_eq_u32_e64 s[4:5], 52, v0
	s_waitcnt vmcnt(0)
	ds_write_b64 v110, v[108:109]
	s_waitcnt lgkmcnt(0)
	; wave barrier
	s_waitcnt lgkmcnt(0)
	s_and_saveexec_b64 s[6:7], s[4:5]
	s_cbranch_execz .LBB52_10
; %bb.5:
	s_and_b64 vcc, exec, s[8:9]
	s_cbranch_vccz .LBB52_7
; %bb.6:
	buffer_load_dword v108, v111, s[0:3], 0 offen
	buffer_load_dword v109, v111, s[0:3], 0 offen offset:4
	ds_read_b64 v[112:113], v110
	s_waitcnt vmcnt(0) lgkmcnt(0)
	v_mul_f64 v[108:109], v[108:109], v[112:113]
	s_cbranch_execz .LBB52_8
	s_branch .LBB52_9
.LBB52_7:
                                        ; implicit-def: $vgpr108_vgpr109
.LBB52_8:
	ds_read_b64 v[108:109], v110
.LBB52_9:
	v_mov_b32_e32 v112, 0
	ds_read_b64 v[112:113], v112 offset:408
	s_waitcnt lgkmcnt(0)
	v_mul_f64 v[108:109], v[108:109], v[112:113]
	buffer_store_dword v109, off, s[0:3], 0 offset:412
	buffer_store_dword v108, off, s[0:3], 0 offset:408
.LBB52_10:
	s_or_b64 exec, exec, s[6:7]
	buffer_load_dword v108, off, s[0:3], 0 offset:400
	buffer_load_dword v109, off, s[0:3], 0 offset:404
	v_or_b32_e32 v112, 8, v161
	v_add_u32_e32 v113, 16, v161
	v_add_u32_e32 v114, 24, v161
	;; [unrolled: 1-line block ×49, first 2 shown]
	v_cmp_lt_u32_e64 s[6:7], 50, v0
	s_waitcnt vmcnt(0)
	ds_write_b64 v110, v[108:109]
	s_waitcnt lgkmcnt(0)
	; wave barrier
	s_waitcnt lgkmcnt(0)
	s_and_saveexec_b64 s[10:11], s[6:7]
	s_cbranch_execz .LBB52_16
; %bb.11:
	s_andn2_b64 vcc, exec, s[8:9]
	s_cbranch_vccnz .LBB52_13
; %bb.12:
	buffer_load_dword v108, v111, s[0:3], 0 offen
	buffer_load_dword v109, v111, s[0:3], 0 offen offset:4
	ds_read_b64 v[162:163], v110
	s_waitcnt vmcnt(0) lgkmcnt(0)
	v_mul_f64 v[108:109], v[108:109], v[162:163]
	s_cbranch_execz .LBB52_14
	s_branch .LBB52_15
.LBB52_13:
                                        ; implicit-def: $vgpr108_vgpr109
.LBB52_14:
	ds_read_b64 v[108:109], v110
.LBB52_15:
	buffer_load_dword v166, off, s[0:3], 0 offset:408
	buffer_load_dword v167, off, s[0:3], 0 offset:412
	v_mov_b32_e32 v162, 0
	ds_read2_b64 v[162:165], v162 offset0:50 offset1:105
	s_waitcnt vmcnt(0) lgkmcnt(0)
	v_fma_f64 v[164:165], v[166:167], v[164:165], v[108:109]
	v_cndmask_b32_e64 v109, v109, v165, s[4:5]
	v_cndmask_b32_e64 v108, v108, v164, s[4:5]
	v_mul_f64 v[108:109], v[108:109], v[162:163]
	buffer_store_dword v109, off, s[0:3], 0 offset:404
	buffer_store_dword v108, off, s[0:3], 0 offset:400
.LBB52_16:
	s_or_b64 exec, exec, s[10:11]
	buffer_load_dword v108, off, s[0:3], 0 offset:392
	buffer_load_dword v109, off, s[0:3], 0 offset:396
	v_cmp_lt_u32_e64 s[4:5], 49, v0
	s_waitcnt vmcnt(0)
	ds_write_b64 v110, v[108:109]
	s_waitcnt lgkmcnt(0)
	; wave barrier
	s_waitcnt lgkmcnt(0)
	s_and_saveexec_b64 s[10:11], s[4:5]
	s_cbranch_execz .LBB52_26
; %bb.17:
	s_andn2_b64 vcc, exec, s[8:9]
	s_cbranch_vccnz .LBB52_19
; %bb.18:
	buffer_load_dword v108, v111, s[0:3], 0 offen
	buffer_load_dword v109, v111, s[0:3], 0 offen offset:4
	ds_read_b64 v[162:163], v110
	s_waitcnt vmcnt(0) lgkmcnt(0)
	v_mul_f64 v[108:109], v[108:109], v[162:163]
	s_cbranch_execz .LBB52_20
	s_branch .LBB52_21
.LBB52_19:
                                        ; implicit-def: $vgpr108_vgpr109
.LBB52_20:
	ds_read_b64 v[108:109], v110
.LBB52_21:
	s_and_saveexec_b64 s[12:13], s[6:7]
	s_cbranch_execz .LBB52_25
; %bb.22:
	v_subrev_u32_e32 v162, 50, v0
	s_movk_i32 s14, 0x340
	s_mov_b64 s[6:7], 0
.LBB52_23:                              ; =>This Inner Loop Header: Depth=1
	buffer_load_dword v164, v161, s[0:3], 0 offen
	buffer_load_dword v165, v161, s[0:3], 0 offen offset:4
	v_mov_b32_e32 v163, s14
	ds_read_b64 v[166:167], v163
	v_add_u32_e32 v162, -1, v162
	s_add_i32 s14, s14, 8
	v_cmp_eq_u32_e32 vcc, 0, v162
	v_add_u32_e32 v161, 8, v161
	s_or_b64 s[6:7], vcc, s[6:7]
	s_waitcnt vmcnt(0) lgkmcnt(0)
	v_fmac_f64_e32 v[108:109], v[164:165], v[166:167]
	s_andn2_b64 exec, exec, s[6:7]
	s_cbranch_execnz .LBB52_23
; %bb.24:
	s_or_b64 exec, exec, s[6:7]
.LBB52_25:
	s_or_b64 exec, exec, s[12:13]
	v_mov_b32_e32 v161, 0
	ds_read_b64 v[162:163], v161 offset:392
	s_waitcnt lgkmcnt(0)
	v_mul_f64 v[108:109], v[108:109], v[162:163]
	buffer_store_dword v109, off, s[0:3], 0 offset:396
	buffer_store_dword v108, off, s[0:3], 0 offset:392
.LBB52_26:
	s_or_b64 exec, exec, s[10:11]
	buffer_load_dword v108, off, s[0:3], 0 offset:384
	buffer_load_dword v109, off, s[0:3], 0 offset:388
	v_cmp_lt_u32_e64 s[6:7], 48, v0
	s_waitcnt vmcnt(0)
	ds_write_b64 v110, v[108:109]
	s_waitcnt lgkmcnt(0)
	; wave barrier
	s_waitcnt lgkmcnt(0)
	s_and_saveexec_b64 s[10:11], s[6:7]
	s_cbranch_execz .LBB52_36
; %bb.27:
	s_andn2_b64 vcc, exec, s[8:9]
	s_cbranch_vccnz .LBB52_29
; %bb.28:
	buffer_load_dword v108, v111, s[0:3], 0 offen
	buffer_load_dword v109, v111, s[0:3], 0 offen offset:4
	ds_read_b64 v[162:163], v110
	s_waitcnt vmcnt(0) lgkmcnt(0)
	v_mul_f64 v[108:109], v[108:109], v[162:163]
	s_cbranch_execz .LBB52_30
	s_branch .LBB52_31
.LBB52_29:
                                        ; implicit-def: $vgpr108_vgpr109
.LBB52_30:
	ds_read_b64 v[108:109], v110
.LBB52_31:
	s_and_saveexec_b64 s[12:13], s[4:5]
	s_cbranch_execz .LBB52_35
; %bb.32:
	v_subrev_u32_e32 v161, 49, v0
	s_movk_i32 s14, 0x338
	s_mov_b64 s[4:5], 0
.LBB52_33:                              ; =>This Inner Loop Header: Depth=1
	buffer_load_dword v162, v160, s[0:3], 0 offen
	buffer_load_dword v163, v160, s[0:3], 0 offen offset:4
	v_mov_b32_e32 v164, s14
	ds_read_b64 v[164:165], v164
	v_add_u32_e32 v161, -1, v161
	s_add_i32 s14, s14, 8
	v_cmp_eq_u32_e32 vcc, 0, v161
	v_add_u32_e32 v160, 8, v160
	s_or_b64 s[4:5], vcc, s[4:5]
	s_waitcnt vmcnt(0) lgkmcnt(0)
	v_fmac_f64_e32 v[108:109], v[162:163], v[164:165]
	s_andn2_b64 exec, exec, s[4:5]
	s_cbranch_execnz .LBB52_33
; %bb.34:
	s_or_b64 exec, exec, s[4:5]
.LBB52_35:
	s_or_b64 exec, exec, s[12:13]
	v_mov_b32_e32 v160, 0
	ds_read_b64 v[160:161], v160 offset:384
	s_waitcnt lgkmcnt(0)
	v_mul_f64 v[108:109], v[108:109], v[160:161]
	buffer_store_dword v109, off, s[0:3], 0 offset:388
	buffer_store_dword v108, off, s[0:3], 0 offset:384
.LBB52_36:
	;; [unrolled: 58-line block ×8, first 2 shown]
	s_or_b64 exec, exec, s[10:11]
	buffer_load_dword v108, off, s[0:3], 0 offset:328
	buffer_load_dword v109, off, s[0:3], 0 offset:332
	v_cmp_lt_u32_e64 s[4:5], 41, v0
	s_waitcnt vmcnt(0)
	ds_write_b64 v110, v[108:109]
	s_waitcnt lgkmcnt(0)
	; wave barrier
	s_waitcnt lgkmcnt(0)
	s_and_saveexec_b64 s[10:11], s[4:5]
	s_cbranch_execz .LBB52_106
; %bb.97:
	s_andn2_b64 vcc, exec, s[8:9]
	s_cbranch_vccnz .LBB52_99
; %bb.98:
	buffer_load_dword v108, v111, s[0:3], 0 offen
	buffer_load_dword v109, v111, s[0:3], 0 offen offset:4
	ds_read_b64 v[154:155], v110
	s_waitcnt vmcnt(0) lgkmcnt(0)
	v_mul_f64 v[108:109], v[108:109], v[154:155]
	s_cbranch_execz .LBB52_100
	s_branch .LBB52_101
.LBB52_99:
                                        ; implicit-def: $vgpr108_vgpr109
.LBB52_100:
	ds_read_b64 v[108:109], v110
.LBB52_101:
	s_and_saveexec_b64 s[12:13], s[6:7]
	s_cbranch_execz .LBB52_105
; %bb.102:
	v_subrev_u32_e32 v154, 42, v0
	s_movk_i32 s14, 0x300
	s_mov_b64 s[6:7], 0
.LBB52_103:                             ; =>This Inner Loop Header: Depth=1
	buffer_load_dword v156, v153, s[0:3], 0 offen
	buffer_load_dword v157, v153, s[0:3], 0 offen offset:4
	v_mov_b32_e32 v155, s14
	ds_read_b64 v[158:159], v155
	v_add_u32_e32 v154, -1, v154
	s_add_i32 s14, s14, 8
	v_cmp_eq_u32_e32 vcc, 0, v154
	v_add_u32_e32 v153, 8, v153
	s_or_b64 s[6:7], vcc, s[6:7]
	s_waitcnt vmcnt(0) lgkmcnt(0)
	v_fmac_f64_e32 v[108:109], v[156:157], v[158:159]
	s_andn2_b64 exec, exec, s[6:7]
	s_cbranch_execnz .LBB52_103
; %bb.104:
	s_or_b64 exec, exec, s[6:7]
.LBB52_105:
	s_or_b64 exec, exec, s[12:13]
	v_mov_b32_e32 v153, 0
	ds_read_b64 v[154:155], v153 offset:328
	s_waitcnt lgkmcnt(0)
	v_mul_f64 v[108:109], v[108:109], v[154:155]
	buffer_store_dword v109, off, s[0:3], 0 offset:332
	buffer_store_dword v108, off, s[0:3], 0 offset:328
.LBB52_106:
	s_or_b64 exec, exec, s[10:11]
	buffer_load_dword v108, off, s[0:3], 0 offset:320
	buffer_load_dword v109, off, s[0:3], 0 offset:324
	v_cmp_lt_u32_e64 s[6:7], 40, v0
	s_waitcnt vmcnt(0)
	ds_write_b64 v110, v[108:109]
	s_waitcnt lgkmcnt(0)
	; wave barrier
	s_waitcnt lgkmcnt(0)
	s_and_saveexec_b64 s[10:11], s[6:7]
	s_cbranch_execz .LBB52_116
; %bb.107:
	s_andn2_b64 vcc, exec, s[8:9]
	s_cbranch_vccnz .LBB52_109
; %bb.108:
	buffer_load_dword v108, v111, s[0:3], 0 offen
	buffer_load_dword v109, v111, s[0:3], 0 offen offset:4
	ds_read_b64 v[154:155], v110
	s_waitcnt vmcnt(0) lgkmcnt(0)
	v_mul_f64 v[108:109], v[108:109], v[154:155]
	s_cbranch_execz .LBB52_110
	s_branch .LBB52_111
.LBB52_109:
                                        ; implicit-def: $vgpr108_vgpr109
.LBB52_110:
	ds_read_b64 v[108:109], v110
.LBB52_111:
	s_and_saveexec_b64 s[12:13], s[4:5]
	s_cbranch_execz .LBB52_115
; %bb.112:
	v_subrev_u32_e32 v153, 41, v0
	s_movk_i32 s14, 0x2f8
	s_mov_b64 s[4:5], 0
.LBB52_113:                             ; =>This Inner Loop Header: Depth=1
	buffer_load_dword v154, v152, s[0:3], 0 offen
	buffer_load_dword v155, v152, s[0:3], 0 offen offset:4
	v_mov_b32_e32 v156, s14
	ds_read_b64 v[156:157], v156
	v_add_u32_e32 v153, -1, v153
	s_add_i32 s14, s14, 8
	v_cmp_eq_u32_e32 vcc, 0, v153
	v_add_u32_e32 v152, 8, v152
	s_or_b64 s[4:5], vcc, s[4:5]
	s_waitcnt vmcnt(0) lgkmcnt(0)
	v_fmac_f64_e32 v[108:109], v[154:155], v[156:157]
	s_andn2_b64 exec, exec, s[4:5]
	s_cbranch_execnz .LBB52_113
; %bb.114:
	s_or_b64 exec, exec, s[4:5]
.LBB52_115:
	s_or_b64 exec, exec, s[12:13]
	v_mov_b32_e32 v152, 0
	ds_read_b64 v[152:153], v152 offset:320
	s_waitcnt lgkmcnt(0)
	v_mul_f64 v[108:109], v[108:109], v[152:153]
	buffer_store_dword v109, off, s[0:3], 0 offset:324
	buffer_store_dword v108, off, s[0:3], 0 offset:320
.LBB52_116:
	;; [unrolled: 58-line block ×26, first 2 shown]
	s_or_b64 exec, exec, s[10:11]
	buffer_load_dword v108, off, s[0:3], 0 offset:120
	buffer_load_dword v109, off, s[0:3], 0 offset:124
	v_cmp_lt_u32_e64 s[4:5], 15, v0
	s_waitcnt vmcnt(0)
	ds_write_b64 v110, v[108:109]
	s_waitcnt lgkmcnt(0)
	; wave barrier
	s_waitcnt lgkmcnt(0)
	s_and_saveexec_b64 s[10:11], s[4:5]
	s_cbranch_execz .LBB52_366
; %bb.357:
	s_andn2_b64 vcc, exec, s[8:9]
	s_cbranch_vccnz .LBB52_359
; %bb.358:
	buffer_load_dword v108, v111, s[0:3], 0 offen
	buffer_load_dword v109, v111, s[0:3], 0 offen offset:4
	ds_read_b64 v[128:129], v110
	s_waitcnt vmcnt(0) lgkmcnt(0)
	v_mul_f64 v[108:109], v[108:109], v[128:129]
	s_cbranch_execz .LBB52_360
	s_branch .LBB52_361
.LBB52_359:
                                        ; implicit-def: $vgpr108_vgpr109
.LBB52_360:
	ds_read_b64 v[108:109], v110
.LBB52_361:
	s_and_saveexec_b64 s[12:13], s[6:7]
	s_cbranch_execz .LBB52_365
; %bb.362:
	v_add_u32_e32 v128, -16, v0
	s_movk_i32 s14, 0x230
	s_mov_b64 s[6:7], 0
.LBB52_363:                             ; =>This Inner Loop Header: Depth=1
	buffer_load_dword v130, v127, s[0:3], 0 offen
	buffer_load_dword v131, v127, s[0:3], 0 offen offset:4
	v_mov_b32_e32 v129, s14
	ds_read_b64 v[132:133], v129
	v_add_u32_e32 v128, -1, v128
	s_add_i32 s14, s14, 8
	v_cmp_eq_u32_e32 vcc, 0, v128
	v_add_u32_e32 v127, 8, v127
	s_or_b64 s[6:7], vcc, s[6:7]
	s_waitcnt vmcnt(0) lgkmcnt(0)
	v_fmac_f64_e32 v[108:109], v[130:131], v[132:133]
	s_andn2_b64 exec, exec, s[6:7]
	s_cbranch_execnz .LBB52_363
; %bb.364:
	s_or_b64 exec, exec, s[6:7]
.LBB52_365:
	s_or_b64 exec, exec, s[12:13]
	v_mov_b32_e32 v127, 0
	ds_read_b64 v[128:129], v127 offset:120
	s_waitcnt lgkmcnt(0)
	v_mul_f64 v[108:109], v[108:109], v[128:129]
	buffer_store_dword v109, off, s[0:3], 0 offset:124
	buffer_store_dword v108, off, s[0:3], 0 offset:120
.LBB52_366:
	s_or_b64 exec, exec, s[10:11]
	buffer_load_dword v108, off, s[0:3], 0 offset:112
	buffer_load_dword v109, off, s[0:3], 0 offset:116
	v_cmp_lt_u32_e64 s[6:7], 14, v0
	s_waitcnt vmcnt(0)
	ds_write_b64 v110, v[108:109]
	s_waitcnt lgkmcnt(0)
	; wave barrier
	s_waitcnt lgkmcnt(0)
	s_and_saveexec_b64 s[10:11], s[6:7]
	s_cbranch_execz .LBB52_376
; %bb.367:
	s_andn2_b64 vcc, exec, s[8:9]
	s_cbranch_vccnz .LBB52_369
; %bb.368:
	buffer_load_dword v108, v111, s[0:3], 0 offen
	buffer_load_dword v109, v111, s[0:3], 0 offen offset:4
	ds_read_b64 v[128:129], v110
	s_waitcnt vmcnt(0) lgkmcnt(0)
	v_mul_f64 v[108:109], v[108:109], v[128:129]
	s_cbranch_execz .LBB52_370
	s_branch .LBB52_371
.LBB52_369:
                                        ; implicit-def: $vgpr108_vgpr109
.LBB52_370:
	ds_read_b64 v[108:109], v110
.LBB52_371:
	s_and_saveexec_b64 s[12:13], s[4:5]
	s_cbranch_execz .LBB52_375
; %bb.372:
	v_add_u32_e32 v127, -15, v0
	s_movk_i32 s14, 0x228
	s_mov_b64 s[4:5], 0
.LBB52_373:                             ; =>This Inner Loop Header: Depth=1
	buffer_load_dword v128, v126, s[0:3], 0 offen
	buffer_load_dword v129, v126, s[0:3], 0 offen offset:4
	v_mov_b32_e32 v130, s14
	ds_read_b64 v[130:131], v130
	v_add_u32_e32 v127, -1, v127
	s_add_i32 s14, s14, 8
	v_cmp_eq_u32_e32 vcc, 0, v127
	v_add_u32_e32 v126, 8, v126
	s_or_b64 s[4:5], vcc, s[4:5]
	s_waitcnt vmcnt(0) lgkmcnt(0)
	v_fmac_f64_e32 v[108:109], v[128:129], v[130:131]
	s_andn2_b64 exec, exec, s[4:5]
	s_cbranch_execnz .LBB52_373
; %bb.374:
	s_or_b64 exec, exec, s[4:5]
.LBB52_375:
	s_or_b64 exec, exec, s[12:13]
	v_mov_b32_e32 v126, 0
	ds_read_b64 v[126:127], v126 offset:112
	s_waitcnt lgkmcnt(0)
	v_mul_f64 v[108:109], v[108:109], v[126:127]
	buffer_store_dword v109, off, s[0:3], 0 offset:116
	buffer_store_dword v108, off, s[0:3], 0 offset:112
.LBB52_376:
	;; [unrolled: 58-line block ×15, first 2 shown]
	s_or_b64 exec, exec, s[10:11]
	buffer_load_dword v108, off, s[0:3], 0
	buffer_load_dword v109, off, s[0:3], 0 offset:4
	v_cmp_ne_u32_e32 vcc, 0, v0
	s_waitcnt vmcnt(0)
	ds_write_b64 v110, v[108:109]
	s_waitcnt lgkmcnt(0)
	; wave barrier
	s_waitcnt lgkmcnt(0)
	s_and_saveexec_b64 s[6:7], vcc
	s_cbranch_execz .LBB52_516
; %bb.507:
	s_andn2_b64 vcc, exec, s[8:9]
	s_cbranch_vccnz .LBB52_509
; %bb.508:
	buffer_load_dword v108, v111, s[0:3], 0 offen
	buffer_load_dword v109, v111, s[0:3], 0 offen offset:4
	ds_read_b64 v[114:115], v110
	s_waitcnt vmcnt(0) lgkmcnt(0)
	v_mul_f64 v[108:109], v[108:109], v[114:115]
	s_cbranch_execz .LBB52_510
	s_branch .LBB52_511
.LBB52_509:
                                        ; implicit-def: $vgpr108_vgpr109
.LBB52_510:
	ds_read_b64 v[108:109], v110
.LBB52_511:
	s_and_saveexec_b64 s[10:11], s[4:5]
	s_cbranch_execz .LBB52_515
; %bb.512:
	v_add_u32_e32 v113, -1, v0
	s_movk_i32 s12, 0x1b8
	s_mov_b64 s[4:5], 0
.LBB52_513:                             ; =>This Inner Loop Header: Depth=1
	buffer_load_dword v114, v112, s[0:3], 0 offen
	buffer_load_dword v115, v112, s[0:3], 0 offen offset:4
	v_mov_b32_e32 v116, s12
	ds_read_b64 v[116:117], v116
	v_add_u32_e32 v113, -1, v113
	s_add_i32 s12, s12, 8
	v_cmp_eq_u32_e32 vcc, 0, v113
	v_add_u32_e32 v112, 8, v112
	s_or_b64 s[4:5], vcc, s[4:5]
	s_waitcnt vmcnt(0) lgkmcnt(0)
	v_fmac_f64_e32 v[108:109], v[114:115], v[116:117]
	s_andn2_b64 exec, exec, s[4:5]
	s_cbranch_execnz .LBB52_513
; %bb.514:
	s_or_b64 exec, exec, s[4:5]
.LBB52_515:
	s_or_b64 exec, exec, s[10:11]
	v_mov_b32_e32 v112, 0
	ds_read_b64 v[112:113], v112
	s_waitcnt lgkmcnt(0)
	v_mul_f64 v[108:109], v[108:109], v[112:113]
	buffer_store_dword v109, off, s[0:3], 0 offset:4
	buffer_store_dword v108, off, s[0:3], 0
.LBB52_516:
	s_or_b64 exec, exec, s[6:7]
	s_mov_b64 s[4:5], 0
.LBB52_517:
	s_and_b64 vcc, exec, s[4:5]
	s_cbranch_vccz .LBB52_1031
; %bb.518:
	buffer_load_dword v108, off, s[0:3], 0 offset:8
	buffer_load_dword v109, off, s[0:3], 0 offset:12
	v_cmp_eq_u32_e64 s[6:7], 0, v0
	s_waitcnt vmcnt(0)
	ds_write_b64 v110, v[108:109]
	s_waitcnt lgkmcnt(0)
	; wave barrier
	s_waitcnt lgkmcnt(0)
	s_and_saveexec_b64 s[4:5], s[6:7]
	s_cbranch_execz .LBB52_524
; %bb.519:
	s_and_b64 vcc, exec, s[8:9]
	s_cbranch_vccz .LBB52_521
; %bb.520:
	buffer_load_dword v108, v111, s[0:3], 0 offen
	buffer_load_dword v109, v111, s[0:3], 0 offen offset:4
	ds_read_b64 v[112:113], v110
	s_waitcnt vmcnt(0) lgkmcnt(0)
	v_mul_f64 v[108:109], v[108:109], v[112:113]
	s_cbranch_execz .LBB52_522
	s_branch .LBB52_523
.LBB52_521:
                                        ; implicit-def: $vgpr108_vgpr109
.LBB52_522:
	ds_read_b64 v[108:109], v110
.LBB52_523:
	v_mov_b32_e32 v112, 0
	ds_read_b64 v[112:113], v112 offset:8
	s_waitcnt lgkmcnt(0)
	v_mul_f64 v[108:109], v[108:109], v[112:113]
	buffer_store_dword v109, off, s[0:3], 0 offset:12
	buffer_store_dword v108, off, s[0:3], 0 offset:8
.LBB52_524:
	s_or_b64 exec, exec, s[4:5]
	buffer_load_dword v108, off, s[0:3], 0 offset:16
	buffer_load_dword v109, off, s[0:3], 0 offset:20
	v_cndmask_b32_e64 v112, 0, 1, s[8:9]
	v_cmp_gt_u32_e32 vcc, 2, v0
	v_cmp_ne_u32_e64 s[4:5], 1, v112
	s_waitcnt vmcnt(0)
	ds_write_b64 v110, v[108:109]
	s_waitcnt lgkmcnt(0)
	; wave barrier
	s_waitcnt lgkmcnt(0)
	s_and_saveexec_b64 s[8:9], vcc
	s_cbranch_execz .LBB52_532
; %bb.525:
	s_and_b64 vcc, exec, s[4:5]
	s_cbranch_vccnz .LBB52_527
; %bb.526:
	buffer_load_dword v108, v111, s[0:3], 0 offen
	buffer_load_dword v109, v111, s[0:3], 0 offen offset:4
	ds_read_b64 v[112:113], v110
	s_waitcnt vmcnt(0) lgkmcnt(0)
	v_mul_f64 v[108:109], v[108:109], v[112:113]
	s_cbranch_execz .LBB52_528
	s_branch .LBB52_529
.LBB52_527:
                                        ; implicit-def: $vgpr108_vgpr109
.LBB52_528:
	ds_read_b64 v[108:109], v110
.LBB52_529:
	s_and_saveexec_b64 s[10:11], s[6:7]
	s_cbranch_execz .LBB52_531
; %bb.530:
	buffer_load_dword v112, v111, s[0:3], 0 offen offset:8
	buffer_load_dword v113, v111, s[0:3], 0 offen offset:12
	ds_read_b64 v[114:115], v110 offset:8
	s_waitcnt vmcnt(0) lgkmcnt(0)
	v_fmac_f64_e32 v[108:109], v[112:113], v[114:115]
.LBB52_531:
	s_or_b64 exec, exec, s[10:11]
	v_mov_b32_e32 v112, 0
	ds_read_b64 v[112:113], v112 offset:16
	s_waitcnt lgkmcnt(0)
	v_mul_f64 v[108:109], v[108:109], v[112:113]
	buffer_store_dword v109, off, s[0:3], 0 offset:20
	buffer_store_dword v108, off, s[0:3], 0 offset:16
.LBB52_532:
	s_or_b64 exec, exec, s[8:9]
	buffer_load_dword v108, off, s[0:3], 0 offset:24
	buffer_load_dword v109, off, s[0:3], 0 offset:28
	v_cmp_gt_u32_e32 vcc, 3, v0
	s_waitcnt vmcnt(0)
	ds_write_b64 v110, v[108:109]
	s_waitcnt lgkmcnt(0)
	; wave barrier
	s_waitcnt lgkmcnt(0)
	s_and_saveexec_b64 s[8:9], vcc
	s_cbranch_execz .LBB52_540
; %bb.533:
	s_and_b64 vcc, exec, s[4:5]
	s_cbranch_vccnz .LBB52_535
; %bb.534:
	buffer_load_dword v108, v111, s[0:3], 0 offen
	buffer_load_dword v109, v111, s[0:3], 0 offen offset:4
	ds_read_b64 v[112:113], v110
	s_waitcnt vmcnt(0) lgkmcnt(0)
	v_mul_f64 v[108:109], v[108:109], v[112:113]
	s_cbranch_execz .LBB52_536
	s_branch .LBB52_537
.LBB52_535:
                                        ; implicit-def: $vgpr108_vgpr109
.LBB52_536:
	ds_read_b64 v[108:109], v110
.LBB52_537:
	v_cmp_ne_u32_e32 vcc, 2, v0
	s_and_saveexec_b64 s[10:11], vcc
	s_cbranch_execz .LBB52_539
; %bb.538:
	buffer_load_dword v113, v111, s[0:3], 0 offen offset:12
	buffer_load_dword v114, off, s[0:3], 0 offset:16
	buffer_load_dword v112, v111, s[0:3], 0 offen offset:8
	buffer_load_dword v115, off, s[0:3], 0 offset:20
	v_mov_b32_e32 v118, 0
	ds_read_b64 v[116:117], v110 offset:8
	ds_read_b64 v[118:119], v118 offset:448
	s_waitcnt vmcnt(1) lgkmcnt(1)
	v_fmac_f64_e32 v[108:109], v[112:113], v[116:117]
	s_waitcnt vmcnt(0) lgkmcnt(0)
	v_fma_f64 v[112:113], v[114:115], v[118:119], v[108:109]
	v_cndmask_b32_e64 v109, v109, v113, s[6:7]
	v_cndmask_b32_e64 v108, v108, v112, s[6:7]
.LBB52_539:
	s_or_b64 exec, exec, s[10:11]
	v_mov_b32_e32 v112, 0
	ds_read_b64 v[112:113], v112 offset:24
	s_waitcnt lgkmcnt(0)
	v_mul_f64 v[108:109], v[108:109], v[112:113]
	buffer_store_dword v109, off, s[0:3], 0 offset:28
	buffer_store_dword v108, off, s[0:3], 0 offset:24
.LBB52_540:
	s_or_b64 exec, exec, s[8:9]
	buffer_load_dword v108, off, s[0:3], 0 offset:32
	buffer_load_dword v109, off, s[0:3], 0 offset:36
	v_cmp_gt_u32_e32 vcc, 4, v0
	s_waitcnt vmcnt(0)
	ds_write_b64 v110, v[108:109]
	s_waitcnt lgkmcnt(0)
	; wave barrier
	s_waitcnt lgkmcnt(0)
	s_and_saveexec_b64 s[6:7], vcc
	s_cbranch_execz .LBB52_550
; %bb.541:
	s_and_b64 vcc, exec, s[4:5]
	s_cbranch_vccnz .LBB52_543
; %bb.542:
	buffer_load_dword v108, v111, s[0:3], 0 offen
	buffer_load_dword v109, v111, s[0:3], 0 offen offset:4
	ds_read_b64 v[112:113], v110
	s_waitcnt vmcnt(0) lgkmcnt(0)
	v_mul_f64 v[108:109], v[108:109], v[112:113]
	s_cbranch_execz .LBB52_544
	s_branch .LBB52_545
.LBB52_543:
                                        ; implicit-def: $vgpr108_vgpr109
.LBB52_544:
	ds_read_b64 v[108:109], v110
.LBB52_545:
	v_cmp_ne_u32_e32 vcc, 3, v0
	s_and_saveexec_b64 s[8:9], vcc
	s_cbranch_execz .LBB52_549
; %bb.546:
	v_mov_b32_e32 v113, 0
	v_add_u32_e32 v112, 0x1b8, v1
	v_add3_u32 v113, v1, v113, 8
	s_mov_b64 s[10:11], 0
	v_mov_b32_e32 v114, v0
.LBB52_547:                             ; =>This Inner Loop Header: Depth=1
	buffer_load_dword v116, v113, s[0:3], 0 offen
	buffer_load_dword v117, v113, s[0:3], 0 offen offset:4
	ds_read_b64 v[118:119], v112
	v_add_u32_e32 v114, 1, v114
	v_cmp_lt_u32_e32 vcc, 2, v114
	v_add_u32_e32 v112, 8, v112
	v_add_u32_e32 v113, 8, v113
	s_or_b64 s[10:11], vcc, s[10:11]
	s_waitcnt vmcnt(0) lgkmcnt(0)
	v_fmac_f64_e32 v[108:109], v[116:117], v[118:119]
	s_andn2_b64 exec, exec, s[10:11]
	s_cbranch_execnz .LBB52_547
; %bb.548:
	s_or_b64 exec, exec, s[10:11]
.LBB52_549:
	s_or_b64 exec, exec, s[8:9]
	v_mov_b32_e32 v112, 0
	ds_read_b64 v[112:113], v112 offset:32
	s_waitcnt lgkmcnt(0)
	v_mul_f64 v[108:109], v[108:109], v[112:113]
	buffer_store_dword v109, off, s[0:3], 0 offset:36
	buffer_store_dword v108, off, s[0:3], 0 offset:32
.LBB52_550:
	s_or_b64 exec, exec, s[6:7]
	buffer_load_dword v108, off, s[0:3], 0 offset:40
	buffer_load_dword v109, off, s[0:3], 0 offset:44
	v_cmp_gt_u32_e32 vcc, 5, v0
	s_waitcnt vmcnt(0)
	ds_write_b64 v110, v[108:109]
	s_waitcnt lgkmcnt(0)
	; wave barrier
	s_waitcnt lgkmcnt(0)
	s_and_saveexec_b64 s[6:7], vcc
	s_cbranch_execz .LBB52_560
; %bb.551:
	s_and_b64 vcc, exec, s[4:5]
	s_cbranch_vccnz .LBB52_553
; %bb.552:
	buffer_load_dword v108, v111, s[0:3], 0 offen
	buffer_load_dword v109, v111, s[0:3], 0 offen offset:4
	ds_read_b64 v[112:113], v110
	s_waitcnt vmcnt(0) lgkmcnt(0)
	v_mul_f64 v[108:109], v[108:109], v[112:113]
	s_cbranch_execz .LBB52_554
	s_branch .LBB52_555
.LBB52_553:
                                        ; implicit-def: $vgpr108_vgpr109
.LBB52_554:
	ds_read_b64 v[108:109], v110
.LBB52_555:
	v_cmp_ne_u32_e32 vcc, 4, v0
	s_and_saveexec_b64 s[8:9], vcc
	s_cbranch_execz .LBB52_559
; %bb.556:
	v_mov_b32_e32 v113, 0
	v_add_u32_e32 v112, 0x1b8, v1
	v_add3_u32 v113, v1, v113, 8
	s_mov_b64 s[10:11], 0
	v_mov_b32_e32 v114, v0
.LBB52_557:                             ; =>This Inner Loop Header: Depth=1
	buffer_load_dword v116, v113, s[0:3], 0 offen
	buffer_load_dword v117, v113, s[0:3], 0 offen offset:4
	ds_read_b64 v[118:119], v112
	v_add_u32_e32 v114, 1, v114
	v_cmp_lt_u32_e32 vcc, 3, v114
	v_add_u32_e32 v112, 8, v112
	v_add_u32_e32 v113, 8, v113
	s_or_b64 s[10:11], vcc, s[10:11]
	s_waitcnt vmcnt(0) lgkmcnt(0)
	v_fmac_f64_e32 v[108:109], v[116:117], v[118:119]
	s_andn2_b64 exec, exec, s[10:11]
	s_cbranch_execnz .LBB52_557
; %bb.558:
	s_or_b64 exec, exec, s[10:11]
.LBB52_559:
	s_or_b64 exec, exec, s[8:9]
	v_mov_b32_e32 v112, 0
	ds_read_b64 v[112:113], v112 offset:40
	s_waitcnt lgkmcnt(0)
	v_mul_f64 v[108:109], v[108:109], v[112:113]
	buffer_store_dword v109, off, s[0:3], 0 offset:44
	buffer_store_dword v108, off, s[0:3], 0 offset:40
.LBB52_560:
	;; [unrolled: 60-line block ×46, first 2 shown]
	s_or_b64 exec, exec, s[6:7]
	buffer_load_dword v108, off, s[0:3], 0 offset:400
	buffer_load_dword v109, off, s[0:3], 0 offset:404
	v_cmp_gt_u32_e32 vcc, 50, v0
	s_waitcnt vmcnt(0)
	ds_write_b64 v110, v[108:109]
	s_waitcnt lgkmcnt(0)
	; wave barrier
	s_waitcnt lgkmcnt(0)
	s_and_saveexec_b64 s[6:7], vcc
	s_cbranch_execz .LBB52_1010
; %bb.1001:
	s_and_b64 vcc, exec, s[4:5]
	s_cbranch_vccnz .LBB52_1003
; %bb.1002:
	buffer_load_dword v108, v111, s[0:3], 0 offen
	buffer_load_dword v109, v111, s[0:3], 0 offen offset:4
	ds_read_b64 v[112:113], v110
	s_waitcnt vmcnt(0) lgkmcnt(0)
	v_mul_f64 v[108:109], v[108:109], v[112:113]
	s_cbranch_execz .LBB52_1004
	s_branch .LBB52_1005
.LBB52_1003:
                                        ; implicit-def: $vgpr108_vgpr109
.LBB52_1004:
	ds_read_b64 v[108:109], v110
.LBB52_1005:
	v_cmp_ne_u32_e32 vcc, 49, v0
	s_and_saveexec_b64 s[8:9], vcc
	s_cbranch_execz .LBB52_1009
; %bb.1006:
	v_mov_b32_e32 v113, 0
	v_add_u32_e32 v112, 0x1b8, v1
	v_add3_u32 v113, v1, v113, 8
	s_mov_b64 s[10:11], 0
	v_mov_b32_e32 v114, v0
.LBB52_1007:                            ; =>This Inner Loop Header: Depth=1
	buffer_load_dword v116, v113, s[0:3], 0 offen
	buffer_load_dword v117, v113, s[0:3], 0 offen offset:4
	ds_read_b64 v[118:119], v112
	v_add_u32_e32 v114, 1, v114
	v_cmp_lt_u32_e32 vcc, 48, v114
	v_add_u32_e32 v112, 8, v112
	v_add_u32_e32 v113, 8, v113
	s_or_b64 s[10:11], vcc, s[10:11]
	s_waitcnt vmcnt(0) lgkmcnt(0)
	v_fmac_f64_e32 v[108:109], v[116:117], v[118:119]
	s_andn2_b64 exec, exec, s[10:11]
	s_cbranch_execnz .LBB52_1007
; %bb.1008:
	s_or_b64 exec, exec, s[10:11]
.LBB52_1009:
	s_or_b64 exec, exec, s[8:9]
	v_mov_b32_e32 v112, 0
	ds_read_b64 v[112:113], v112 offset:400
	s_waitcnt lgkmcnt(0)
	v_mul_f64 v[108:109], v[108:109], v[112:113]
	buffer_store_dword v109, off, s[0:3], 0 offset:404
	buffer_store_dword v108, off, s[0:3], 0 offset:400
.LBB52_1010:
	s_or_b64 exec, exec, s[6:7]
	buffer_load_dword v108, off, s[0:3], 0 offset:408
	buffer_load_dword v109, off, s[0:3], 0 offset:412
	v_cmp_gt_u32_e64 s[6:7], 51, v0
	s_waitcnt vmcnt(0)
	ds_write_b64 v110, v[108:109]
	s_waitcnt lgkmcnt(0)
	; wave barrier
	s_waitcnt lgkmcnt(0)
	s_and_saveexec_b64 s[8:9], s[6:7]
	s_cbranch_execz .LBB52_1020
; %bb.1011:
	s_and_b64 vcc, exec, s[4:5]
	s_cbranch_vccnz .LBB52_1013
; %bb.1012:
	buffer_load_dword v108, v111, s[0:3], 0 offen
	buffer_load_dword v109, v111, s[0:3], 0 offen offset:4
	ds_read_b64 v[112:113], v110
	s_waitcnt vmcnt(0) lgkmcnt(0)
	v_mul_f64 v[108:109], v[108:109], v[112:113]
	s_cbranch_execz .LBB52_1014
	s_branch .LBB52_1015
.LBB52_1013:
                                        ; implicit-def: $vgpr108_vgpr109
.LBB52_1014:
	ds_read_b64 v[108:109], v110
.LBB52_1015:
	v_cmp_ne_u32_e32 vcc, 50, v0
	s_and_saveexec_b64 s[10:11], vcc
	s_cbranch_execz .LBB52_1019
; %bb.1016:
	v_mov_b32_e32 v113, 0
	v_add_u32_e32 v112, 0x1b8, v1
	v_add3_u32 v113, v1, v113, 8
	s_mov_b64 s[12:13], 0
	v_mov_b32_e32 v114, v0
.LBB52_1017:                            ; =>This Inner Loop Header: Depth=1
	buffer_load_dword v116, v113, s[0:3], 0 offen
	buffer_load_dword v117, v113, s[0:3], 0 offen offset:4
	ds_read_b64 v[118:119], v112
	v_add_u32_e32 v114, 1, v114
	v_cmp_lt_u32_e32 vcc, 49, v114
	v_add_u32_e32 v112, 8, v112
	v_add_u32_e32 v113, 8, v113
	s_or_b64 s[12:13], vcc, s[12:13]
	s_waitcnt vmcnt(0) lgkmcnt(0)
	v_fmac_f64_e32 v[108:109], v[116:117], v[118:119]
	s_andn2_b64 exec, exec, s[12:13]
	s_cbranch_execnz .LBB52_1017
; %bb.1018:
	s_or_b64 exec, exec, s[12:13]
.LBB52_1019:
	s_or_b64 exec, exec, s[10:11]
	v_mov_b32_e32 v112, 0
	ds_read_b64 v[112:113], v112 offset:408
	s_waitcnt lgkmcnt(0)
	v_mul_f64 v[108:109], v[108:109], v[112:113]
	buffer_store_dword v109, off, s[0:3], 0 offset:412
	buffer_store_dword v108, off, s[0:3], 0 offset:408
.LBB52_1020:
	s_or_b64 exec, exec, s[8:9]
	buffer_load_dword v108, off, s[0:3], 0 offset:416
	buffer_load_dword v109, off, s[0:3], 0 offset:420
	v_cmp_ne_u32_e32 vcc, 52, v0
	s_waitcnt vmcnt(0)
	ds_write_b64 v110, v[108:109]
	s_waitcnt lgkmcnt(0)
	; wave barrier
	s_waitcnt lgkmcnt(0)
	s_and_saveexec_b64 s[8:9], vcc
	s_cbranch_execz .LBB52_1030
; %bb.1021:
	s_and_b64 vcc, exec, s[4:5]
	s_cbranch_vccnz .LBB52_1023
; %bb.1022:
	buffer_load_dword v108, v111, s[0:3], 0 offen
	buffer_load_dword v109, v111, s[0:3], 0 offen offset:4
	ds_read_b64 v[112:113], v110
	s_waitcnt vmcnt(0) lgkmcnt(0)
	v_mul_f64 v[108:109], v[108:109], v[112:113]
	s_cbranch_execz .LBB52_1024
	s_branch .LBB52_1025
.LBB52_1023:
                                        ; implicit-def: $vgpr108_vgpr109
.LBB52_1024:
	ds_read_b64 v[108:109], v110
.LBB52_1025:
	s_and_saveexec_b64 s[4:5], s[6:7]
	s_cbranch_execz .LBB52_1029
; %bb.1026:
	v_mov_b32_e32 v111, 0
	v_add_u32_e32 v110, 0x1b8, v1
	v_add3_u32 v1, v1, v111, 8
	s_mov_b64 s[6:7], 0
.LBB52_1027:                            ; =>This Inner Loop Header: Depth=1
	buffer_load_dword v112, v1, s[0:3], 0 offen
	buffer_load_dword v113, v1, s[0:3], 0 offen offset:4
	ds_read_b64 v[114:115], v110
	v_add_u32_e32 v0, 1, v0
	v_cmp_lt_u32_e32 vcc, 50, v0
	v_add_u32_e32 v110, 8, v110
	v_add_u32_e32 v1, 8, v1
	s_or_b64 s[6:7], vcc, s[6:7]
	s_waitcnt vmcnt(0) lgkmcnt(0)
	v_fmac_f64_e32 v[108:109], v[112:113], v[114:115]
	s_andn2_b64 exec, exec, s[6:7]
	s_cbranch_execnz .LBB52_1027
; %bb.1028:
	s_or_b64 exec, exec, s[6:7]
.LBB52_1029:
	s_or_b64 exec, exec, s[4:5]
	v_mov_b32_e32 v0, 0
	ds_read_b64 v[0:1], v0 offset:416
	s_waitcnt lgkmcnt(0)
	v_mul_f64 v[0:1], v[108:109], v[0:1]
	buffer_store_dword v1, off, s[0:3], 0 offset:420
	buffer_store_dword v0, off, s[0:3], 0 offset:416
.LBB52_1030:
	s_or_b64 exec, exec, s[8:9]
.LBB52_1031:
	buffer_load_dword v0, off, s[0:3], 0
	buffer_load_dword v1, off, s[0:3], 0 offset:4
	buffer_load_dword v108, off, s[0:3], 0 offset:8
	;; [unrolled: 1-line block ×105, first 2 shown]
	s_waitcnt vmcnt(62)
	global_store_dwordx2 v[96:97], v[0:1], off
	global_store_dwordx2 v[100:101], v[108:109], off
	global_store_dwordx2 v[2:3], v[110:111], off
	global_store_dwordx2 v[4:5], v[112:113], off
	global_store_dwordx2 v[6:7], v[114:115], off
	global_store_dwordx2 v[8:9], v[116:117], off
	global_store_dwordx2 v[10:11], v[118:119], off
	global_store_dwordx2 v[12:13], v[120:121], off
	global_store_dwordx2 v[14:15], v[128:129], off
	global_store_dwordx2 v[16:17], v[122:123], off
	global_store_dwordx2 v[18:19], v[124:125], off
	global_store_dwordx2 v[20:21], v[126:127], off
	global_store_dwordx2 v[22:23], v[130:131], off
	global_store_dwordx2 v[24:25], v[132:133], off
	global_store_dwordx2 v[26:27], v[134:135], off
	global_store_dwordx2 v[28:29], v[136:137], off
	global_store_dwordx2 v[30:31], v[138:139], off
	global_store_dwordx2 v[32:33], v[140:141], off
	global_store_dwordx2 v[34:35], v[142:143], off
	global_store_dwordx2 v[36:37], v[144:145], off
	global_store_dwordx2 v[38:39], v[146:147], off
	global_store_dwordx2 v[40:41], v[148:149], off
	s_waitcnt vmcnt(62)
	global_store_dwordx2 v[42:43], v[150:151], off
	global_store_dwordx2 v[44:45], v[152:153], off
	;; [unrolled: 1-line block ×11, first 2 shown]
	s_waitcnt vmcnt(62)
	global_store_dwordx2 v[64:65], v[172:173], off
	global_store_dwordx2 v[66:67], v[174:175], off
	;; [unrolled: 1-line block ×5, first 2 shown]
	s_waitcnt vmcnt(62)
	global_store_dwordx2 v[74:75], v[182:183], off
	global_store_dwordx2 v[76:77], v[184:185], off
	;; [unrolled: 1-line block ×3, first 2 shown]
	s_waitcnt vmcnt(62)
	global_store_dwordx2 v[80:81], v[188:189], off
	s_waitcnt vmcnt(62)
	global_store_dwordx2 v[82:83], v[190:191], off
	;; [unrolled: 2-line block ×12, first 2 shown]
.LBB52_1032:
	s_endpgm
	.section	.rodata,"a",@progbits
	.p2align	6, 0x0
	.amdhsa_kernel _ZN9rocsolver6v33100L18trti2_kernel_smallILi53EdPdEEv13rocblas_fill_17rocblas_diagonal_T1_iil
		.amdhsa_group_segment_fixed_size 856
		.amdhsa_private_segment_fixed_size 432
		.amdhsa_kernarg_size 32
		.amdhsa_user_sgpr_count 8
		.amdhsa_user_sgpr_private_segment_buffer 1
		.amdhsa_user_sgpr_dispatch_ptr 0
		.amdhsa_user_sgpr_queue_ptr 0
		.amdhsa_user_sgpr_kernarg_segment_ptr 1
		.amdhsa_user_sgpr_dispatch_id 0
		.amdhsa_user_sgpr_flat_scratch_init 1
		.amdhsa_user_sgpr_kernarg_preload_length 0
		.amdhsa_user_sgpr_kernarg_preload_offset 0
		.amdhsa_user_sgpr_private_segment_size 0
		.amdhsa_uses_dynamic_stack 0
		.amdhsa_system_sgpr_private_segment_wavefront_offset 1
		.amdhsa_system_sgpr_workgroup_id_x 1
		.amdhsa_system_sgpr_workgroup_id_y 0
		.amdhsa_system_sgpr_workgroup_id_z 0
		.amdhsa_system_sgpr_workgroup_info 0
		.amdhsa_system_vgpr_workitem_id 0
		.amdhsa_next_free_vgpr 212
		.amdhsa_next_free_sgpr 20
		.amdhsa_accum_offset 212
		.amdhsa_reserve_vcc 1
		.amdhsa_reserve_flat_scratch 0
		.amdhsa_float_round_mode_32 0
		.amdhsa_float_round_mode_16_64 0
		.amdhsa_float_denorm_mode_32 3
		.amdhsa_float_denorm_mode_16_64 3
		.amdhsa_dx10_clamp 1
		.amdhsa_ieee_mode 1
		.amdhsa_fp16_overflow 0
		.amdhsa_tg_split 0
		.amdhsa_exception_fp_ieee_invalid_op 0
		.amdhsa_exception_fp_denorm_src 0
		.amdhsa_exception_fp_ieee_div_zero 0
		.amdhsa_exception_fp_ieee_overflow 0
		.amdhsa_exception_fp_ieee_underflow 0
		.amdhsa_exception_fp_ieee_inexact 0
		.amdhsa_exception_int_div_zero 0
	.end_amdhsa_kernel
	.section	.text._ZN9rocsolver6v33100L18trti2_kernel_smallILi53EdPdEEv13rocblas_fill_17rocblas_diagonal_T1_iil,"axG",@progbits,_ZN9rocsolver6v33100L18trti2_kernel_smallILi53EdPdEEv13rocblas_fill_17rocblas_diagonal_T1_iil,comdat
.Lfunc_end52:
	.size	_ZN9rocsolver6v33100L18trti2_kernel_smallILi53EdPdEEv13rocblas_fill_17rocblas_diagonal_T1_iil, .Lfunc_end52-_ZN9rocsolver6v33100L18trti2_kernel_smallILi53EdPdEEv13rocblas_fill_17rocblas_diagonal_T1_iil
                                        ; -- End function
	.section	.AMDGPU.csdata,"",@progbits
; Kernel info:
; codeLenInByte = 30756
; NumSgprs: 24
; NumVgprs: 212
; NumAgprs: 0
; TotalNumVgprs: 212
; ScratchSize: 432
; MemoryBound: 0
; FloatMode: 240
; IeeeMode: 1
; LDSByteSize: 856 bytes/workgroup (compile time only)
; SGPRBlocks: 2
; VGPRBlocks: 26
; NumSGPRsForWavesPerEU: 24
; NumVGPRsForWavesPerEU: 212
; AccumOffset: 212
; Occupancy: 2
; WaveLimiterHint : 0
; COMPUTE_PGM_RSRC2:SCRATCH_EN: 1
; COMPUTE_PGM_RSRC2:USER_SGPR: 8
; COMPUTE_PGM_RSRC2:TRAP_HANDLER: 0
; COMPUTE_PGM_RSRC2:TGID_X_EN: 1
; COMPUTE_PGM_RSRC2:TGID_Y_EN: 0
; COMPUTE_PGM_RSRC2:TGID_Z_EN: 0
; COMPUTE_PGM_RSRC2:TIDIG_COMP_CNT: 0
; COMPUTE_PGM_RSRC3_GFX90A:ACCUM_OFFSET: 52
; COMPUTE_PGM_RSRC3_GFX90A:TG_SPLIT: 0
	.section	.text._ZN9rocsolver6v33100L18trti2_kernel_smallILi54EdPdEEv13rocblas_fill_17rocblas_diagonal_T1_iil,"axG",@progbits,_ZN9rocsolver6v33100L18trti2_kernel_smallILi54EdPdEEv13rocblas_fill_17rocblas_diagonal_T1_iil,comdat
	.globl	_ZN9rocsolver6v33100L18trti2_kernel_smallILi54EdPdEEv13rocblas_fill_17rocblas_diagonal_T1_iil ; -- Begin function _ZN9rocsolver6v33100L18trti2_kernel_smallILi54EdPdEEv13rocblas_fill_17rocblas_diagonal_T1_iil
	.p2align	8
	.type	_ZN9rocsolver6v33100L18trti2_kernel_smallILi54EdPdEEv13rocblas_fill_17rocblas_diagonal_T1_iil,@function
_ZN9rocsolver6v33100L18trti2_kernel_smallILi54EdPdEEv13rocblas_fill_17rocblas_diagonal_T1_iil: ; @_ZN9rocsolver6v33100L18trti2_kernel_smallILi54EdPdEEv13rocblas_fill_17rocblas_diagonal_T1_iil
; %bb.0:
	s_add_u32 s0, s0, s9
	s_addc_u32 s1, s1, 0
	v_cmp_gt_u32_e32 vcc, 54, v0
	s_and_saveexec_b64 s[6:7], vcc
	s_cbranch_execz .LBB53_1052
; %bb.1:
	s_load_dwordx8 s[12:19], s[4:5], 0x0
	s_ashr_i32 s6, s8, 31
	s_waitcnt lgkmcnt(0)
	s_mul_i32 s7, s8, s19
	s_mul_hi_u32 s9, s8, s18
	s_add_i32 s7, s9, s7
	s_mul_i32 s6, s6, s18
	s_add_i32 s7, s7, s6
	s_mul_i32 s6, s8, s18
	s_ashr_i32 s5, s16, 31
	s_lshl_b64 s[6:7], s[6:7], 3
	s_mov_b32 s4, s16
	s_add_u32 s6, s14, s6
	s_addc_u32 s7, s15, s7
	s_lshl_b64 s[4:5], s[4:5], 3
	s_add_u32 s4, s6, s4
	s_addc_u32 s5, s7, s5
	s_add_i32 s6, s17, s17
	v_add_u32_e32 v4, s6, v0
	v_ashrrev_i32_e32 v5, 31, v4
	v_lshlrev_b64 v[2:3], 3, v[4:5]
	v_add_u32_e32 v6, s17, v4
	v_mov_b32_e32 v1, s5
	v_add_co_u32_e32 v2, vcc, s4, v2
	v_ashrrev_i32_e32 v7, 31, v6
	v_addc_co_u32_e32 v3, vcc, v1, v3, vcc
	v_lshlrev_b64 v[4:5], 3, v[6:7]
	v_add_u32_e32 v8, s17, v6
	v_add_co_u32_e32 v4, vcc, s4, v4
	v_ashrrev_i32_e32 v9, 31, v8
	v_addc_co_u32_e32 v5, vcc, v1, v5, vcc
	v_lshlrev_b64 v[6:7], 3, v[8:9]
	v_add_u32_e32 v10, s17, v8
	;; [unrolled: 5-line block ×44, first 2 shown]
	v_add_co_u32_e32 v90, vcc, s4, v90
	v_ashrrev_i32_e32 v95, 31, v94
	v_addc_co_u32_e32 v91, vcc, v1, v91, vcc
	v_lshlrev_b64 v[92:93], 3, v[94:95]
	v_add_co_u32_e32 v92, vcc, s4, v92
	v_addc_co_u32_e32 v93, vcc, v1, v93, vcc
	v_lshlrev_b32_e32 v1, 3, v0
	global_load_dwordx2 v[110:111], v1, s[4:5]
	global_load_dwordx2 v[114:115], v[2:3], off
	global_load_dwordx2 v[116:117], v[4:5], off
	;; [unrolled: 1-line block ×3, first 2 shown]
	v_mov_b32_e32 v95, s5
	v_add_co_u32_e32 v100, vcc, s4, v1
	s_ashr_i32 s7, s17, 31
	s_mov_b32 s6, s17
	v_addc_co_u32_e32 v101, vcc, 0, v95, vcc
	s_lshl_b64 s[6:7], s[6:7], 3
	v_mov_b32_e32 v95, s7
	v_add_co_u32_e32 v102, vcc, s6, v100
	v_addc_co_u32_e32 v103, vcc, v101, v95, vcc
	global_load_dwordx2 v[112:113], v[102:103], off
	global_load_dwordx2 v[120:121], v[8:9], off
	;; [unrolled: 1-line block ×3, first 2 shown]
	v_add_u32_e32 v96, s17, v94
	v_ashrrev_i32_e32 v97, 31, v96
	v_lshlrev_b64 v[94:95], 3, v[96:97]
	v_mov_b32_e32 v98, s5
	v_add_co_u32_e32 v94, vcc, s4, v94
	global_load_dwordx2 v[124:125], v[12:13], off
	global_load_dwordx2 v[126:127], v[14:15], off
	;; [unrolled: 1-line block ×4, first 2 shown]
	v_addc_co_u32_e32 v95, vcc, v98, v95, vcc
	v_add_u32_e32 v98, s17, v96
	v_ashrrev_i32_e32 v99, 31, v98
	v_lshlrev_b64 v[96:97], 3, v[98:99]
	v_mov_b32_e32 v104, s5
	v_add_co_u32_e32 v96, vcc, s4, v96
	v_addc_co_u32_e32 v97, vcc, v104, v97, vcc
	v_add_u32_e32 v104, s17, v98
	v_ashrrev_i32_e32 v105, 31, v104
	v_lshlrev_b64 v[98:99], 3, v[104:105]
	v_mov_b32_e32 v106, s5
	v_add_co_u32_e32 v98, vcc, s4, v98
	v_addc_co_u32_e32 v99, vcc, v106, v99, vcc
	v_add_u32_e32 v106, s17, v104
	v_ashrrev_i32_e32 v107, 31, v106
	v_lshlrev_b64 v[104:105], 3, v[106:107]
	v_mov_b32_e32 v108, s5
	v_add_co_u32_e32 v104, vcc, s4, v104
	v_addc_co_u32_e32 v105, vcc, v108, v105, vcc
	v_add_u32_e32 v108, s17, v106
	v_ashrrev_i32_e32 v109, 31, v108
	v_lshlrev_b64 v[106:107], 3, v[108:109]
	v_add_u32_e32 v108, s17, v108
	global_load_dwordx2 v[132:133], v[20:21], off
	global_load_dwordx2 v[134:135], v[22:23], off
	;; [unrolled: 1-line block ×3, first 2 shown]
	v_mov_b32_e32 v146, s5
	v_add_co_u32_e32 v106, vcc, s4, v106
	v_ashrrev_i32_e32 v109, 31, v108
	v_addc_co_u32_e32 v107, vcc, v146, v107, vcc
	v_lshlrev_b64 v[108:109], 3, v[108:109]
	v_mov_b32_e32 v162, s5
	v_add_co_u32_e32 v108, vcc, s4, v108
	global_load_dwordx2 v[138:139], v[26:27], off
	global_load_dwordx2 v[140:141], v[28:29], off
	;; [unrolled: 1-line block ×12, first 2 shown]
	v_addc_co_u32_e32 v109, vcc, v162, v109, vcc
	global_load_dwordx2 v[162:163], v[50:51], off
	global_load_dwordx2 v[164:165], v[108:109], off
	;; [unrolled: 1-line block ×16, first 2 shown]
	s_cmpk_lg_i32 s13, 0x84
	s_waitcnt vmcnt(41)
	buffer_store_dword v111, off, s[0:3], 0 offset:4
	buffer_store_dword v110, off, s[0:3], 0
	global_load_dwordx2 v[110:111], v[56:57], off
	s_cselect_b64 s[8:9], -1, 0
	s_waitcnt vmcnt(40)
	buffer_store_dword v113, off, s[0:3], 0 offset:12
	buffer_store_dword v112, off, s[0:3], 0 offset:8
	global_load_dwordx2 v[112:113], v[60:61], off
	s_cmpk_eq_i32 s13, 0x84
	buffer_store_dword v115, off, s[0:3], 0 offset:20
	buffer_store_dword v114, off, s[0:3], 0 offset:16
	global_load_dwordx2 v[114:115], v[64:65], off
	s_nop 0
	buffer_store_dword v117, off, s[0:3], 0 offset:28
	buffer_store_dword v116, off, s[0:3], 0 offset:24
	global_load_dwordx2 v[116:117], v[68:69], off
	s_nop 0
	buffer_store_dword v119, off, s[0:3], 0 offset:36
	buffer_store_dword v118, off, s[0:3], 0 offset:32
	global_load_dwordx2 v[118:119], v[72:73], off
	s_waitcnt vmcnt(51)
	buffer_store_dword v121, off, s[0:3], 0 offset:44
	buffer_store_dword v120, off, s[0:3], 0 offset:40
	global_load_dwordx2 v[120:121], v[76:77], off
	s_waitcnt vmcnt(53)
	buffer_store_dword v123, off, s[0:3], 0 offset:52
	buffer_store_dword v122, off, s[0:3], 0 offset:48
	global_load_dwordx2 v[122:123], v[80:81], off
	s_waitcnt vmcnt(55)
	buffer_store_dword v125, off, s[0:3], 0 offset:60
	buffer_store_dword v124, off, s[0:3], 0 offset:56
	global_load_dwordx2 v[124:125], v[84:85], off
	s_waitcnt vmcnt(57)
	buffer_store_dword v127, off, s[0:3], 0 offset:68
	buffer_store_dword v126, off, s[0:3], 0 offset:64
	global_load_dwordx2 v[126:127], v[88:89], off
	s_waitcnt vmcnt(59)
	buffer_store_dword v128, off, s[0:3], 0 offset:72
	buffer_store_dword v129, off, s[0:3], 0 offset:76
	global_load_dwordx2 v[128:129], v[92:93], off
	s_waitcnt vmcnt(61)
	buffer_store_dword v130, off, s[0:3], 0 offset:80
	buffer_store_dword v131, off, s[0:3], 0 offset:84
	global_load_dwordx2 v[130:131], v[96:97], off
	s_waitcnt vmcnt(62)
	buffer_store_dword v132, off, s[0:3], 0 offset:88
	buffer_store_dword v133, off, s[0:3], 0 offset:92
	global_load_dwordx2 v[132:133], v[104:105], off
	s_nop 0
	buffer_store_dword v134, off, s[0:3], 0 offset:96
	buffer_store_dword v135, off, s[0:3], 0 offset:100
	s_waitcnt vmcnt(62)
	buffer_store_dword v136, off, s[0:3], 0 offset:104
	buffer_store_dword v137, off, s[0:3], 0 offset:108
	;; [unrolled: 1-line block ×10, first 2 shown]
	s_waitcnt vmcnt(62)
	buffer_store_dword v146, off, s[0:3], 0 offset:144
	buffer_store_dword v147, off, s[0:3], 0 offset:148
	;; [unrolled: 1-line block ×18, first 2 shown]
	s_waitcnt vmcnt(62)
	buffer_store_dword v166, off, s[0:3], 0 offset:216
	buffer_store_dword v167, off, s[0:3], 0 offset:220
	;; [unrolled: 1-line block ×8, first 2 shown]
	s_waitcnt vmcnt(62)
	buffer_store_dword v113, off, s[0:3], 0 offset:252
	buffer_store_dword v112, off, s[0:3], 0 offset:248
	;; [unrolled: 1-line block ×12, first 2 shown]
	s_waitcnt vmcnt(62)
	buffer_store_dword v119, off, s[0:3], 0 offset:300
	buffer_store_dword v118, off, s[0:3], 0 offset:296
	;; [unrolled: 1-line block ×16, first 2 shown]
	s_waitcnt vmcnt(62)
	buffer_store_dword v126, off, s[0:3], 0 offset:360
	buffer_store_dword v127, off, s[0:3], 0 offset:364
	;; [unrolled: 1-line block ×18, first 2 shown]
	v_mov_b32_e32 v110, 0
	v_mov_b32_e32 v164, 0
	;; [unrolled: 1-line block ×3, first 2 shown]
	s_cbranch_scc1 .LBB53_3
; %bb.2:
	v_lshl_add_u32 v120, v0, 3, v164
	buffer_load_dword v110, v120, s[0:3], 0 offen
	buffer_load_dword v111, v120, s[0:3], 0 offen offset:4
	s_waitcnt vmcnt(0)
	v_div_scale_f64 v[112:113], s[4:5], v[110:111], v[110:111], 1.0
	v_rcp_f64_e32 v[114:115], v[112:113]
	v_div_scale_f64 v[116:117], vcc, 1.0, v[110:111], 1.0
	v_fma_f64 v[118:119], -v[112:113], v[114:115], 1.0
	v_fmac_f64_e32 v[114:115], v[114:115], v[118:119]
	v_fma_f64 v[118:119], -v[112:113], v[114:115], 1.0
	v_fmac_f64_e32 v[114:115], v[114:115], v[118:119]
	v_mul_f64 v[118:119], v[116:117], v[114:115]
	v_fma_f64 v[112:113], -v[112:113], v[118:119], v[116:117]
	v_div_fmas_f64 v[112:113], v[112:113], v[114:115], v[118:119]
	v_div_fixup_f64 v[110:111], v[112:113], v[110:111], 1.0
	buffer_store_dword v110, v120, s[0:3], 0 offen
	buffer_store_dword v111, v120, s[0:3], 0 offen offset:4
	v_xor_b32_e32 v111, 0x80000000, v111
.LBB53_3:
	s_cmpk_eq_i32 s12, 0x79
	v_add_u32_e32 v112, 0x1b0, v1
	v_add_u32_e32 v113, 0, v1
	s_mov_b64 s[4:5], -1
	ds_write_b64 v1, v[110:111]
	s_cbranch_scc1 .LBB53_527
; %bb.4:
	buffer_load_dword v110, off, s[0:3], 0 offset:416
	buffer_load_dword v111, off, s[0:3], 0 offset:420
	v_cmp_eq_u32_e64 s[4:5], 53, v0
	s_waitcnt vmcnt(0)
	ds_write_b64 v112, v[110:111]
	s_waitcnt lgkmcnt(0)
	; wave barrier
	s_waitcnt lgkmcnt(0)
	s_and_saveexec_b64 s[6:7], s[4:5]
	s_cbranch_execz .LBB53_10
; %bb.5:
	s_and_b64 vcc, exec, s[8:9]
	s_cbranch_vccz .LBB53_7
; %bb.6:
	buffer_load_dword v110, v113, s[0:3], 0 offen
	buffer_load_dword v111, v113, s[0:3], 0 offen offset:4
	ds_read_b64 v[114:115], v112
	s_waitcnt vmcnt(0) lgkmcnt(0)
	v_mul_f64 v[110:111], v[110:111], v[114:115]
	s_cbranch_execz .LBB53_8
	s_branch .LBB53_9
.LBB53_7:
                                        ; implicit-def: $vgpr110_vgpr111
.LBB53_8:
	ds_read_b64 v[110:111], v112
.LBB53_9:
	v_mov_b32_e32 v114, 0
	ds_read_b64 v[114:115], v114 offset:416
	s_waitcnt lgkmcnt(0)
	v_mul_f64 v[110:111], v[110:111], v[114:115]
	buffer_store_dword v111, off, s[0:3], 0 offset:420
	buffer_store_dword v110, off, s[0:3], 0 offset:416
.LBB53_10:
	s_or_b64 exec, exec, s[6:7]
	buffer_load_dword v110, off, s[0:3], 0 offset:408
	buffer_load_dword v111, off, s[0:3], 0 offset:412
	v_or_b32_e32 v114, 8, v164
	v_add_u32_e32 v115, 16, v164
	v_add_u32_e32 v116, 24, v164
	;; [unrolled: 1-line block ×50, first 2 shown]
	v_cmp_lt_u32_e64 s[6:7], 51, v0
	s_waitcnt vmcnt(0)
	ds_write_b64 v112, v[110:111]
	s_waitcnt lgkmcnt(0)
	; wave barrier
	s_waitcnt lgkmcnt(0)
	s_and_saveexec_b64 s[10:11], s[6:7]
	s_cbranch_execz .LBB53_16
; %bb.11:
	s_andn2_b64 vcc, exec, s[8:9]
	s_cbranch_vccnz .LBB53_13
; %bb.12:
	buffer_load_dword v110, v113, s[0:3], 0 offen
	buffer_load_dword v111, v113, s[0:3], 0 offen offset:4
	ds_read_b64 v[166:167], v112
	s_waitcnt vmcnt(0) lgkmcnt(0)
	v_mul_f64 v[110:111], v[110:111], v[166:167]
	s_cbranch_execz .LBB53_14
	s_branch .LBB53_15
.LBB53_13:
                                        ; implicit-def: $vgpr110_vgpr111
.LBB53_14:
	ds_read_b64 v[110:111], v112
.LBB53_15:
	buffer_load_dword v170, off, s[0:3], 0 offset:416
	buffer_load_dword v171, off, s[0:3], 0 offset:420
	v_mov_b32_e32 v165, 0
	ds_read2_b64 v[166:169], v165 offset0:51 offset1:106
	s_waitcnt vmcnt(0) lgkmcnt(0)
	v_fma_f64 v[168:169], v[170:171], v[168:169], v[110:111]
	v_cndmask_b32_e64 v111, v111, v169, s[4:5]
	v_cndmask_b32_e64 v110, v110, v168, s[4:5]
	v_mul_f64 v[110:111], v[110:111], v[166:167]
	buffer_store_dword v111, off, s[0:3], 0 offset:412
	buffer_store_dword v110, off, s[0:3], 0 offset:408
.LBB53_16:
	s_or_b64 exec, exec, s[10:11]
	buffer_load_dword v110, off, s[0:3], 0 offset:400
	buffer_load_dword v111, off, s[0:3], 0 offset:404
	v_cmp_lt_u32_e64 s[4:5], 50, v0
	s_waitcnt vmcnt(0)
	ds_write_b64 v112, v[110:111]
	s_waitcnt lgkmcnt(0)
	; wave barrier
	s_waitcnt lgkmcnt(0)
	s_and_saveexec_b64 s[10:11], s[4:5]
	s_cbranch_execz .LBB53_26
; %bb.17:
	s_andn2_b64 vcc, exec, s[8:9]
	s_cbranch_vccnz .LBB53_19
; %bb.18:
	buffer_load_dword v110, v113, s[0:3], 0 offen
	buffer_load_dword v111, v113, s[0:3], 0 offen offset:4
	ds_read_b64 v[166:167], v112
	s_waitcnt vmcnt(0) lgkmcnt(0)
	v_mul_f64 v[110:111], v[110:111], v[166:167]
	s_cbranch_execz .LBB53_20
	s_branch .LBB53_21
.LBB53_19:
                                        ; implicit-def: $vgpr110_vgpr111
.LBB53_20:
	ds_read_b64 v[110:111], v112
.LBB53_21:
	s_and_saveexec_b64 s[12:13], s[6:7]
	s_cbranch_execz .LBB53_25
; %bb.22:
	v_subrev_u32_e32 v165, 51, v0
	s_movk_i32 s14, 0x348
	s_mov_b64 s[6:7], 0
.LBB53_23:                              ; =>This Inner Loop Header: Depth=1
	buffer_load_dword v166, v164, s[0:3], 0 offen
	buffer_load_dword v167, v164, s[0:3], 0 offen offset:4
	v_mov_b32_e32 v168, s14
	ds_read_b64 v[168:169], v168
	v_add_u32_e32 v165, -1, v165
	s_add_i32 s14, s14, 8
	v_cmp_eq_u32_e32 vcc, 0, v165
	v_add_u32_e32 v164, 8, v164
	s_or_b64 s[6:7], vcc, s[6:7]
	s_waitcnt vmcnt(0) lgkmcnt(0)
	v_fmac_f64_e32 v[110:111], v[166:167], v[168:169]
	s_andn2_b64 exec, exec, s[6:7]
	s_cbranch_execnz .LBB53_23
; %bb.24:
	s_or_b64 exec, exec, s[6:7]
.LBB53_25:
	s_or_b64 exec, exec, s[12:13]
	v_mov_b32_e32 v164, 0
	ds_read_b64 v[164:165], v164 offset:400
	s_waitcnt lgkmcnt(0)
	v_mul_f64 v[110:111], v[110:111], v[164:165]
	buffer_store_dword v111, off, s[0:3], 0 offset:404
	buffer_store_dword v110, off, s[0:3], 0 offset:400
.LBB53_26:
	s_or_b64 exec, exec, s[10:11]
	buffer_load_dword v110, off, s[0:3], 0 offset:392
	buffer_load_dword v111, off, s[0:3], 0 offset:396
	v_cmp_lt_u32_e64 s[6:7], 49, v0
	s_waitcnt vmcnt(0)
	ds_write_b64 v112, v[110:111]
	s_waitcnt lgkmcnt(0)
	; wave barrier
	s_waitcnt lgkmcnt(0)
	s_and_saveexec_b64 s[10:11], s[6:7]
	s_cbranch_execz .LBB53_36
; %bb.27:
	s_andn2_b64 vcc, exec, s[8:9]
	s_cbranch_vccnz .LBB53_29
; %bb.28:
	buffer_load_dword v110, v113, s[0:3], 0 offen
	buffer_load_dword v111, v113, s[0:3], 0 offen offset:4
	ds_read_b64 v[164:165], v112
	s_waitcnt vmcnt(0) lgkmcnt(0)
	v_mul_f64 v[110:111], v[110:111], v[164:165]
	s_cbranch_execz .LBB53_30
	s_branch .LBB53_31
.LBB53_29:
                                        ; implicit-def: $vgpr110_vgpr111
.LBB53_30:
	ds_read_b64 v[110:111], v112
.LBB53_31:
	s_and_saveexec_b64 s[12:13], s[4:5]
	s_cbranch_execz .LBB53_35
; %bb.32:
	v_subrev_u32_e32 v164, 50, v0
	s_movk_i32 s14, 0x340
	s_mov_b64 s[4:5], 0
.LBB53_33:                              ; =>This Inner Loop Header: Depth=1
	buffer_load_dword v166, v163, s[0:3], 0 offen
	buffer_load_dword v167, v163, s[0:3], 0 offen offset:4
	v_mov_b32_e32 v165, s14
	ds_read_b64 v[168:169], v165
	v_add_u32_e32 v164, -1, v164
	s_add_i32 s14, s14, 8
	v_cmp_eq_u32_e32 vcc, 0, v164
	v_add_u32_e32 v163, 8, v163
	s_or_b64 s[4:5], vcc, s[4:5]
	s_waitcnt vmcnt(0) lgkmcnt(0)
	v_fmac_f64_e32 v[110:111], v[166:167], v[168:169]
	s_andn2_b64 exec, exec, s[4:5]
	s_cbranch_execnz .LBB53_33
; %bb.34:
	s_or_b64 exec, exec, s[4:5]
.LBB53_35:
	s_or_b64 exec, exec, s[12:13]
	v_mov_b32_e32 v163, 0
	ds_read_b64 v[164:165], v163 offset:392
	s_waitcnt lgkmcnt(0)
	v_mul_f64 v[110:111], v[110:111], v[164:165]
	buffer_store_dword v111, off, s[0:3], 0 offset:396
	buffer_store_dword v110, off, s[0:3], 0 offset:392
.LBB53_36:
	;; [unrolled: 58-line block ×8, first 2 shown]
	s_or_b64 exec, exec, s[10:11]
	buffer_load_dword v110, off, s[0:3], 0 offset:336
	buffer_load_dword v111, off, s[0:3], 0 offset:340
	v_cmp_lt_u32_e64 s[4:5], 42, v0
	s_waitcnt vmcnt(0)
	ds_write_b64 v112, v[110:111]
	s_waitcnt lgkmcnt(0)
	; wave barrier
	s_waitcnt lgkmcnt(0)
	s_and_saveexec_b64 s[10:11], s[4:5]
	s_cbranch_execz .LBB53_106
; %bb.97:
	s_andn2_b64 vcc, exec, s[8:9]
	s_cbranch_vccnz .LBB53_99
; %bb.98:
	buffer_load_dword v110, v113, s[0:3], 0 offen
	buffer_load_dword v111, v113, s[0:3], 0 offen offset:4
	ds_read_b64 v[158:159], v112
	s_waitcnt vmcnt(0) lgkmcnt(0)
	v_mul_f64 v[110:111], v[110:111], v[158:159]
	s_cbranch_execz .LBB53_100
	s_branch .LBB53_101
.LBB53_99:
                                        ; implicit-def: $vgpr110_vgpr111
.LBB53_100:
	ds_read_b64 v[110:111], v112
.LBB53_101:
	s_and_saveexec_b64 s[12:13], s[6:7]
	s_cbranch_execz .LBB53_105
; %bb.102:
	v_subrev_u32_e32 v157, 43, v0
	s_movk_i32 s14, 0x308
	s_mov_b64 s[6:7], 0
.LBB53_103:                             ; =>This Inner Loop Header: Depth=1
	buffer_load_dword v158, v156, s[0:3], 0 offen
	buffer_load_dword v159, v156, s[0:3], 0 offen offset:4
	v_mov_b32_e32 v160, s14
	ds_read_b64 v[160:161], v160
	v_add_u32_e32 v157, -1, v157
	s_add_i32 s14, s14, 8
	v_cmp_eq_u32_e32 vcc, 0, v157
	v_add_u32_e32 v156, 8, v156
	s_or_b64 s[6:7], vcc, s[6:7]
	s_waitcnt vmcnt(0) lgkmcnt(0)
	v_fmac_f64_e32 v[110:111], v[158:159], v[160:161]
	s_andn2_b64 exec, exec, s[6:7]
	s_cbranch_execnz .LBB53_103
; %bb.104:
	s_or_b64 exec, exec, s[6:7]
.LBB53_105:
	s_or_b64 exec, exec, s[12:13]
	v_mov_b32_e32 v156, 0
	ds_read_b64 v[156:157], v156 offset:336
	s_waitcnt lgkmcnt(0)
	v_mul_f64 v[110:111], v[110:111], v[156:157]
	buffer_store_dword v111, off, s[0:3], 0 offset:340
	buffer_store_dword v110, off, s[0:3], 0 offset:336
.LBB53_106:
	s_or_b64 exec, exec, s[10:11]
	buffer_load_dword v110, off, s[0:3], 0 offset:328
	buffer_load_dword v111, off, s[0:3], 0 offset:332
	v_cmp_lt_u32_e64 s[6:7], 41, v0
	s_waitcnt vmcnt(0)
	ds_write_b64 v112, v[110:111]
	s_waitcnt lgkmcnt(0)
	; wave barrier
	s_waitcnt lgkmcnt(0)
	s_and_saveexec_b64 s[10:11], s[6:7]
	s_cbranch_execz .LBB53_116
; %bb.107:
	s_andn2_b64 vcc, exec, s[8:9]
	s_cbranch_vccnz .LBB53_109
; %bb.108:
	buffer_load_dword v110, v113, s[0:3], 0 offen
	buffer_load_dword v111, v113, s[0:3], 0 offen offset:4
	ds_read_b64 v[156:157], v112
	s_waitcnt vmcnt(0) lgkmcnt(0)
	v_mul_f64 v[110:111], v[110:111], v[156:157]
	s_cbranch_execz .LBB53_110
	s_branch .LBB53_111
.LBB53_109:
                                        ; implicit-def: $vgpr110_vgpr111
.LBB53_110:
	ds_read_b64 v[110:111], v112
.LBB53_111:
	s_and_saveexec_b64 s[12:13], s[4:5]
	s_cbranch_execz .LBB53_115
; %bb.112:
	v_subrev_u32_e32 v156, 42, v0
	s_movk_i32 s14, 0x300
	s_mov_b64 s[4:5], 0
.LBB53_113:                             ; =>This Inner Loop Header: Depth=1
	buffer_load_dword v158, v155, s[0:3], 0 offen
	buffer_load_dword v159, v155, s[0:3], 0 offen offset:4
	v_mov_b32_e32 v157, s14
	ds_read_b64 v[160:161], v157
	v_add_u32_e32 v156, -1, v156
	s_add_i32 s14, s14, 8
	v_cmp_eq_u32_e32 vcc, 0, v156
	v_add_u32_e32 v155, 8, v155
	s_or_b64 s[4:5], vcc, s[4:5]
	s_waitcnt vmcnt(0) lgkmcnt(0)
	v_fmac_f64_e32 v[110:111], v[158:159], v[160:161]
	s_andn2_b64 exec, exec, s[4:5]
	s_cbranch_execnz .LBB53_113
; %bb.114:
	s_or_b64 exec, exec, s[4:5]
.LBB53_115:
	s_or_b64 exec, exec, s[12:13]
	v_mov_b32_e32 v155, 0
	ds_read_b64 v[156:157], v155 offset:328
	s_waitcnt lgkmcnt(0)
	v_mul_f64 v[110:111], v[110:111], v[156:157]
	buffer_store_dword v111, off, s[0:3], 0 offset:332
	buffer_store_dword v110, off, s[0:3], 0 offset:328
.LBB53_116:
	;; [unrolled: 58-line block ×27, first 2 shown]
	s_or_b64 exec, exec, s[10:11]
	buffer_load_dword v110, off, s[0:3], 0 offset:120
	buffer_load_dword v111, off, s[0:3], 0 offset:124
	v_cmp_lt_u32_e64 s[6:7], 15, v0
	s_waitcnt vmcnt(0)
	ds_write_b64 v112, v[110:111]
	s_waitcnt lgkmcnt(0)
	; wave barrier
	s_waitcnt lgkmcnt(0)
	s_and_saveexec_b64 s[10:11], s[6:7]
	s_cbranch_execz .LBB53_376
; %bb.367:
	s_andn2_b64 vcc, exec, s[8:9]
	s_cbranch_vccnz .LBB53_369
; %bb.368:
	buffer_load_dword v110, v113, s[0:3], 0 offen
	buffer_load_dword v111, v113, s[0:3], 0 offen offset:4
	ds_read_b64 v[130:131], v112
	s_waitcnt vmcnt(0) lgkmcnt(0)
	v_mul_f64 v[110:111], v[110:111], v[130:131]
	s_cbranch_execz .LBB53_370
	s_branch .LBB53_371
.LBB53_369:
                                        ; implicit-def: $vgpr110_vgpr111
.LBB53_370:
	ds_read_b64 v[110:111], v112
.LBB53_371:
	s_and_saveexec_b64 s[12:13], s[4:5]
	s_cbranch_execz .LBB53_375
; %bb.372:
	v_add_u32_e32 v130, -16, v0
	s_movk_i32 s14, 0x230
	s_mov_b64 s[4:5], 0
.LBB53_373:                             ; =>This Inner Loop Header: Depth=1
	buffer_load_dword v132, v129, s[0:3], 0 offen
	buffer_load_dword v133, v129, s[0:3], 0 offen offset:4
	v_mov_b32_e32 v131, s14
	ds_read_b64 v[134:135], v131
	v_add_u32_e32 v130, -1, v130
	s_add_i32 s14, s14, 8
	v_cmp_eq_u32_e32 vcc, 0, v130
	v_add_u32_e32 v129, 8, v129
	s_or_b64 s[4:5], vcc, s[4:5]
	s_waitcnt vmcnt(0) lgkmcnt(0)
	v_fmac_f64_e32 v[110:111], v[132:133], v[134:135]
	s_andn2_b64 exec, exec, s[4:5]
	s_cbranch_execnz .LBB53_373
; %bb.374:
	s_or_b64 exec, exec, s[4:5]
.LBB53_375:
	s_or_b64 exec, exec, s[12:13]
	v_mov_b32_e32 v129, 0
	ds_read_b64 v[130:131], v129 offset:120
	s_waitcnt lgkmcnt(0)
	v_mul_f64 v[110:111], v[110:111], v[130:131]
	buffer_store_dword v111, off, s[0:3], 0 offset:124
	buffer_store_dword v110, off, s[0:3], 0 offset:120
.LBB53_376:
	s_or_b64 exec, exec, s[10:11]
	buffer_load_dword v110, off, s[0:3], 0 offset:112
	buffer_load_dword v111, off, s[0:3], 0 offset:116
	v_cmp_lt_u32_e64 s[4:5], 14, v0
	s_waitcnt vmcnt(0)
	ds_write_b64 v112, v[110:111]
	s_waitcnt lgkmcnt(0)
	; wave barrier
	s_waitcnt lgkmcnt(0)
	s_and_saveexec_b64 s[10:11], s[4:5]
	s_cbranch_execz .LBB53_386
; %bb.377:
	s_andn2_b64 vcc, exec, s[8:9]
	s_cbranch_vccnz .LBB53_379
; %bb.378:
	buffer_load_dword v110, v113, s[0:3], 0 offen
	buffer_load_dword v111, v113, s[0:3], 0 offen offset:4
	ds_read_b64 v[130:131], v112
	s_waitcnt vmcnt(0) lgkmcnt(0)
	v_mul_f64 v[110:111], v[110:111], v[130:131]
	s_cbranch_execz .LBB53_380
	s_branch .LBB53_381
.LBB53_379:
                                        ; implicit-def: $vgpr110_vgpr111
.LBB53_380:
	ds_read_b64 v[110:111], v112
.LBB53_381:
	s_and_saveexec_b64 s[12:13], s[6:7]
	s_cbranch_execz .LBB53_385
; %bb.382:
	v_add_u32_e32 v129, -15, v0
	s_movk_i32 s14, 0x228
	s_mov_b64 s[6:7], 0
.LBB53_383:                             ; =>This Inner Loop Header: Depth=1
	buffer_load_dword v130, v128, s[0:3], 0 offen
	buffer_load_dword v131, v128, s[0:3], 0 offen offset:4
	v_mov_b32_e32 v132, s14
	ds_read_b64 v[132:133], v132
	v_add_u32_e32 v129, -1, v129
	s_add_i32 s14, s14, 8
	v_cmp_eq_u32_e32 vcc, 0, v129
	v_add_u32_e32 v128, 8, v128
	s_or_b64 s[6:7], vcc, s[6:7]
	s_waitcnt vmcnt(0) lgkmcnt(0)
	v_fmac_f64_e32 v[110:111], v[130:131], v[132:133]
	s_andn2_b64 exec, exec, s[6:7]
	s_cbranch_execnz .LBB53_383
; %bb.384:
	s_or_b64 exec, exec, s[6:7]
.LBB53_385:
	s_or_b64 exec, exec, s[12:13]
	v_mov_b32_e32 v128, 0
	ds_read_b64 v[128:129], v128 offset:112
	s_waitcnt lgkmcnt(0)
	v_mul_f64 v[110:111], v[110:111], v[128:129]
	buffer_store_dword v111, off, s[0:3], 0 offset:116
	buffer_store_dword v110, off, s[0:3], 0 offset:112
.LBB53_386:
	;; [unrolled: 58-line block ×15, first 2 shown]
	s_or_b64 exec, exec, s[10:11]
	buffer_load_dword v110, off, s[0:3], 0
	buffer_load_dword v111, off, s[0:3], 0 offset:4
	v_cmp_ne_u32_e32 vcc, 0, v0
	s_waitcnt vmcnt(0)
	ds_write_b64 v112, v[110:111]
	s_waitcnt lgkmcnt(0)
	; wave barrier
	s_waitcnt lgkmcnt(0)
	s_and_saveexec_b64 s[4:5], vcc
	s_cbranch_execz .LBB53_526
; %bb.517:
	s_andn2_b64 vcc, exec, s[8:9]
	s_cbranch_vccnz .LBB53_519
; %bb.518:
	buffer_load_dword v110, v113, s[0:3], 0 offen
	buffer_load_dword v111, v113, s[0:3], 0 offen offset:4
	ds_read_b64 v[116:117], v112
	s_waitcnt vmcnt(0) lgkmcnt(0)
	v_mul_f64 v[110:111], v[110:111], v[116:117]
	s_cbranch_execz .LBB53_520
	s_branch .LBB53_521
.LBB53_519:
                                        ; implicit-def: $vgpr110_vgpr111
.LBB53_520:
	ds_read_b64 v[110:111], v112
.LBB53_521:
	s_and_saveexec_b64 s[10:11], s[6:7]
	s_cbranch_execz .LBB53_525
; %bb.522:
	v_add_u32_e32 v115, -1, v0
	s_movk_i32 s12, 0x1b8
	s_mov_b64 s[6:7], 0
.LBB53_523:                             ; =>This Inner Loop Header: Depth=1
	buffer_load_dword v116, v114, s[0:3], 0 offen
	buffer_load_dword v117, v114, s[0:3], 0 offen offset:4
	v_mov_b32_e32 v118, s12
	ds_read_b64 v[118:119], v118
	v_add_u32_e32 v115, -1, v115
	s_add_i32 s12, s12, 8
	v_cmp_eq_u32_e32 vcc, 0, v115
	v_add_u32_e32 v114, 8, v114
	s_or_b64 s[6:7], vcc, s[6:7]
	s_waitcnt vmcnt(0) lgkmcnt(0)
	v_fmac_f64_e32 v[110:111], v[116:117], v[118:119]
	s_andn2_b64 exec, exec, s[6:7]
	s_cbranch_execnz .LBB53_523
; %bb.524:
	s_or_b64 exec, exec, s[6:7]
.LBB53_525:
	s_or_b64 exec, exec, s[10:11]
	v_mov_b32_e32 v114, 0
	ds_read_b64 v[114:115], v114
	s_waitcnt lgkmcnt(0)
	v_mul_f64 v[110:111], v[110:111], v[114:115]
	buffer_store_dword v111, off, s[0:3], 0 offset:4
	buffer_store_dword v110, off, s[0:3], 0
.LBB53_526:
	s_or_b64 exec, exec, s[4:5]
	s_mov_b64 s[4:5], 0
.LBB53_527:
	s_and_b64 vcc, exec, s[4:5]
	s_cbranch_vccz .LBB53_1051
; %bb.528:
	buffer_load_dword v110, off, s[0:3], 0 offset:8
	buffer_load_dword v111, off, s[0:3], 0 offset:12
	v_cmp_eq_u32_e64 s[6:7], 0, v0
	s_waitcnt vmcnt(0)
	ds_write_b64 v112, v[110:111]
	s_waitcnt lgkmcnt(0)
	; wave barrier
	s_waitcnt lgkmcnt(0)
	s_and_saveexec_b64 s[4:5], s[6:7]
	s_cbranch_execz .LBB53_534
; %bb.529:
	s_and_b64 vcc, exec, s[8:9]
	s_cbranch_vccz .LBB53_531
; %bb.530:
	buffer_load_dword v110, v113, s[0:3], 0 offen
	buffer_load_dword v111, v113, s[0:3], 0 offen offset:4
	ds_read_b64 v[114:115], v112
	s_waitcnt vmcnt(0) lgkmcnt(0)
	v_mul_f64 v[110:111], v[110:111], v[114:115]
	s_cbranch_execz .LBB53_532
	s_branch .LBB53_533
.LBB53_531:
                                        ; implicit-def: $vgpr110_vgpr111
.LBB53_532:
	ds_read_b64 v[110:111], v112
.LBB53_533:
	v_mov_b32_e32 v114, 0
	ds_read_b64 v[114:115], v114 offset:8
	s_waitcnt lgkmcnt(0)
	v_mul_f64 v[110:111], v[110:111], v[114:115]
	buffer_store_dword v111, off, s[0:3], 0 offset:12
	buffer_store_dword v110, off, s[0:3], 0 offset:8
.LBB53_534:
	s_or_b64 exec, exec, s[4:5]
	buffer_load_dword v110, off, s[0:3], 0 offset:16
	buffer_load_dword v111, off, s[0:3], 0 offset:20
	v_cndmask_b32_e64 v114, 0, 1, s[8:9]
	v_cmp_gt_u32_e32 vcc, 2, v0
	v_cmp_ne_u32_e64 s[4:5], 1, v114
	s_waitcnt vmcnt(0)
	ds_write_b64 v112, v[110:111]
	s_waitcnt lgkmcnt(0)
	; wave barrier
	s_waitcnt lgkmcnt(0)
	s_and_saveexec_b64 s[8:9], vcc
	s_cbranch_execz .LBB53_542
; %bb.535:
	s_and_b64 vcc, exec, s[4:5]
	s_cbranch_vccnz .LBB53_537
; %bb.536:
	buffer_load_dword v110, v113, s[0:3], 0 offen
	buffer_load_dword v111, v113, s[0:3], 0 offen offset:4
	ds_read_b64 v[114:115], v112
	s_waitcnt vmcnt(0) lgkmcnt(0)
	v_mul_f64 v[110:111], v[110:111], v[114:115]
	s_cbranch_execz .LBB53_538
	s_branch .LBB53_539
.LBB53_537:
                                        ; implicit-def: $vgpr110_vgpr111
.LBB53_538:
	ds_read_b64 v[110:111], v112
.LBB53_539:
	s_and_saveexec_b64 s[10:11], s[6:7]
	s_cbranch_execz .LBB53_541
; %bb.540:
	buffer_load_dword v114, v113, s[0:3], 0 offen offset:8
	buffer_load_dword v115, v113, s[0:3], 0 offen offset:12
	ds_read_b64 v[116:117], v112 offset:8
	s_waitcnt vmcnt(0) lgkmcnt(0)
	v_fmac_f64_e32 v[110:111], v[114:115], v[116:117]
.LBB53_541:
	s_or_b64 exec, exec, s[10:11]
	v_mov_b32_e32 v114, 0
	ds_read_b64 v[114:115], v114 offset:16
	s_waitcnt lgkmcnt(0)
	v_mul_f64 v[110:111], v[110:111], v[114:115]
	buffer_store_dword v111, off, s[0:3], 0 offset:20
	buffer_store_dword v110, off, s[0:3], 0 offset:16
.LBB53_542:
	s_or_b64 exec, exec, s[8:9]
	buffer_load_dword v110, off, s[0:3], 0 offset:24
	buffer_load_dword v111, off, s[0:3], 0 offset:28
	v_cmp_gt_u32_e32 vcc, 3, v0
	s_waitcnt vmcnt(0)
	ds_write_b64 v112, v[110:111]
	s_waitcnt lgkmcnt(0)
	; wave barrier
	s_waitcnt lgkmcnt(0)
	s_and_saveexec_b64 s[8:9], vcc
	s_cbranch_execz .LBB53_550
; %bb.543:
	s_and_b64 vcc, exec, s[4:5]
	s_cbranch_vccnz .LBB53_545
; %bb.544:
	buffer_load_dword v110, v113, s[0:3], 0 offen
	buffer_load_dword v111, v113, s[0:3], 0 offen offset:4
	ds_read_b64 v[114:115], v112
	s_waitcnt vmcnt(0) lgkmcnt(0)
	v_mul_f64 v[110:111], v[110:111], v[114:115]
	s_cbranch_execz .LBB53_546
	s_branch .LBB53_547
.LBB53_545:
                                        ; implicit-def: $vgpr110_vgpr111
.LBB53_546:
	ds_read_b64 v[110:111], v112
.LBB53_547:
	v_cmp_ne_u32_e32 vcc, 2, v0
	s_and_saveexec_b64 s[10:11], vcc
	s_cbranch_execz .LBB53_549
; %bb.548:
	buffer_load_dword v115, v113, s[0:3], 0 offen offset:12
	buffer_load_dword v116, off, s[0:3], 0 offset:16
	buffer_load_dword v114, v113, s[0:3], 0 offen offset:8
	buffer_load_dword v117, off, s[0:3], 0 offset:20
	v_mov_b32_e32 v120, 0
	ds_read_b64 v[118:119], v112 offset:8
	ds_read_b64 v[120:121], v120 offset:448
	s_waitcnt vmcnt(1) lgkmcnt(1)
	v_fmac_f64_e32 v[110:111], v[114:115], v[118:119]
	s_waitcnt vmcnt(0) lgkmcnt(0)
	v_fma_f64 v[114:115], v[116:117], v[120:121], v[110:111]
	v_cndmask_b32_e64 v111, v111, v115, s[6:7]
	v_cndmask_b32_e64 v110, v110, v114, s[6:7]
.LBB53_549:
	s_or_b64 exec, exec, s[10:11]
	v_mov_b32_e32 v114, 0
	ds_read_b64 v[114:115], v114 offset:24
	s_waitcnt lgkmcnt(0)
	v_mul_f64 v[110:111], v[110:111], v[114:115]
	buffer_store_dword v111, off, s[0:3], 0 offset:28
	buffer_store_dword v110, off, s[0:3], 0 offset:24
.LBB53_550:
	s_or_b64 exec, exec, s[8:9]
	buffer_load_dword v110, off, s[0:3], 0 offset:32
	buffer_load_dword v111, off, s[0:3], 0 offset:36
	v_cmp_gt_u32_e32 vcc, 4, v0
	s_waitcnt vmcnt(0)
	ds_write_b64 v112, v[110:111]
	s_waitcnt lgkmcnt(0)
	; wave barrier
	s_waitcnt lgkmcnt(0)
	s_and_saveexec_b64 s[6:7], vcc
	s_cbranch_execz .LBB53_560
; %bb.551:
	s_and_b64 vcc, exec, s[4:5]
	s_cbranch_vccnz .LBB53_553
; %bb.552:
	buffer_load_dword v110, v113, s[0:3], 0 offen
	buffer_load_dword v111, v113, s[0:3], 0 offen offset:4
	ds_read_b64 v[114:115], v112
	s_waitcnt vmcnt(0) lgkmcnt(0)
	v_mul_f64 v[110:111], v[110:111], v[114:115]
	s_cbranch_execz .LBB53_554
	s_branch .LBB53_555
.LBB53_553:
                                        ; implicit-def: $vgpr110_vgpr111
.LBB53_554:
	ds_read_b64 v[110:111], v112
.LBB53_555:
	v_cmp_ne_u32_e32 vcc, 3, v0
	s_and_saveexec_b64 s[8:9], vcc
	s_cbranch_execz .LBB53_559
; %bb.556:
	v_mov_b32_e32 v115, 0
	v_add_u32_e32 v114, 0x1b8, v1
	v_add3_u32 v115, v1, v115, 8
	s_mov_b64 s[10:11], 0
	v_mov_b32_e32 v116, v0
.LBB53_557:                             ; =>This Inner Loop Header: Depth=1
	buffer_load_dword v118, v115, s[0:3], 0 offen
	buffer_load_dword v119, v115, s[0:3], 0 offen offset:4
	ds_read_b64 v[120:121], v114
	v_add_u32_e32 v116, 1, v116
	v_cmp_lt_u32_e32 vcc, 2, v116
	v_add_u32_e32 v114, 8, v114
	v_add_u32_e32 v115, 8, v115
	s_or_b64 s[10:11], vcc, s[10:11]
	s_waitcnt vmcnt(0) lgkmcnt(0)
	v_fmac_f64_e32 v[110:111], v[118:119], v[120:121]
	s_andn2_b64 exec, exec, s[10:11]
	s_cbranch_execnz .LBB53_557
; %bb.558:
	s_or_b64 exec, exec, s[10:11]
.LBB53_559:
	s_or_b64 exec, exec, s[8:9]
	v_mov_b32_e32 v114, 0
	ds_read_b64 v[114:115], v114 offset:32
	s_waitcnt lgkmcnt(0)
	v_mul_f64 v[110:111], v[110:111], v[114:115]
	buffer_store_dword v111, off, s[0:3], 0 offset:36
	buffer_store_dword v110, off, s[0:3], 0 offset:32
.LBB53_560:
	s_or_b64 exec, exec, s[6:7]
	buffer_load_dword v110, off, s[0:3], 0 offset:40
	buffer_load_dword v111, off, s[0:3], 0 offset:44
	v_cmp_gt_u32_e32 vcc, 5, v0
	s_waitcnt vmcnt(0)
	ds_write_b64 v112, v[110:111]
	s_waitcnt lgkmcnt(0)
	; wave barrier
	s_waitcnt lgkmcnt(0)
	s_and_saveexec_b64 s[6:7], vcc
	s_cbranch_execz .LBB53_570
; %bb.561:
	s_and_b64 vcc, exec, s[4:5]
	s_cbranch_vccnz .LBB53_563
; %bb.562:
	buffer_load_dword v110, v113, s[0:3], 0 offen
	buffer_load_dword v111, v113, s[0:3], 0 offen offset:4
	ds_read_b64 v[114:115], v112
	s_waitcnt vmcnt(0) lgkmcnt(0)
	v_mul_f64 v[110:111], v[110:111], v[114:115]
	s_cbranch_execz .LBB53_564
	s_branch .LBB53_565
.LBB53_563:
                                        ; implicit-def: $vgpr110_vgpr111
.LBB53_564:
	ds_read_b64 v[110:111], v112
.LBB53_565:
	v_cmp_ne_u32_e32 vcc, 4, v0
	s_and_saveexec_b64 s[8:9], vcc
	s_cbranch_execz .LBB53_569
; %bb.566:
	v_mov_b32_e32 v115, 0
	v_add_u32_e32 v114, 0x1b8, v1
	v_add3_u32 v115, v1, v115, 8
	s_mov_b64 s[10:11], 0
	v_mov_b32_e32 v116, v0
.LBB53_567:                             ; =>This Inner Loop Header: Depth=1
	buffer_load_dword v118, v115, s[0:3], 0 offen
	buffer_load_dword v119, v115, s[0:3], 0 offen offset:4
	ds_read_b64 v[120:121], v114
	v_add_u32_e32 v116, 1, v116
	v_cmp_lt_u32_e32 vcc, 3, v116
	v_add_u32_e32 v114, 8, v114
	v_add_u32_e32 v115, 8, v115
	s_or_b64 s[10:11], vcc, s[10:11]
	s_waitcnt vmcnt(0) lgkmcnt(0)
	v_fmac_f64_e32 v[110:111], v[118:119], v[120:121]
	s_andn2_b64 exec, exec, s[10:11]
	s_cbranch_execnz .LBB53_567
; %bb.568:
	s_or_b64 exec, exec, s[10:11]
.LBB53_569:
	s_or_b64 exec, exec, s[8:9]
	v_mov_b32_e32 v114, 0
	ds_read_b64 v[114:115], v114 offset:40
	s_waitcnt lgkmcnt(0)
	v_mul_f64 v[110:111], v[110:111], v[114:115]
	buffer_store_dword v111, off, s[0:3], 0 offset:44
	buffer_store_dword v110, off, s[0:3], 0 offset:40
.LBB53_570:
	;; [unrolled: 60-line block ×45, first 2 shown]
	s_or_b64 exec, exec, s[6:7]
	buffer_load_dword v110, off, s[0:3], 0 offset:392
	buffer_load_dword v111, off, s[0:3], 0 offset:396
	v_cmp_gt_u32_e32 vcc, 49, v0
	s_waitcnt vmcnt(0)
	ds_write_b64 v112, v[110:111]
	s_waitcnt lgkmcnt(0)
	; wave barrier
	s_waitcnt lgkmcnt(0)
	s_and_saveexec_b64 s[6:7], vcc
	s_cbranch_execz .LBB53_1010
; %bb.1001:
	s_and_b64 vcc, exec, s[4:5]
	s_cbranch_vccnz .LBB53_1003
; %bb.1002:
	buffer_load_dword v110, v113, s[0:3], 0 offen
	buffer_load_dword v111, v113, s[0:3], 0 offen offset:4
	ds_read_b64 v[114:115], v112
	s_waitcnt vmcnt(0) lgkmcnt(0)
	v_mul_f64 v[110:111], v[110:111], v[114:115]
	s_cbranch_execz .LBB53_1004
	s_branch .LBB53_1005
.LBB53_1003:
                                        ; implicit-def: $vgpr110_vgpr111
.LBB53_1004:
	ds_read_b64 v[110:111], v112
.LBB53_1005:
	v_cmp_ne_u32_e32 vcc, 48, v0
	s_and_saveexec_b64 s[8:9], vcc
	s_cbranch_execz .LBB53_1009
; %bb.1006:
	v_mov_b32_e32 v115, 0
	v_add_u32_e32 v114, 0x1b8, v1
	v_add3_u32 v115, v1, v115, 8
	s_mov_b64 s[10:11], 0
	v_mov_b32_e32 v116, v0
.LBB53_1007:                            ; =>This Inner Loop Header: Depth=1
	buffer_load_dword v118, v115, s[0:3], 0 offen
	buffer_load_dword v119, v115, s[0:3], 0 offen offset:4
	ds_read_b64 v[120:121], v114
	v_add_u32_e32 v116, 1, v116
	v_cmp_lt_u32_e32 vcc, 47, v116
	v_add_u32_e32 v114, 8, v114
	v_add_u32_e32 v115, 8, v115
	s_or_b64 s[10:11], vcc, s[10:11]
	s_waitcnt vmcnt(0) lgkmcnt(0)
	v_fmac_f64_e32 v[110:111], v[118:119], v[120:121]
	s_andn2_b64 exec, exec, s[10:11]
	s_cbranch_execnz .LBB53_1007
; %bb.1008:
	s_or_b64 exec, exec, s[10:11]
.LBB53_1009:
	s_or_b64 exec, exec, s[8:9]
	v_mov_b32_e32 v114, 0
	ds_read_b64 v[114:115], v114 offset:392
	s_waitcnt lgkmcnt(0)
	v_mul_f64 v[110:111], v[110:111], v[114:115]
	buffer_store_dword v111, off, s[0:3], 0 offset:396
	buffer_store_dword v110, off, s[0:3], 0 offset:392
.LBB53_1010:
	s_or_b64 exec, exec, s[6:7]
	buffer_load_dword v110, off, s[0:3], 0 offset:400
	buffer_load_dword v111, off, s[0:3], 0 offset:404
	v_cmp_gt_u32_e32 vcc, 50, v0
	s_waitcnt vmcnt(0)
	ds_write_b64 v112, v[110:111]
	s_waitcnt lgkmcnt(0)
	; wave barrier
	s_waitcnt lgkmcnt(0)
	s_and_saveexec_b64 s[6:7], vcc
	s_cbranch_execz .LBB53_1020
; %bb.1011:
	s_and_b64 vcc, exec, s[4:5]
	s_cbranch_vccnz .LBB53_1013
; %bb.1012:
	buffer_load_dword v110, v113, s[0:3], 0 offen
	buffer_load_dword v111, v113, s[0:3], 0 offen offset:4
	ds_read_b64 v[114:115], v112
	s_waitcnt vmcnt(0) lgkmcnt(0)
	v_mul_f64 v[110:111], v[110:111], v[114:115]
	s_cbranch_execz .LBB53_1014
	s_branch .LBB53_1015
.LBB53_1013:
                                        ; implicit-def: $vgpr110_vgpr111
.LBB53_1014:
	ds_read_b64 v[110:111], v112
.LBB53_1015:
	v_cmp_ne_u32_e32 vcc, 49, v0
	s_and_saveexec_b64 s[8:9], vcc
	s_cbranch_execz .LBB53_1019
; %bb.1016:
	v_mov_b32_e32 v115, 0
	v_add_u32_e32 v114, 0x1b8, v1
	v_add3_u32 v115, v1, v115, 8
	s_mov_b64 s[10:11], 0
	v_mov_b32_e32 v116, v0
.LBB53_1017:                            ; =>This Inner Loop Header: Depth=1
	buffer_load_dword v118, v115, s[0:3], 0 offen
	buffer_load_dword v119, v115, s[0:3], 0 offen offset:4
	ds_read_b64 v[120:121], v114
	v_add_u32_e32 v116, 1, v116
	v_cmp_lt_u32_e32 vcc, 48, v116
	v_add_u32_e32 v114, 8, v114
	v_add_u32_e32 v115, 8, v115
	s_or_b64 s[10:11], vcc, s[10:11]
	s_waitcnt vmcnt(0) lgkmcnt(0)
	v_fmac_f64_e32 v[110:111], v[118:119], v[120:121]
	s_andn2_b64 exec, exec, s[10:11]
	s_cbranch_execnz .LBB53_1017
; %bb.1018:
	s_or_b64 exec, exec, s[10:11]
.LBB53_1019:
	s_or_b64 exec, exec, s[8:9]
	v_mov_b32_e32 v114, 0
	ds_read_b64 v[114:115], v114 offset:400
	s_waitcnt lgkmcnt(0)
	v_mul_f64 v[110:111], v[110:111], v[114:115]
	buffer_store_dword v111, off, s[0:3], 0 offset:404
	buffer_store_dword v110, off, s[0:3], 0 offset:400
.LBB53_1020:
	;; [unrolled: 60-line block ×3, first 2 shown]
	s_or_b64 exec, exec, s[6:7]
	buffer_load_dword v110, off, s[0:3], 0 offset:416
	buffer_load_dword v111, off, s[0:3], 0 offset:420
	v_cmp_gt_u32_e64 s[6:7], 52, v0
	s_waitcnt vmcnt(0)
	ds_write_b64 v112, v[110:111]
	s_waitcnt lgkmcnt(0)
	; wave barrier
	s_waitcnt lgkmcnt(0)
	s_and_saveexec_b64 s[8:9], s[6:7]
	s_cbranch_execz .LBB53_1040
; %bb.1031:
	s_and_b64 vcc, exec, s[4:5]
	s_cbranch_vccnz .LBB53_1033
; %bb.1032:
	buffer_load_dword v110, v113, s[0:3], 0 offen
	buffer_load_dword v111, v113, s[0:3], 0 offen offset:4
	ds_read_b64 v[114:115], v112
	s_waitcnt vmcnt(0) lgkmcnt(0)
	v_mul_f64 v[110:111], v[110:111], v[114:115]
	s_cbranch_execz .LBB53_1034
	s_branch .LBB53_1035
.LBB53_1033:
                                        ; implicit-def: $vgpr110_vgpr111
.LBB53_1034:
	ds_read_b64 v[110:111], v112
.LBB53_1035:
	v_cmp_ne_u32_e32 vcc, 51, v0
	s_and_saveexec_b64 s[10:11], vcc
	s_cbranch_execz .LBB53_1039
; %bb.1036:
	v_mov_b32_e32 v115, 0
	v_add_u32_e32 v114, 0x1b8, v1
	v_add3_u32 v115, v1, v115, 8
	s_mov_b64 s[12:13], 0
	v_mov_b32_e32 v116, v0
.LBB53_1037:                            ; =>This Inner Loop Header: Depth=1
	buffer_load_dword v118, v115, s[0:3], 0 offen
	buffer_load_dword v119, v115, s[0:3], 0 offen offset:4
	ds_read_b64 v[120:121], v114
	v_add_u32_e32 v116, 1, v116
	v_cmp_lt_u32_e32 vcc, 50, v116
	v_add_u32_e32 v114, 8, v114
	v_add_u32_e32 v115, 8, v115
	s_or_b64 s[12:13], vcc, s[12:13]
	s_waitcnt vmcnt(0) lgkmcnt(0)
	v_fmac_f64_e32 v[110:111], v[118:119], v[120:121]
	s_andn2_b64 exec, exec, s[12:13]
	s_cbranch_execnz .LBB53_1037
; %bb.1038:
	s_or_b64 exec, exec, s[12:13]
.LBB53_1039:
	s_or_b64 exec, exec, s[10:11]
	v_mov_b32_e32 v114, 0
	ds_read_b64 v[114:115], v114 offset:416
	s_waitcnt lgkmcnt(0)
	v_mul_f64 v[110:111], v[110:111], v[114:115]
	buffer_store_dword v111, off, s[0:3], 0 offset:420
	buffer_store_dword v110, off, s[0:3], 0 offset:416
.LBB53_1040:
	s_or_b64 exec, exec, s[8:9]
	buffer_load_dword v110, off, s[0:3], 0 offset:424
	buffer_load_dword v111, off, s[0:3], 0 offset:428
	v_cmp_ne_u32_e32 vcc, 53, v0
	s_waitcnt vmcnt(0)
	ds_write_b64 v112, v[110:111]
	s_waitcnt lgkmcnt(0)
	; wave barrier
	s_waitcnt lgkmcnt(0)
	s_and_saveexec_b64 s[8:9], vcc
	s_cbranch_execz .LBB53_1050
; %bb.1041:
	s_and_b64 vcc, exec, s[4:5]
	s_cbranch_vccnz .LBB53_1043
; %bb.1042:
	buffer_load_dword v110, v113, s[0:3], 0 offen
	buffer_load_dword v111, v113, s[0:3], 0 offen offset:4
	ds_read_b64 v[114:115], v112
	s_waitcnt vmcnt(0) lgkmcnt(0)
	v_mul_f64 v[110:111], v[110:111], v[114:115]
	s_cbranch_execz .LBB53_1044
	s_branch .LBB53_1045
.LBB53_1043:
                                        ; implicit-def: $vgpr110_vgpr111
.LBB53_1044:
	ds_read_b64 v[110:111], v112
.LBB53_1045:
	s_and_saveexec_b64 s[4:5], s[6:7]
	s_cbranch_execz .LBB53_1049
; %bb.1046:
	v_mov_b32_e32 v113, 0
	v_add_u32_e32 v112, 0x1b8, v1
	v_add3_u32 v1, v1, v113, 8
	s_mov_b64 s[6:7], 0
.LBB53_1047:                            ; =>This Inner Loop Header: Depth=1
	buffer_load_dword v114, v1, s[0:3], 0 offen
	buffer_load_dword v115, v1, s[0:3], 0 offen offset:4
	ds_read_b64 v[116:117], v112
	v_add_u32_e32 v0, 1, v0
	v_cmp_lt_u32_e32 vcc, 51, v0
	v_add_u32_e32 v112, 8, v112
	v_add_u32_e32 v1, 8, v1
	s_or_b64 s[6:7], vcc, s[6:7]
	s_waitcnt vmcnt(0) lgkmcnt(0)
	v_fmac_f64_e32 v[110:111], v[114:115], v[116:117]
	s_andn2_b64 exec, exec, s[6:7]
	s_cbranch_execnz .LBB53_1047
; %bb.1048:
	s_or_b64 exec, exec, s[6:7]
.LBB53_1049:
	s_or_b64 exec, exec, s[4:5]
	v_mov_b32_e32 v0, 0
	ds_read_b64 v[0:1], v0 offset:424
	s_waitcnt lgkmcnt(0)
	v_mul_f64 v[0:1], v[110:111], v[0:1]
	buffer_store_dword v1, off, s[0:3], 0 offset:428
	buffer_store_dword v0, off, s[0:3], 0 offset:424
.LBB53_1050:
	s_or_b64 exec, exec, s[8:9]
.LBB53_1051:
	buffer_load_dword v0, off, s[0:3], 0
	buffer_load_dword v1, off, s[0:3], 0 offset:4
	buffer_load_dword v110, off, s[0:3], 0 offset:8
	;; [unrolled: 1-line block ×107, first 2 shown]
	s_waitcnt vmcnt(62)
	global_store_dwordx2 v[100:101], v[0:1], off
	global_store_dwordx2 v[102:103], v[110:111], off
	;; [unrolled: 1-line block ×23, first 2 shown]
	s_waitcnt vmcnt(62)
	global_store_dwordx2 v[44:45], v[154:155], off
	global_store_dwordx2 v[46:47], v[156:157], off
	global_store_dwordx2 v[48:49], v[158:159], off
	global_store_dwordx2 v[50:51], v[160:161], off
	global_store_dwordx2 v[52:53], v[162:163], off
	global_store_dwordx2 v[54:55], v[164:165], off
	global_store_dwordx2 v[56:57], v[166:167], off
	global_store_dwordx2 v[58:59], v[168:169], off
	global_store_dwordx2 v[60:61], v[170:171], off
	global_store_dwordx2 v[62:63], v[172:173], off
	global_store_dwordx2 v[64:65], v[174:175], off
	s_waitcnt vmcnt(62)
	global_store_dwordx2 v[66:67], v[176:177], off
	global_store_dwordx2 v[68:69], v[178:179], off
	;; [unrolled: 1-line block ×6, first 2 shown]
	s_waitcnt vmcnt(62)
	global_store_dwordx2 v[78:79], v[188:189], off
	global_store_dwordx2 v[80:81], v[190:191], off
	;; [unrolled: 1-line block ×3, first 2 shown]
	s_waitcnt vmcnt(62)
	global_store_dwordx2 v[84:85], v[194:195], off
	s_waitcnt vmcnt(62)
	global_store_dwordx2 v[86:87], v[196:197], off
	;; [unrolled: 2-line block ×11, first 2 shown]
.LBB53_1052:
	s_endpgm
	.section	.rodata,"a",@progbits
	.p2align	6, 0x0
	.amdhsa_kernel _ZN9rocsolver6v33100L18trti2_kernel_smallILi54EdPdEEv13rocblas_fill_17rocblas_diagonal_T1_iil
		.amdhsa_group_segment_fixed_size 864
		.amdhsa_private_segment_fixed_size 448
		.amdhsa_kernarg_size 32
		.amdhsa_user_sgpr_count 8
		.amdhsa_user_sgpr_private_segment_buffer 1
		.amdhsa_user_sgpr_dispatch_ptr 0
		.amdhsa_user_sgpr_queue_ptr 0
		.amdhsa_user_sgpr_kernarg_segment_ptr 1
		.amdhsa_user_sgpr_dispatch_id 0
		.amdhsa_user_sgpr_flat_scratch_init 1
		.amdhsa_user_sgpr_kernarg_preload_length 0
		.amdhsa_user_sgpr_kernarg_preload_offset 0
		.amdhsa_user_sgpr_private_segment_size 0
		.amdhsa_uses_dynamic_stack 0
		.amdhsa_system_sgpr_private_segment_wavefront_offset 1
		.amdhsa_system_sgpr_workgroup_id_x 1
		.amdhsa_system_sgpr_workgroup_id_y 0
		.amdhsa_system_sgpr_workgroup_id_z 0
		.amdhsa_system_sgpr_workgroup_info 0
		.amdhsa_system_vgpr_workitem_id 0
		.amdhsa_next_free_vgpr 216
		.amdhsa_next_free_sgpr 20
		.amdhsa_accum_offset 216
		.amdhsa_reserve_vcc 1
		.amdhsa_reserve_flat_scratch 0
		.amdhsa_float_round_mode_32 0
		.amdhsa_float_round_mode_16_64 0
		.amdhsa_float_denorm_mode_32 3
		.amdhsa_float_denorm_mode_16_64 3
		.amdhsa_dx10_clamp 1
		.amdhsa_ieee_mode 1
		.amdhsa_fp16_overflow 0
		.amdhsa_tg_split 0
		.amdhsa_exception_fp_ieee_invalid_op 0
		.amdhsa_exception_fp_denorm_src 0
		.amdhsa_exception_fp_ieee_div_zero 0
		.amdhsa_exception_fp_ieee_overflow 0
		.amdhsa_exception_fp_ieee_underflow 0
		.amdhsa_exception_fp_ieee_inexact 0
		.amdhsa_exception_int_div_zero 0
	.end_amdhsa_kernel
	.section	.text._ZN9rocsolver6v33100L18trti2_kernel_smallILi54EdPdEEv13rocblas_fill_17rocblas_diagonal_T1_iil,"axG",@progbits,_ZN9rocsolver6v33100L18trti2_kernel_smallILi54EdPdEEv13rocblas_fill_17rocblas_diagonal_T1_iil,comdat
.Lfunc_end53:
	.size	_ZN9rocsolver6v33100L18trti2_kernel_smallILi54EdPdEEv13rocblas_fill_17rocblas_diagonal_T1_iil, .Lfunc_end53-_ZN9rocsolver6v33100L18trti2_kernel_smallILi54EdPdEEv13rocblas_fill_17rocblas_diagonal_T1_iil
                                        ; -- End function
	.section	.AMDGPU.csdata,"",@progbits
; Kernel info:
; codeLenInByte = 31336
; NumSgprs: 24
; NumVgprs: 216
; NumAgprs: 0
; TotalNumVgprs: 216
; ScratchSize: 448
; MemoryBound: 0
; FloatMode: 240
; IeeeMode: 1
; LDSByteSize: 864 bytes/workgroup (compile time only)
; SGPRBlocks: 2
; VGPRBlocks: 26
; NumSGPRsForWavesPerEU: 24
; NumVGPRsForWavesPerEU: 216
; AccumOffset: 216
; Occupancy: 2
; WaveLimiterHint : 0
; COMPUTE_PGM_RSRC2:SCRATCH_EN: 1
; COMPUTE_PGM_RSRC2:USER_SGPR: 8
; COMPUTE_PGM_RSRC2:TRAP_HANDLER: 0
; COMPUTE_PGM_RSRC2:TGID_X_EN: 1
; COMPUTE_PGM_RSRC2:TGID_Y_EN: 0
; COMPUTE_PGM_RSRC2:TGID_Z_EN: 0
; COMPUTE_PGM_RSRC2:TIDIG_COMP_CNT: 0
; COMPUTE_PGM_RSRC3_GFX90A:ACCUM_OFFSET: 53
; COMPUTE_PGM_RSRC3_GFX90A:TG_SPLIT: 0
	.section	.text._ZN9rocsolver6v33100L18trti2_kernel_smallILi55EdPdEEv13rocblas_fill_17rocblas_diagonal_T1_iil,"axG",@progbits,_ZN9rocsolver6v33100L18trti2_kernel_smallILi55EdPdEEv13rocblas_fill_17rocblas_diagonal_T1_iil,comdat
	.globl	_ZN9rocsolver6v33100L18trti2_kernel_smallILi55EdPdEEv13rocblas_fill_17rocblas_diagonal_T1_iil ; -- Begin function _ZN9rocsolver6v33100L18trti2_kernel_smallILi55EdPdEEv13rocblas_fill_17rocblas_diagonal_T1_iil
	.p2align	8
	.type	_ZN9rocsolver6v33100L18trti2_kernel_smallILi55EdPdEEv13rocblas_fill_17rocblas_diagonal_T1_iil,@function
_ZN9rocsolver6v33100L18trti2_kernel_smallILi55EdPdEEv13rocblas_fill_17rocblas_diagonal_T1_iil: ; @_ZN9rocsolver6v33100L18trti2_kernel_smallILi55EdPdEEv13rocblas_fill_17rocblas_diagonal_T1_iil
; %bb.0:
	s_add_u32 s0, s0, s9
	s_addc_u32 s1, s1, 0
	v_cmp_gt_u32_e32 vcc, 55, v0
	s_and_saveexec_b64 s[6:7], vcc
	s_cbranch_execz .LBB54_1072
; %bb.1:
	s_load_dwordx8 s[12:19], s[4:5], 0x0
	s_ashr_i32 s6, s8, 31
	s_waitcnt lgkmcnt(0)
	s_mul_i32 s7, s8, s19
	s_mul_hi_u32 s9, s8, s18
	s_add_i32 s7, s9, s7
	s_mul_i32 s6, s6, s18
	s_add_i32 s7, s7, s6
	s_mul_i32 s6, s8, s18
	s_ashr_i32 s5, s16, 31
	s_lshl_b64 s[6:7], s[6:7], 3
	s_mov_b32 s4, s16
	s_add_u32 s6, s14, s6
	s_addc_u32 s7, s15, s7
	s_lshl_b64 s[4:5], s[4:5], 3
	s_add_u32 s4, s6, s4
	s_addc_u32 s5, s7, s5
	s_add_i32 s6, s17, s17
	v_add_u32_e32 v4, s6, v0
	v_ashrrev_i32_e32 v5, 31, v4
	v_lshlrev_b64 v[2:3], 3, v[4:5]
	v_add_u32_e32 v6, s17, v4
	v_mov_b32_e32 v1, s5
	v_add_co_u32_e32 v2, vcc, s4, v2
	v_ashrrev_i32_e32 v7, 31, v6
	v_addc_co_u32_e32 v3, vcc, v1, v3, vcc
	v_lshlrev_b64 v[4:5], 3, v[6:7]
	v_add_u32_e32 v8, s17, v6
	v_add_co_u32_e32 v4, vcc, s4, v4
	v_ashrrev_i32_e32 v9, 31, v8
	v_addc_co_u32_e32 v5, vcc, v1, v5, vcc
	v_lshlrev_b64 v[6:7], 3, v[8:9]
	v_add_u32_e32 v10, s17, v8
	;; [unrolled: 5-line block ×44, first 2 shown]
	v_add_co_u32_e32 v90, vcc, s4, v90
	v_ashrrev_i32_e32 v95, 31, v94
	v_addc_co_u32_e32 v91, vcc, v1, v91, vcc
	v_lshlrev_b64 v[92:93], 3, v[94:95]
	v_add_co_u32_e32 v92, vcc, s4, v92
	v_add_u32_e32 v96, s17, v94
	v_addc_co_u32_e32 v93, vcc, v1, v93, vcc
	v_ashrrev_i32_e32 v97, 31, v96
	v_lshlrev_b32_e32 v1, 3, v0
	v_lshlrev_b64 v[94:95], 3, v[96:97]
	global_load_dwordx2 v[112:113], v1, s[4:5]
	global_load_dwordx2 v[116:117], v[2:3], off
	global_load_dwordx2 v[118:119], v[4:5], off
	;; [unrolled: 1-line block ×3, first 2 shown]
	v_mov_b32_e32 v97, s5
	v_add_co_u32_e32 v100, vcc, s4, v1
	s_ashr_i32 s7, s17, 31
	s_mov_b32 s6, s17
	v_addc_co_u32_e32 v101, vcc, 0, v97, vcc
	s_lshl_b64 s[6:7], s[6:7], 3
	v_mov_b32_e32 v97, s7
	v_add_co_u32_e32 v104, vcc, s6, v100
	v_addc_co_u32_e32 v105, vcc, v101, v97, vcc
	global_load_dwordx2 v[114:115], v[104:105], off
	global_load_dwordx2 v[126:127], v[12:13], off
	;; [unrolled: 1-line block ×4, first 2 shown]
	v_mov_b32_e32 v98, s5
	v_add_co_u32_e32 v94, vcc, s4, v94
	v_addc_co_u32_e32 v95, vcc, v98, v95, vcc
	v_add_u32_e32 v98, s17, v96
	v_ashrrev_i32_e32 v99, 31, v98
	v_lshlrev_b64 v[96:97], 3, v[98:99]
	v_mov_b32_e32 v102, s5
	v_add_co_u32_e32 v96, vcc, s4, v96
	v_addc_co_u32_e32 v97, vcc, v102, v97, vcc
	v_add_u32_e32 v102, s17, v98
	global_load_dwordx2 v[128:129], v[14:15], off
	global_load_dwordx2 v[130:131], v[16:17], off
	v_ashrrev_i32_e32 v103, 31, v102
	v_lshlrev_b64 v[98:99], 3, v[102:103]
	v_mov_b32_e32 v106, s5
	v_add_co_u32_e32 v98, vcc, s4, v98
	v_addc_co_u32_e32 v99, vcc, v106, v99, vcc
	v_add_u32_e32 v106, s17, v102
	v_ashrrev_i32_e32 v107, 31, v106
	v_lshlrev_b64 v[102:103], 3, v[106:107]
	v_mov_b32_e32 v108, s5
	v_add_co_u32_e32 v102, vcc, s4, v102
	global_load_dwordx2 v[132:133], v[18:19], off
	global_load_dwordx2 v[134:135], v[20:21], off
	;; [unrolled: 1-line block ×4, first 2 shown]
	v_addc_co_u32_e32 v103, vcc, v108, v103, vcc
	v_add_u32_e32 v108, s17, v106
	v_ashrrev_i32_e32 v109, 31, v108
	v_lshlrev_b64 v[106:107], 3, v[108:109]
	v_mov_b32_e32 v110, s5
	v_add_co_u32_e32 v106, vcc, s4, v106
	v_addc_co_u32_e32 v107, vcc, v110, v107, vcc
	v_add_u32_e32 v110, s17, v108
	v_ashrrev_i32_e32 v111, 31, v110
	v_lshlrev_b64 v[108:109], 3, v[110:111]
	v_add_u32_e32 v110, s17, v110
	v_mov_b32_e32 v146, s5
	v_add_co_u32_e32 v108, vcc, s4, v108
	v_ashrrev_i32_e32 v111, 31, v110
	v_addc_co_u32_e32 v109, vcc, v146, v109, vcc
	v_lshlrev_b64 v[110:111], 3, v[110:111]
	v_mov_b32_e32 v162, s5
	v_add_co_u32_e32 v110, vcc, s4, v110
	global_load_dwordx2 v[140:141], v[26:27], off
	global_load_dwordx2 v[142:143], v[28:29], off
	;; [unrolled: 1-line block ×11, first 2 shown]
	v_addc_co_u32_e32 v111, vcc, v162, v111, vcc
	global_load_dwordx2 v[162:163], v[48:49], off
	global_load_dwordx2 v[164:165], v[110:111], off
	;; [unrolled: 1-line block ×17, first 2 shown]
	s_cmpk_lg_i32 s13, 0x84
	s_waitcnt vmcnt(41)
	buffer_store_dword v113, off, s[0:3], 0 offset:4
	buffer_store_dword v112, off, s[0:3], 0
	global_load_dwordx2 v[112:113], v[54:55], off
	s_cselect_b64 s[8:9], -1, 0
	s_waitcnt vmcnt(40)
	buffer_store_dword v115, off, s[0:3], 0 offset:12
	buffer_store_dword v114, off, s[0:3], 0 offset:8
	global_load_dwordx2 v[114:115], v[58:59], off
	s_cmpk_eq_i32 s13, 0x84
	buffer_store_dword v117, off, s[0:3], 0 offset:20
	buffer_store_dword v116, off, s[0:3], 0 offset:16
	global_load_dwordx2 v[116:117], v[62:63], off
	s_nop 0
	buffer_store_dword v119, off, s[0:3], 0 offset:28
	buffer_store_dword v118, off, s[0:3], 0 offset:24
	global_load_dwordx2 v[118:119], v[66:67], off
	s_nop 0
	buffer_store_dword v121, off, s[0:3], 0 offset:36
	buffer_store_dword v120, off, s[0:3], 0 offset:32
	global_load_dwordx2 v[120:121], v[70:71], off
	s_waitcnt vmcnt(50)
	buffer_store_dword v123, off, s[0:3], 0 offset:44
	buffer_store_dword v122, off, s[0:3], 0 offset:40
	global_load_dwordx2 v[122:123], v[74:75], off
	s_waitcnt vmcnt(52)
	buffer_store_dword v125, off, s[0:3], 0 offset:52
	buffer_store_dword v124, off, s[0:3], 0 offset:48
	global_load_dwordx2 v[124:125], v[78:79], off
	s_nop 0
	buffer_store_dword v127, off, s[0:3], 0 offset:60
	buffer_store_dword v126, off, s[0:3], 0 offset:56
	global_load_dwordx2 v[126:127], v[82:83], off
	s_waitcnt vmcnt(57)
	buffer_store_dword v129, off, s[0:3], 0 offset:68
	buffer_store_dword v128, off, s[0:3], 0 offset:64
	global_load_dwordx2 v[128:129], v[86:87], off
	s_waitcnt vmcnt(59)
	;; [unrolled: 4-line block ×4, first 2 shown]
	buffer_store_dword v134, off, s[0:3], 0 offset:88
	buffer_store_dword v135, off, s[0:3], 0 offset:92
	global_load_dwordx2 v[134:135], v[98:99], off
	s_nop 0
	buffer_store_dword v136, off, s[0:3], 0 offset:96
	buffer_store_dword v137, off, s[0:3], 0 offset:100
	global_load_dwordx2 v[136:137], v[106:107], off
	s_waitcnt vmcnt(62)
	buffer_store_dword v138, off, s[0:3], 0 offset:104
	buffer_store_dword v139, off, s[0:3], 0 offset:108
	;; [unrolled: 1-line block ×12, first 2 shown]
	s_waitcnt vmcnt(62)
	buffer_store_dword v151, off, s[0:3], 0 offset:156
	buffer_store_dword v150, off, s[0:3], 0 offset:152
	;; [unrolled: 1-line block ×18, first 2 shown]
	s_waitcnt vmcnt(62)
	buffer_store_dword v112, off, s[0:3], 0 offset:224
	buffer_store_dword v113, off, s[0:3], 0 offset:228
	;; [unrolled: 1-line block ×8, first 2 shown]
	s_waitcnt vmcnt(62)
	buffer_store_dword v117, off, s[0:3], 0 offset:260
	buffer_store_dword v116, off, s[0:3], 0 offset:256
	;; [unrolled: 1-line block ×12, first 2 shown]
	s_waitcnt vmcnt(62)
	buffer_store_dword v123, off, s[0:3], 0 offset:308
	buffer_store_dword v122, off, s[0:3], 0 offset:304
	;; [unrolled: 1-line block ×16, first 2 shown]
	s_waitcnt vmcnt(62)
	buffer_store_dword v130, off, s[0:3], 0 offset:368
	buffer_store_dword v131, off, s[0:3], 0 offset:372
	;; [unrolled: 1-line block ×18, first 2 shown]
	v_mov_b32_e32 v112, 0
	v_mov_b32_e32 v167, 0
	;; [unrolled: 1-line block ×3, first 2 shown]
	s_cbranch_scc1 .LBB54_3
; %bb.2:
	v_lshl_add_u32 v122, v0, 3, v167
	buffer_load_dword v112, v122, s[0:3], 0 offen
	buffer_load_dword v113, v122, s[0:3], 0 offen offset:4
	s_waitcnt vmcnt(0)
	v_div_scale_f64 v[114:115], s[4:5], v[112:113], v[112:113], 1.0
	v_rcp_f64_e32 v[116:117], v[114:115]
	v_div_scale_f64 v[118:119], vcc, 1.0, v[112:113], 1.0
	v_fma_f64 v[120:121], -v[114:115], v[116:117], 1.0
	v_fmac_f64_e32 v[116:117], v[116:117], v[120:121]
	v_fma_f64 v[120:121], -v[114:115], v[116:117], 1.0
	v_fmac_f64_e32 v[116:117], v[116:117], v[120:121]
	v_mul_f64 v[120:121], v[118:119], v[116:117]
	v_fma_f64 v[114:115], -v[114:115], v[120:121], v[118:119]
	v_div_fmas_f64 v[114:115], v[114:115], v[116:117], v[120:121]
	v_div_fixup_f64 v[112:113], v[114:115], v[112:113], 1.0
	buffer_store_dword v112, v122, s[0:3], 0 offen
	buffer_store_dword v113, v122, s[0:3], 0 offen offset:4
	v_xor_b32_e32 v113, 0x80000000, v113
.LBB54_3:
	s_cmpk_eq_i32 s12, 0x79
	v_add_u32_e32 v114, 0x1c0, v1
	v_add_u32_e32 v115, 0, v1
	s_mov_b64 s[4:5], -1
	ds_write_b64 v1, v[112:113]
	s_cbranch_scc1 .LBB54_537
; %bb.4:
	buffer_load_dword v112, off, s[0:3], 0 offset:424
	buffer_load_dword v113, off, s[0:3], 0 offset:428
	v_cmp_eq_u32_e64 s[4:5], 54, v0
	s_waitcnt vmcnt(0)
	ds_write_b64 v114, v[112:113]
	s_waitcnt lgkmcnt(0)
	; wave barrier
	s_waitcnt lgkmcnt(0)
	s_and_saveexec_b64 s[6:7], s[4:5]
	s_cbranch_execz .LBB54_10
; %bb.5:
	s_and_b64 vcc, exec, s[8:9]
	s_cbranch_vccz .LBB54_7
; %bb.6:
	buffer_load_dword v112, v115, s[0:3], 0 offen
	buffer_load_dword v113, v115, s[0:3], 0 offen offset:4
	ds_read_b64 v[116:117], v114
	s_waitcnt vmcnt(0) lgkmcnt(0)
	v_mul_f64 v[112:113], v[112:113], v[116:117]
	s_cbranch_execz .LBB54_8
	s_branch .LBB54_9
.LBB54_7:
                                        ; implicit-def: $vgpr112_vgpr113
.LBB54_8:
	ds_read_b64 v[112:113], v114
.LBB54_9:
	v_mov_b32_e32 v116, 0
	ds_read_b64 v[116:117], v116 offset:424
	s_waitcnt lgkmcnt(0)
	v_mul_f64 v[112:113], v[112:113], v[116:117]
	buffer_store_dword v113, off, s[0:3], 0 offset:428
	buffer_store_dword v112, off, s[0:3], 0 offset:424
.LBB54_10:
	s_or_b64 exec, exec, s[6:7]
	buffer_load_dword v112, off, s[0:3], 0 offset:416
	buffer_load_dword v113, off, s[0:3], 0 offset:420
	v_or_b32_e32 v116, 8, v167
	v_add_u32_e32 v117, 16, v167
	v_add_u32_e32 v118, 24, v167
	;; [unrolled: 1-line block ×51, first 2 shown]
	v_cmp_lt_u32_e64 s[6:7], 52, v0
	s_waitcnt vmcnt(0)
	ds_write_b64 v114, v[112:113]
	s_waitcnt lgkmcnt(0)
	; wave barrier
	s_waitcnt lgkmcnt(0)
	s_and_saveexec_b64 s[10:11], s[6:7]
	s_cbranch_execz .LBB54_16
; %bb.11:
	s_andn2_b64 vcc, exec, s[8:9]
	s_cbranch_vccnz .LBB54_13
; %bb.12:
	buffer_load_dword v112, v115, s[0:3], 0 offen
	buffer_load_dword v113, v115, s[0:3], 0 offen offset:4
	ds_read_b64 v[168:169], v114
	s_waitcnt vmcnt(0) lgkmcnt(0)
	v_mul_f64 v[112:113], v[112:113], v[168:169]
	s_cbranch_execz .LBB54_14
	s_branch .LBB54_15
.LBB54_13:
                                        ; implicit-def: $vgpr112_vgpr113
.LBB54_14:
	ds_read_b64 v[112:113], v114
.LBB54_15:
	buffer_load_dword v172, off, s[0:3], 0 offset:424
	buffer_load_dword v173, off, s[0:3], 0 offset:428
	v_mov_b32_e32 v168, 0
	ds_read2_b64 v[168:171], v168 offset0:52 offset1:109
	s_waitcnt vmcnt(0) lgkmcnt(0)
	v_fma_f64 v[170:171], v[172:173], v[170:171], v[112:113]
	v_cndmask_b32_e64 v113, v113, v171, s[4:5]
	v_cndmask_b32_e64 v112, v112, v170, s[4:5]
	v_mul_f64 v[112:113], v[112:113], v[168:169]
	buffer_store_dword v113, off, s[0:3], 0 offset:420
	buffer_store_dword v112, off, s[0:3], 0 offset:416
.LBB54_16:
	s_or_b64 exec, exec, s[10:11]
	buffer_load_dword v112, off, s[0:3], 0 offset:408
	buffer_load_dword v113, off, s[0:3], 0 offset:412
	v_cmp_lt_u32_e64 s[4:5], 51, v0
	s_waitcnt vmcnt(0)
	ds_write_b64 v114, v[112:113]
	s_waitcnt lgkmcnt(0)
	; wave barrier
	s_waitcnt lgkmcnt(0)
	s_and_saveexec_b64 s[10:11], s[4:5]
	s_cbranch_execz .LBB54_26
; %bb.17:
	s_andn2_b64 vcc, exec, s[8:9]
	s_cbranch_vccnz .LBB54_19
; %bb.18:
	buffer_load_dword v112, v115, s[0:3], 0 offen
	buffer_load_dword v113, v115, s[0:3], 0 offen offset:4
	ds_read_b64 v[168:169], v114
	s_waitcnt vmcnt(0) lgkmcnt(0)
	v_mul_f64 v[112:113], v[112:113], v[168:169]
	s_cbranch_execz .LBB54_20
	s_branch .LBB54_21
.LBB54_19:
                                        ; implicit-def: $vgpr112_vgpr113
.LBB54_20:
	ds_read_b64 v[112:113], v114
.LBB54_21:
	s_and_saveexec_b64 s[12:13], s[6:7]
	s_cbranch_execz .LBB54_25
; %bb.22:
	v_subrev_u32_e32 v168, 52, v0
	s_movk_i32 s14, 0x360
	s_mov_b64 s[6:7], 0
.LBB54_23:                              ; =>This Inner Loop Header: Depth=1
	buffer_load_dword v170, v167, s[0:3], 0 offen
	buffer_load_dword v171, v167, s[0:3], 0 offen offset:4
	v_mov_b32_e32 v169, s14
	ds_read_b64 v[172:173], v169
	v_add_u32_e32 v168, -1, v168
	s_add_i32 s14, s14, 8
	v_cmp_eq_u32_e32 vcc, 0, v168
	v_add_u32_e32 v167, 8, v167
	s_or_b64 s[6:7], vcc, s[6:7]
	s_waitcnt vmcnt(0) lgkmcnt(0)
	v_fmac_f64_e32 v[112:113], v[170:171], v[172:173]
	s_andn2_b64 exec, exec, s[6:7]
	s_cbranch_execnz .LBB54_23
; %bb.24:
	s_or_b64 exec, exec, s[6:7]
.LBB54_25:
	s_or_b64 exec, exec, s[12:13]
	v_mov_b32_e32 v167, 0
	ds_read_b64 v[168:169], v167 offset:408
	s_waitcnt lgkmcnt(0)
	v_mul_f64 v[112:113], v[112:113], v[168:169]
	buffer_store_dword v113, off, s[0:3], 0 offset:412
	buffer_store_dword v112, off, s[0:3], 0 offset:408
.LBB54_26:
	s_or_b64 exec, exec, s[10:11]
	buffer_load_dword v112, off, s[0:3], 0 offset:400
	buffer_load_dword v113, off, s[0:3], 0 offset:404
	v_cmp_lt_u32_e64 s[6:7], 50, v0
	s_waitcnt vmcnt(0)
	ds_write_b64 v114, v[112:113]
	s_waitcnt lgkmcnt(0)
	; wave barrier
	s_waitcnt lgkmcnt(0)
	s_and_saveexec_b64 s[10:11], s[6:7]
	s_cbranch_execz .LBB54_36
; %bb.27:
	s_andn2_b64 vcc, exec, s[8:9]
	s_cbranch_vccnz .LBB54_29
; %bb.28:
	buffer_load_dword v112, v115, s[0:3], 0 offen
	buffer_load_dword v113, v115, s[0:3], 0 offen offset:4
	ds_read_b64 v[168:169], v114
	s_waitcnt vmcnt(0) lgkmcnt(0)
	v_mul_f64 v[112:113], v[112:113], v[168:169]
	s_cbranch_execz .LBB54_30
	s_branch .LBB54_31
.LBB54_29:
                                        ; implicit-def: $vgpr112_vgpr113
.LBB54_30:
	ds_read_b64 v[112:113], v114
.LBB54_31:
	s_and_saveexec_b64 s[12:13], s[4:5]
	s_cbranch_execz .LBB54_35
; %bb.32:
	v_subrev_u32_e32 v167, 51, v0
	s_movk_i32 s14, 0x358
	s_mov_b64 s[4:5], 0
.LBB54_33:                              ; =>This Inner Loop Header: Depth=1
	buffer_load_dword v168, v166, s[0:3], 0 offen
	buffer_load_dword v169, v166, s[0:3], 0 offen offset:4
	v_mov_b32_e32 v170, s14
	ds_read_b64 v[170:171], v170
	v_add_u32_e32 v167, -1, v167
	s_add_i32 s14, s14, 8
	v_cmp_eq_u32_e32 vcc, 0, v167
	v_add_u32_e32 v166, 8, v166
	s_or_b64 s[4:5], vcc, s[4:5]
	s_waitcnt vmcnt(0) lgkmcnt(0)
	v_fmac_f64_e32 v[112:113], v[168:169], v[170:171]
	s_andn2_b64 exec, exec, s[4:5]
	s_cbranch_execnz .LBB54_33
; %bb.34:
	s_or_b64 exec, exec, s[4:5]
.LBB54_35:
	s_or_b64 exec, exec, s[12:13]
	v_mov_b32_e32 v166, 0
	ds_read_b64 v[166:167], v166 offset:400
	s_waitcnt lgkmcnt(0)
	v_mul_f64 v[112:113], v[112:113], v[166:167]
	buffer_store_dword v113, off, s[0:3], 0 offset:404
	buffer_store_dword v112, off, s[0:3], 0 offset:400
.LBB54_36:
	;; [unrolled: 58-line block ×8, first 2 shown]
	s_or_b64 exec, exec, s[10:11]
	buffer_load_dword v112, off, s[0:3], 0 offset:344
	buffer_load_dword v113, off, s[0:3], 0 offset:348
	v_cmp_lt_u32_e64 s[4:5], 43, v0
	s_waitcnt vmcnt(0)
	ds_write_b64 v114, v[112:113]
	s_waitcnt lgkmcnt(0)
	; wave barrier
	s_waitcnt lgkmcnt(0)
	s_and_saveexec_b64 s[10:11], s[4:5]
	s_cbranch_execz .LBB54_106
; %bb.97:
	s_andn2_b64 vcc, exec, s[8:9]
	s_cbranch_vccnz .LBB54_99
; %bb.98:
	buffer_load_dword v112, v115, s[0:3], 0 offen
	buffer_load_dword v113, v115, s[0:3], 0 offen offset:4
	ds_read_b64 v[160:161], v114
	s_waitcnt vmcnt(0) lgkmcnt(0)
	v_mul_f64 v[112:113], v[112:113], v[160:161]
	s_cbranch_execz .LBB54_100
	s_branch .LBB54_101
.LBB54_99:
                                        ; implicit-def: $vgpr112_vgpr113
.LBB54_100:
	ds_read_b64 v[112:113], v114
.LBB54_101:
	s_and_saveexec_b64 s[12:13], s[6:7]
	s_cbranch_execz .LBB54_105
; %bb.102:
	v_subrev_u32_e32 v160, 44, v0
	s_movk_i32 s14, 0x320
	s_mov_b64 s[6:7], 0
.LBB54_103:                             ; =>This Inner Loop Header: Depth=1
	buffer_load_dword v162, v159, s[0:3], 0 offen
	buffer_load_dword v163, v159, s[0:3], 0 offen offset:4
	v_mov_b32_e32 v161, s14
	ds_read_b64 v[164:165], v161
	v_add_u32_e32 v160, -1, v160
	s_add_i32 s14, s14, 8
	v_cmp_eq_u32_e32 vcc, 0, v160
	v_add_u32_e32 v159, 8, v159
	s_or_b64 s[6:7], vcc, s[6:7]
	s_waitcnt vmcnt(0) lgkmcnt(0)
	v_fmac_f64_e32 v[112:113], v[162:163], v[164:165]
	s_andn2_b64 exec, exec, s[6:7]
	s_cbranch_execnz .LBB54_103
; %bb.104:
	s_or_b64 exec, exec, s[6:7]
.LBB54_105:
	s_or_b64 exec, exec, s[12:13]
	v_mov_b32_e32 v159, 0
	ds_read_b64 v[160:161], v159 offset:344
	s_waitcnt lgkmcnt(0)
	v_mul_f64 v[112:113], v[112:113], v[160:161]
	buffer_store_dword v113, off, s[0:3], 0 offset:348
	buffer_store_dword v112, off, s[0:3], 0 offset:344
.LBB54_106:
	s_or_b64 exec, exec, s[10:11]
	buffer_load_dword v112, off, s[0:3], 0 offset:336
	buffer_load_dword v113, off, s[0:3], 0 offset:340
	v_cmp_lt_u32_e64 s[6:7], 42, v0
	s_waitcnt vmcnt(0)
	ds_write_b64 v114, v[112:113]
	s_waitcnt lgkmcnt(0)
	; wave barrier
	s_waitcnt lgkmcnt(0)
	s_and_saveexec_b64 s[10:11], s[6:7]
	s_cbranch_execz .LBB54_116
; %bb.107:
	s_andn2_b64 vcc, exec, s[8:9]
	s_cbranch_vccnz .LBB54_109
; %bb.108:
	buffer_load_dword v112, v115, s[0:3], 0 offen
	buffer_load_dword v113, v115, s[0:3], 0 offen offset:4
	ds_read_b64 v[160:161], v114
	s_waitcnt vmcnt(0) lgkmcnt(0)
	v_mul_f64 v[112:113], v[112:113], v[160:161]
	s_cbranch_execz .LBB54_110
	s_branch .LBB54_111
.LBB54_109:
                                        ; implicit-def: $vgpr112_vgpr113
.LBB54_110:
	ds_read_b64 v[112:113], v114
.LBB54_111:
	s_and_saveexec_b64 s[12:13], s[4:5]
	s_cbranch_execz .LBB54_115
; %bb.112:
	v_subrev_u32_e32 v159, 43, v0
	s_movk_i32 s14, 0x318
	s_mov_b64 s[4:5], 0
.LBB54_113:                             ; =>This Inner Loop Header: Depth=1
	buffer_load_dword v160, v158, s[0:3], 0 offen
	buffer_load_dword v161, v158, s[0:3], 0 offen offset:4
	v_mov_b32_e32 v162, s14
	ds_read_b64 v[162:163], v162
	v_add_u32_e32 v159, -1, v159
	s_add_i32 s14, s14, 8
	v_cmp_eq_u32_e32 vcc, 0, v159
	v_add_u32_e32 v158, 8, v158
	s_or_b64 s[4:5], vcc, s[4:5]
	s_waitcnt vmcnt(0) lgkmcnt(0)
	v_fmac_f64_e32 v[112:113], v[160:161], v[162:163]
	s_andn2_b64 exec, exec, s[4:5]
	s_cbranch_execnz .LBB54_113
; %bb.114:
	s_or_b64 exec, exec, s[4:5]
.LBB54_115:
	s_or_b64 exec, exec, s[12:13]
	v_mov_b32_e32 v158, 0
	ds_read_b64 v[158:159], v158 offset:336
	s_waitcnt lgkmcnt(0)
	v_mul_f64 v[112:113], v[112:113], v[158:159]
	buffer_store_dword v113, off, s[0:3], 0 offset:340
	buffer_store_dword v112, off, s[0:3], 0 offset:336
.LBB54_116:
	;; [unrolled: 58-line block ×28, first 2 shown]
	s_or_b64 exec, exec, s[10:11]
	buffer_load_dword v112, off, s[0:3], 0 offset:120
	buffer_load_dword v113, off, s[0:3], 0 offset:124
	v_cmp_lt_u32_e64 s[4:5], 15, v0
	s_waitcnt vmcnt(0)
	ds_write_b64 v114, v[112:113]
	s_waitcnt lgkmcnt(0)
	; wave barrier
	s_waitcnt lgkmcnt(0)
	s_and_saveexec_b64 s[10:11], s[4:5]
	s_cbranch_execz .LBB54_386
; %bb.377:
	s_andn2_b64 vcc, exec, s[8:9]
	s_cbranch_vccnz .LBB54_379
; %bb.378:
	buffer_load_dword v112, v115, s[0:3], 0 offen
	buffer_load_dword v113, v115, s[0:3], 0 offen offset:4
	ds_read_b64 v[132:133], v114
	s_waitcnt vmcnt(0) lgkmcnt(0)
	v_mul_f64 v[112:113], v[112:113], v[132:133]
	s_cbranch_execz .LBB54_380
	s_branch .LBB54_381
.LBB54_379:
                                        ; implicit-def: $vgpr112_vgpr113
.LBB54_380:
	ds_read_b64 v[112:113], v114
.LBB54_381:
	s_and_saveexec_b64 s[12:13], s[6:7]
	s_cbranch_execz .LBB54_385
; %bb.382:
	v_add_u32_e32 v132, -16, v0
	s_movk_i32 s14, 0x240
	s_mov_b64 s[6:7], 0
.LBB54_383:                             ; =>This Inner Loop Header: Depth=1
	buffer_load_dword v134, v131, s[0:3], 0 offen
	buffer_load_dword v135, v131, s[0:3], 0 offen offset:4
	v_mov_b32_e32 v133, s14
	ds_read_b64 v[136:137], v133
	v_add_u32_e32 v132, -1, v132
	s_add_i32 s14, s14, 8
	v_cmp_eq_u32_e32 vcc, 0, v132
	v_add_u32_e32 v131, 8, v131
	s_or_b64 s[6:7], vcc, s[6:7]
	s_waitcnt vmcnt(0) lgkmcnt(0)
	v_fmac_f64_e32 v[112:113], v[134:135], v[136:137]
	s_andn2_b64 exec, exec, s[6:7]
	s_cbranch_execnz .LBB54_383
; %bb.384:
	s_or_b64 exec, exec, s[6:7]
.LBB54_385:
	s_or_b64 exec, exec, s[12:13]
	v_mov_b32_e32 v131, 0
	ds_read_b64 v[132:133], v131 offset:120
	s_waitcnt lgkmcnt(0)
	v_mul_f64 v[112:113], v[112:113], v[132:133]
	buffer_store_dword v113, off, s[0:3], 0 offset:124
	buffer_store_dword v112, off, s[0:3], 0 offset:120
.LBB54_386:
	s_or_b64 exec, exec, s[10:11]
	buffer_load_dword v112, off, s[0:3], 0 offset:112
	buffer_load_dword v113, off, s[0:3], 0 offset:116
	v_cmp_lt_u32_e64 s[6:7], 14, v0
	s_waitcnt vmcnt(0)
	ds_write_b64 v114, v[112:113]
	s_waitcnt lgkmcnt(0)
	; wave barrier
	s_waitcnt lgkmcnt(0)
	s_and_saveexec_b64 s[10:11], s[6:7]
	s_cbranch_execz .LBB54_396
; %bb.387:
	s_andn2_b64 vcc, exec, s[8:9]
	s_cbranch_vccnz .LBB54_389
; %bb.388:
	buffer_load_dword v112, v115, s[0:3], 0 offen
	buffer_load_dword v113, v115, s[0:3], 0 offen offset:4
	ds_read_b64 v[132:133], v114
	s_waitcnt vmcnt(0) lgkmcnt(0)
	v_mul_f64 v[112:113], v[112:113], v[132:133]
	s_cbranch_execz .LBB54_390
	s_branch .LBB54_391
.LBB54_389:
                                        ; implicit-def: $vgpr112_vgpr113
.LBB54_390:
	ds_read_b64 v[112:113], v114
.LBB54_391:
	s_and_saveexec_b64 s[12:13], s[4:5]
	s_cbranch_execz .LBB54_395
; %bb.392:
	v_add_u32_e32 v131, -15, v0
	s_movk_i32 s14, 0x238
	s_mov_b64 s[4:5], 0
.LBB54_393:                             ; =>This Inner Loop Header: Depth=1
	buffer_load_dword v132, v130, s[0:3], 0 offen
	buffer_load_dword v133, v130, s[0:3], 0 offen offset:4
	v_mov_b32_e32 v134, s14
	ds_read_b64 v[134:135], v134
	v_add_u32_e32 v131, -1, v131
	s_add_i32 s14, s14, 8
	v_cmp_eq_u32_e32 vcc, 0, v131
	v_add_u32_e32 v130, 8, v130
	s_or_b64 s[4:5], vcc, s[4:5]
	s_waitcnt vmcnt(0) lgkmcnt(0)
	v_fmac_f64_e32 v[112:113], v[132:133], v[134:135]
	s_andn2_b64 exec, exec, s[4:5]
	s_cbranch_execnz .LBB54_393
; %bb.394:
	s_or_b64 exec, exec, s[4:5]
.LBB54_395:
	s_or_b64 exec, exec, s[12:13]
	v_mov_b32_e32 v130, 0
	ds_read_b64 v[130:131], v130 offset:112
	s_waitcnt lgkmcnt(0)
	v_mul_f64 v[112:113], v[112:113], v[130:131]
	buffer_store_dword v113, off, s[0:3], 0 offset:116
	buffer_store_dword v112, off, s[0:3], 0 offset:112
.LBB54_396:
	;; [unrolled: 58-line block ×15, first 2 shown]
	s_or_b64 exec, exec, s[10:11]
	buffer_load_dword v112, off, s[0:3], 0
	buffer_load_dword v113, off, s[0:3], 0 offset:4
	v_cmp_ne_u32_e32 vcc, 0, v0
	s_waitcnt vmcnt(0)
	ds_write_b64 v114, v[112:113]
	s_waitcnt lgkmcnt(0)
	; wave barrier
	s_waitcnt lgkmcnt(0)
	s_and_saveexec_b64 s[6:7], vcc
	s_cbranch_execz .LBB54_536
; %bb.527:
	s_andn2_b64 vcc, exec, s[8:9]
	s_cbranch_vccnz .LBB54_529
; %bb.528:
	buffer_load_dword v112, v115, s[0:3], 0 offen
	buffer_load_dword v113, v115, s[0:3], 0 offen offset:4
	ds_read_b64 v[118:119], v114
	s_waitcnt vmcnt(0) lgkmcnt(0)
	v_mul_f64 v[112:113], v[112:113], v[118:119]
	s_cbranch_execz .LBB54_530
	s_branch .LBB54_531
.LBB54_529:
                                        ; implicit-def: $vgpr112_vgpr113
.LBB54_530:
	ds_read_b64 v[112:113], v114
.LBB54_531:
	s_and_saveexec_b64 s[10:11], s[4:5]
	s_cbranch_execz .LBB54_535
; %bb.532:
	v_add_u32_e32 v117, -1, v0
	s_movk_i32 s12, 0x1c8
	s_mov_b64 s[4:5], 0
.LBB54_533:                             ; =>This Inner Loop Header: Depth=1
	buffer_load_dword v118, v116, s[0:3], 0 offen
	buffer_load_dword v119, v116, s[0:3], 0 offen offset:4
	v_mov_b32_e32 v120, s12
	ds_read_b64 v[120:121], v120
	v_add_u32_e32 v117, -1, v117
	s_add_i32 s12, s12, 8
	v_cmp_eq_u32_e32 vcc, 0, v117
	v_add_u32_e32 v116, 8, v116
	s_or_b64 s[4:5], vcc, s[4:5]
	s_waitcnt vmcnt(0) lgkmcnt(0)
	v_fmac_f64_e32 v[112:113], v[118:119], v[120:121]
	s_andn2_b64 exec, exec, s[4:5]
	s_cbranch_execnz .LBB54_533
; %bb.534:
	s_or_b64 exec, exec, s[4:5]
.LBB54_535:
	s_or_b64 exec, exec, s[10:11]
	v_mov_b32_e32 v116, 0
	ds_read_b64 v[116:117], v116
	s_waitcnt lgkmcnt(0)
	v_mul_f64 v[112:113], v[112:113], v[116:117]
	buffer_store_dword v113, off, s[0:3], 0 offset:4
	buffer_store_dword v112, off, s[0:3], 0
.LBB54_536:
	s_or_b64 exec, exec, s[6:7]
	s_mov_b64 s[4:5], 0
.LBB54_537:
	s_and_b64 vcc, exec, s[4:5]
	s_cbranch_vccz .LBB54_1071
; %bb.538:
	buffer_load_dword v112, off, s[0:3], 0 offset:8
	buffer_load_dword v113, off, s[0:3], 0 offset:12
	v_cmp_eq_u32_e64 s[6:7], 0, v0
	s_waitcnt vmcnt(0)
	ds_write_b64 v114, v[112:113]
	s_waitcnt lgkmcnt(0)
	; wave barrier
	s_waitcnt lgkmcnt(0)
	s_and_saveexec_b64 s[4:5], s[6:7]
	s_cbranch_execz .LBB54_544
; %bb.539:
	s_and_b64 vcc, exec, s[8:9]
	s_cbranch_vccz .LBB54_541
; %bb.540:
	buffer_load_dword v112, v115, s[0:3], 0 offen
	buffer_load_dword v113, v115, s[0:3], 0 offen offset:4
	ds_read_b64 v[116:117], v114
	s_waitcnt vmcnt(0) lgkmcnt(0)
	v_mul_f64 v[112:113], v[112:113], v[116:117]
	s_cbranch_execz .LBB54_542
	s_branch .LBB54_543
.LBB54_541:
                                        ; implicit-def: $vgpr112_vgpr113
.LBB54_542:
	ds_read_b64 v[112:113], v114
.LBB54_543:
	v_mov_b32_e32 v116, 0
	ds_read_b64 v[116:117], v116 offset:8
	s_waitcnt lgkmcnt(0)
	v_mul_f64 v[112:113], v[112:113], v[116:117]
	buffer_store_dword v113, off, s[0:3], 0 offset:12
	buffer_store_dword v112, off, s[0:3], 0 offset:8
.LBB54_544:
	s_or_b64 exec, exec, s[4:5]
	buffer_load_dword v112, off, s[0:3], 0 offset:16
	buffer_load_dword v113, off, s[0:3], 0 offset:20
	v_cndmask_b32_e64 v116, 0, 1, s[8:9]
	v_cmp_gt_u32_e32 vcc, 2, v0
	v_cmp_ne_u32_e64 s[4:5], 1, v116
	s_waitcnt vmcnt(0)
	ds_write_b64 v114, v[112:113]
	s_waitcnt lgkmcnt(0)
	; wave barrier
	s_waitcnt lgkmcnt(0)
	s_and_saveexec_b64 s[8:9], vcc
	s_cbranch_execz .LBB54_552
; %bb.545:
	s_and_b64 vcc, exec, s[4:5]
	s_cbranch_vccnz .LBB54_547
; %bb.546:
	buffer_load_dword v112, v115, s[0:3], 0 offen
	buffer_load_dword v113, v115, s[0:3], 0 offen offset:4
	ds_read_b64 v[116:117], v114
	s_waitcnt vmcnt(0) lgkmcnt(0)
	v_mul_f64 v[112:113], v[112:113], v[116:117]
	s_cbranch_execz .LBB54_548
	s_branch .LBB54_549
.LBB54_547:
                                        ; implicit-def: $vgpr112_vgpr113
.LBB54_548:
	ds_read_b64 v[112:113], v114
.LBB54_549:
	s_and_saveexec_b64 s[10:11], s[6:7]
	s_cbranch_execz .LBB54_551
; %bb.550:
	buffer_load_dword v116, v115, s[0:3], 0 offen offset:8
	buffer_load_dword v117, v115, s[0:3], 0 offen offset:12
	ds_read_b64 v[118:119], v114 offset:8
	s_waitcnt vmcnt(0) lgkmcnt(0)
	v_fmac_f64_e32 v[112:113], v[116:117], v[118:119]
.LBB54_551:
	s_or_b64 exec, exec, s[10:11]
	v_mov_b32_e32 v116, 0
	ds_read_b64 v[116:117], v116 offset:16
	s_waitcnt lgkmcnt(0)
	v_mul_f64 v[112:113], v[112:113], v[116:117]
	buffer_store_dword v113, off, s[0:3], 0 offset:20
	buffer_store_dword v112, off, s[0:3], 0 offset:16
.LBB54_552:
	s_or_b64 exec, exec, s[8:9]
	buffer_load_dword v112, off, s[0:3], 0 offset:24
	buffer_load_dword v113, off, s[0:3], 0 offset:28
	v_cmp_gt_u32_e32 vcc, 3, v0
	s_waitcnt vmcnt(0)
	ds_write_b64 v114, v[112:113]
	s_waitcnt lgkmcnt(0)
	; wave barrier
	s_waitcnt lgkmcnt(0)
	s_and_saveexec_b64 s[8:9], vcc
	s_cbranch_execz .LBB54_560
; %bb.553:
	s_and_b64 vcc, exec, s[4:5]
	s_cbranch_vccnz .LBB54_555
; %bb.554:
	buffer_load_dword v112, v115, s[0:3], 0 offen
	buffer_load_dword v113, v115, s[0:3], 0 offen offset:4
	ds_read_b64 v[116:117], v114
	s_waitcnt vmcnt(0) lgkmcnt(0)
	v_mul_f64 v[112:113], v[112:113], v[116:117]
	s_cbranch_execz .LBB54_556
	s_branch .LBB54_557
.LBB54_555:
                                        ; implicit-def: $vgpr112_vgpr113
.LBB54_556:
	ds_read_b64 v[112:113], v114
.LBB54_557:
	v_cmp_ne_u32_e32 vcc, 2, v0
	s_and_saveexec_b64 s[10:11], vcc
	s_cbranch_execz .LBB54_559
; %bb.558:
	buffer_load_dword v117, v115, s[0:3], 0 offen offset:12
	buffer_load_dword v118, off, s[0:3], 0 offset:16
	buffer_load_dword v116, v115, s[0:3], 0 offen offset:8
	buffer_load_dword v119, off, s[0:3], 0 offset:20
	v_mov_b32_e32 v122, 0
	ds_read_b64 v[120:121], v114 offset:8
	ds_read_b64 v[122:123], v122 offset:464
	s_waitcnt vmcnt(1) lgkmcnt(1)
	v_fmac_f64_e32 v[112:113], v[116:117], v[120:121]
	s_waitcnt vmcnt(0) lgkmcnt(0)
	v_fma_f64 v[116:117], v[118:119], v[122:123], v[112:113]
	v_cndmask_b32_e64 v113, v113, v117, s[6:7]
	v_cndmask_b32_e64 v112, v112, v116, s[6:7]
.LBB54_559:
	s_or_b64 exec, exec, s[10:11]
	v_mov_b32_e32 v116, 0
	ds_read_b64 v[116:117], v116 offset:24
	s_waitcnt lgkmcnt(0)
	v_mul_f64 v[112:113], v[112:113], v[116:117]
	buffer_store_dword v113, off, s[0:3], 0 offset:28
	buffer_store_dword v112, off, s[0:3], 0 offset:24
.LBB54_560:
	s_or_b64 exec, exec, s[8:9]
	buffer_load_dword v112, off, s[0:3], 0 offset:32
	buffer_load_dword v113, off, s[0:3], 0 offset:36
	v_cmp_gt_u32_e32 vcc, 4, v0
	s_waitcnt vmcnt(0)
	ds_write_b64 v114, v[112:113]
	s_waitcnt lgkmcnt(0)
	; wave barrier
	s_waitcnt lgkmcnt(0)
	s_and_saveexec_b64 s[6:7], vcc
	s_cbranch_execz .LBB54_570
; %bb.561:
	s_and_b64 vcc, exec, s[4:5]
	s_cbranch_vccnz .LBB54_563
; %bb.562:
	buffer_load_dword v112, v115, s[0:3], 0 offen
	buffer_load_dword v113, v115, s[0:3], 0 offen offset:4
	ds_read_b64 v[116:117], v114
	s_waitcnt vmcnt(0) lgkmcnt(0)
	v_mul_f64 v[112:113], v[112:113], v[116:117]
	s_cbranch_execz .LBB54_564
	s_branch .LBB54_565
.LBB54_563:
                                        ; implicit-def: $vgpr112_vgpr113
.LBB54_564:
	ds_read_b64 v[112:113], v114
.LBB54_565:
	v_cmp_ne_u32_e32 vcc, 3, v0
	s_and_saveexec_b64 s[8:9], vcc
	s_cbranch_execz .LBB54_569
; %bb.566:
	v_mov_b32_e32 v117, 0
	v_add_u32_e32 v116, 0x1c8, v1
	v_add3_u32 v117, v1, v117, 8
	s_mov_b64 s[10:11], 0
	v_mov_b32_e32 v118, v0
.LBB54_567:                             ; =>This Inner Loop Header: Depth=1
	buffer_load_dword v120, v117, s[0:3], 0 offen
	buffer_load_dword v121, v117, s[0:3], 0 offen offset:4
	ds_read_b64 v[122:123], v116
	v_add_u32_e32 v118, 1, v118
	v_cmp_lt_u32_e32 vcc, 2, v118
	v_add_u32_e32 v116, 8, v116
	v_add_u32_e32 v117, 8, v117
	s_or_b64 s[10:11], vcc, s[10:11]
	s_waitcnt vmcnt(0) lgkmcnt(0)
	v_fmac_f64_e32 v[112:113], v[120:121], v[122:123]
	s_andn2_b64 exec, exec, s[10:11]
	s_cbranch_execnz .LBB54_567
; %bb.568:
	s_or_b64 exec, exec, s[10:11]
.LBB54_569:
	s_or_b64 exec, exec, s[8:9]
	v_mov_b32_e32 v116, 0
	ds_read_b64 v[116:117], v116 offset:32
	s_waitcnt lgkmcnt(0)
	v_mul_f64 v[112:113], v[112:113], v[116:117]
	buffer_store_dword v113, off, s[0:3], 0 offset:36
	buffer_store_dword v112, off, s[0:3], 0 offset:32
.LBB54_570:
	s_or_b64 exec, exec, s[6:7]
	buffer_load_dword v112, off, s[0:3], 0 offset:40
	buffer_load_dword v113, off, s[0:3], 0 offset:44
	v_cmp_gt_u32_e32 vcc, 5, v0
	s_waitcnt vmcnt(0)
	ds_write_b64 v114, v[112:113]
	s_waitcnt lgkmcnt(0)
	; wave barrier
	s_waitcnt lgkmcnt(0)
	s_and_saveexec_b64 s[6:7], vcc
	s_cbranch_execz .LBB54_580
; %bb.571:
	s_and_b64 vcc, exec, s[4:5]
	s_cbranch_vccnz .LBB54_573
; %bb.572:
	buffer_load_dword v112, v115, s[0:3], 0 offen
	buffer_load_dword v113, v115, s[0:3], 0 offen offset:4
	ds_read_b64 v[116:117], v114
	s_waitcnt vmcnt(0) lgkmcnt(0)
	v_mul_f64 v[112:113], v[112:113], v[116:117]
	s_cbranch_execz .LBB54_574
	s_branch .LBB54_575
.LBB54_573:
                                        ; implicit-def: $vgpr112_vgpr113
.LBB54_574:
	ds_read_b64 v[112:113], v114
.LBB54_575:
	v_cmp_ne_u32_e32 vcc, 4, v0
	s_and_saveexec_b64 s[8:9], vcc
	s_cbranch_execz .LBB54_579
; %bb.576:
	v_mov_b32_e32 v117, 0
	v_add_u32_e32 v116, 0x1c8, v1
	v_add3_u32 v117, v1, v117, 8
	s_mov_b64 s[10:11], 0
	v_mov_b32_e32 v118, v0
.LBB54_577:                             ; =>This Inner Loop Header: Depth=1
	buffer_load_dword v120, v117, s[0:3], 0 offen
	buffer_load_dword v121, v117, s[0:3], 0 offen offset:4
	ds_read_b64 v[122:123], v116
	v_add_u32_e32 v118, 1, v118
	v_cmp_lt_u32_e32 vcc, 3, v118
	v_add_u32_e32 v116, 8, v116
	v_add_u32_e32 v117, 8, v117
	s_or_b64 s[10:11], vcc, s[10:11]
	s_waitcnt vmcnt(0) lgkmcnt(0)
	v_fmac_f64_e32 v[112:113], v[120:121], v[122:123]
	s_andn2_b64 exec, exec, s[10:11]
	s_cbranch_execnz .LBB54_577
; %bb.578:
	s_or_b64 exec, exec, s[10:11]
.LBB54_579:
	s_or_b64 exec, exec, s[8:9]
	v_mov_b32_e32 v116, 0
	ds_read_b64 v[116:117], v116 offset:40
	s_waitcnt lgkmcnt(0)
	v_mul_f64 v[112:113], v[112:113], v[116:117]
	buffer_store_dword v113, off, s[0:3], 0 offset:44
	buffer_store_dword v112, off, s[0:3], 0 offset:40
.LBB54_580:
	;; [unrolled: 60-line block ×44, first 2 shown]
	s_or_b64 exec, exec, s[6:7]
	buffer_load_dword v112, off, s[0:3], 0 offset:384
	buffer_load_dword v113, off, s[0:3], 0 offset:388
	v_cmp_gt_u32_e32 vcc, 48, v0
	s_waitcnt vmcnt(0)
	ds_write_b64 v114, v[112:113]
	s_waitcnt lgkmcnt(0)
	; wave barrier
	s_waitcnt lgkmcnt(0)
	s_and_saveexec_b64 s[6:7], vcc
	s_cbranch_execz .LBB54_1010
; %bb.1001:
	s_and_b64 vcc, exec, s[4:5]
	s_cbranch_vccnz .LBB54_1003
; %bb.1002:
	buffer_load_dword v112, v115, s[0:3], 0 offen
	buffer_load_dword v113, v115, s[0:3], 0 offen offset:4
	ds_read_b64 v[116:117], v114
	s_waitcnt vmcnt(0) lgkmcnt(0)
	v_mul_f64 v[112:113], v[112:113], v[116:117]
	s_cbranch_execz .LBB54_1004
	s_branch .LBB54_1005
.LBB54_1003:
                                        ; implicit-def: $vgpr112_vgpr113
.LBB54_1004:
	ds_read_b64 v[112:113], v114
.LBB54_1005:
	v_cmp_ne_u32_e32 vcc, 47, v0
	s_and_saveexec_b64 s[8:9], vcc
	s_cbranch_execz .LBB54_1009
; %bb.1006:
	v_mov_b32_e32 v117, 0
	v_add_u32_e32 v116, 0x1c8, v1
	v_add3_u32 v117, v1, v117, 8
	s_mov_b64 s[10:11], 0
	v_mov_b32_e32 v118, v0
.LBB54_1007:                            ; =>This Inner Loop Header: Depth=1
	buffer_load_dword v120, v117, s[0:3], 0 offen
	buffer_load_dword v121, v117, s[0:3], 0 offen offset:4
	ds_read_b64 v[122:123], v116
	v_add_u32_e32 v118, 1, v118
	v_cmp_lt_u32_e32 vcc, 46, v118
	v_add_u32_e32 v116, 8, v116
	v_add_u32_e32 v117, 8, v117
	s_or_b64 s[10:11], vcc, s[10:11]
	s_waitcnt vmcnt(0) lgkmcnt(0)
	v_fmac_f64_e32 v[112:113], v[120:121], v[122:123]
	s_andn2_b64 exec, exec, s[10:11]
	s_cbranch_execnz .LBB54_1007
; %bb.1008:
	s_or_b64 exec, exec, s[10:11]
.LBB54_1009:
	s_or_b64 exec, exec, s[8:9]
	v_mov_b32_e32 v116, 0
	ds_read_b64 v[116:117], v116 offset:384
	s_waitcnt lgkmcnt(0)
	v_mul_f64 v[112:113], v[112:113], v[116:117]
	buffer_store_dword v113, off, s[0:3], 0 offset:388
	buffer_store_dword v112, off, s[0:3], 0 offset:384
.LBB54_1010:
	s_or_b64 exec, exec, s[6:7]
	buffer_load_dword v112, off, s[0:3], 0 offset:392
	buffer_load_dword v113, off, s[0:3], 0 offset:396
	v_cmp_gt_u32_e32 vcc, 49, v0
	s_waitcnt vmcnt(0)
	ds_write_b64 v114, v[112:113]
	s_waitcnt lgkmcnt(0)
	; wave barrier
	s_waitcnt lgkmcnt(0)
	s_and_saveexec_b64 s[6:7], vcc
	s_cbranch_execz .LBB54_1020
; %bb.1011:
	s_and_b64 vcc, exec, s[4:5]
	s_cbranch_vccnz .LBB54_1013
; %bb.1012:
	buffer_load_dword v112, v115, s[0:3], 0 offen
	buffer_load_dword v113, v115, s[0:3], 0 offen offset:4
	ds_read_b64 v[116:117], v114
	s_waitcnt vmcnt(0) lgkmcnt(0)
	v_mul_f64 v[112:113], v[112:113], v[116:117]
	s_cbranch_execz .LBB54_1014
	s_branch .LBB54_1015
.LBB54_1013:
                                        ; implicit-def: $vgpr112_vgpr113
.LBB54_1014:
	ds_read_b64 v[112:113], v114
.LBB54_1015:
	v_cmp_ne_u32_e32 vcc, 48, v0
	s_and_saveexec_b64 s[8:9], vcc
	s_cbranch_execz .LBB54_1019
; %bb.1016:
	v_mov_b32_e32 v117, 0
	v_add_u32_e32 v116, 0x1c8, v1
	v_add3_u32 v117, v1, v117, 8
	s_mov_b64 s[10:11], 0
	v_mov_b32_e32 v118, v0
.LBB54_1017:                            ; =>This Inner Loop Header: Depth=1
	buffer_load_dword v120, v117, s[0:3], 0 offen
	buffer_load_dword v121, v117, s[0:3], 0 offen offset:4
	ds_read_b64 v[122:123], v116
	v_add_u32_e32 v118, 1, v118
	v_cmp_lt_u32_e32 vcc, 47, v118
	v_add_u32_e32 v116, 8, v116
	v_add_u32_e32 v117, 8, v117
	s_or_b64 s[10:11], vcc, s[10:11]
	s_waitcnt vmcnt(0) lgkmcnt(0)
	v_fmac_f64_e32 v[112:113], v[120:121], v[122:123]
	s_andn2_b64 exec, exec, s[10:11]
	s_cbranch_execnz .LBB54_1017
; %bb.1018:
	s_or_b64 exec, exec, s[10:11]
.LBB54_1019:
	s_or_b64 exec, exec, s[8:9]
	v_mov_b32_e32 v116, 0
	ds_read_b64 v[116:117], v116 offset:392
	s_waitcnt lgkmcnt(0)
	v_mul_f64 v[112:113], v[112:113], v[116:117]
	buffer_store_dword v113, off, s[0:3], 0 offset:396
	buffer_store_dword v112, off, s[0:3], 0 offset:392
.LBB54_1020:
	;; [unrolled: 60-line block ×5, first 2 shown]
	s_or_b64 exec, exec, s[6:7]
	buffer_load_dword v112, off, s[0:3], 0 offset:424
	buffer_load_dword v113, off, s[0:3], 0 offset:428
	v_cmp_gt_u32_e64 s[6:7], 53, v0
	s_waitcnt vmcnt(0)
	ds_write_b64 v114, v[112:113]
	s_waitcnt lgkmcnt(0)
	; wave barrier
	s_waitcnt lgkmcnt(0)
	s_and_saveexec_b64 s[8:9], s[6:7]
	s_cbranch_execz .LBB54_1060
; %bb.1051:
	s_and_b64 vcc, exec, s[4:5]
	s_cbranch_vccnz .LBB54_1053
; %bb.1052:
	buffer_load_dword v112, v115, s[0:3], 0 offen
	buffer_load_dword v113, v115, s[0:3], 0 offen offset:4
	ds_read_b64 v[116:117], v114
	s_waitcnt vmcnt(0) lgkmcnt(0)
	v_mul_f64 v[112:113], v[112:113], v[116:117]
	s_cbranch_execz .LBB54_1054
	s_branch .LBB54_1055
.LBB54_1053:
                                        ; implicit-def: $vgpr112_vgpr113
.LBB54_1054:
	ds_read_b64 v[112:113], v114
.LBB54_1055:
	v_cmp_ne_u32_e32 vcc, 52, v0
	s_and_saveexec_b64 s[10:11], vcc
	s_cbranch_execz .LBB54_1059
; %bb.1056:
	v_mov_b32_e32 v117, 0
	v_add_u32_e32 v116, 0x1c8, v1
	v_add3_u32 v117, v1, v117, 8
	s_mov_b64 s[12:13], 0
	v_mov_b32_e32 v118, v0
.LBB54_1057:                            ; =>This Inner Loop Header: Depth=1
	buffer_load_dword v120, v117, s[0:3], 0 offen
	buffer_load_dword v121, v117, s[0:3], 0 offen offset:4
	ds_read_b64 v[122:123], v116
	v_add_u32_e32 v118, 1, v118
	v_cmp_lt_u32_e32 vcc, 51, v118
	v_add_u32_e32 v116, 8, v116
	v_add_u32_e32 v117, 8, v117
	s_or_b64 s[12:13], vcc, s[12:13]
	s_waitcnt vmcnt(0) lgkmcnt(0)
	v_fmac_f64_e32 v[112:113], v[120:121], v[122:123]
	s_andn2_b64 exec, exec, s[12:13]
	s_cbranch_execnz .LBB54_1057
; %bb.1058:
	s_or_b64 exec, exec, s[12:13]
.LBB54_1059:
	s_or_b64 exec, exec, s[10:11]
	v_mov_b32_e32 v116, 0
	ds_read_b64 v[116:117], v116 offset:424
	s_waitcnt lgkmcnt(0)
	v_mul_f64 v[112:113], v[112:113], v[116:117]
	buffer_store_dword v113, off, s[0:3], 0 offset:428
	buffer_store_dword v112, off, s[0:3], 0 offset:424
.LBB54_1060:
	s_or_b64 exec, exec, s[8:9]
	buffer_load_dword v112, off, s[0:3], 0 offset:432
	buffer_load_dword v113, off, s[0:3], 0 offset:436
	v_cmp_ne_u32_e32 vcc, 54, v0
	s_waitcnt vmcnt(0)
	ds_write_b64 v114, v[112:113]
	s_waitcnt lgkmcnt(0)
	; wave barrier
	s_waitcnt lgkmcnt(0)
	s_and_saveexec_b64 s[8:9], vcc
	s_cbranch_execz .LBB54_1070
; %bb.1061:
	s_and_b64 vcc, exec, s[4:5]
	s_cbranch_vccnz .LBB54_1063
; %bb.1062:
	buffer_load_dword v112, v115, s[0:3], 0 offen
	buffer_load_dword v113, v115, s[0:3], 0 offen offset:4
	ds_read_b64 v[116:117], v114
	s_waitcnt vmcnt(0) lgkmcnt(0)
	v_mul_f64 v[112:113], v[112:113], v[116:117]
	s_cbranch_execz .LBB54_1064
	s_branch .LBB54_1065
.LBB54_1063:
                                        ; implicit-def: $vgpr112_vgpr113
.LBB54_1064:
	ds_read_b64 v[112:113], v114
.LBB54_1065:
	s_and_saveexec_b64 s[4:5], s[6:7]
	s_cbranch_execz .LBB54_1069
; %bb.1066:
	v_mov_b32_e32 v115, 0
	v_add_u32_e32 v114, 0x1c8, v1
	v_add3_u32 v1, v1, v115, 8
	s_mov_b64 s[6:7], 0
.LBB54_1067:                            ; =>This Inner Loop Header: Depth=1
	buffer_load_dword v116, v1, s[0:3], 0 offen
	buffer_load_dword v117, v1, s[0:3], 0 offen offset:4
	ds_read_b64 v[118:119], v114
	v_add_u32_e32 v0, 1, v0
	v_cmp_lt_u32_e32 vcc, 52, v0
	v_add_u32_e32 v114, 8, v114
	v_add_u32_e32 v1, 8, v1
	s_or_b64 s[6:7], vcc, s[6:7]
	s_waitcnt vmcnt(0) lgkmcnt(0)
	v_fmac_f64_e32 v[112:113], v[116:117], v[118:119]
	s_andn2_b64 exec, exec, s[6:7]
	s_cbranch_execnz .LBB54_1067
; %bb.1068:
	s_or_b64 exec, exec, s[6:7]
.LBB54_1069:
	s_or_b64 exec, exec, s[4:5]
	v_mov_b32_e32 v0, 0
	ds_read_b64 v[0:1], v0 offset:432
	s_waitcnt lgkmcnt(0)
	v_mul_f64 v[0:1], v[112:113], v[0:1]
	buffer_store_dword v1, off, s[0:3], 0 offset:436
	buffer_store_dword v0, off, s[0:3], 0 offset:432
.LBB54_1070:
	s_or_b64 exec, exec, s[8:9]
.LBB54_1071:
	buffer_load_dword v0, off, s[0:3], 0
	buffer_load_dword v1, off, s[0:3], 0 offset:4
	buffer_load_dword v112, off, s[0:3], 0 offset:8
	;; [unrolled: 1-line block ×109, first 2 shown]
	s_waitcnt vmcnt(62)
	global_store_dwordx2 v[100:101], v[0:1], off
	global_store_dwordx2 v[104:105], v[112:113], off
	global_store_dwordx2 v[2:3], v[114:115], off
	global_store_dwordx2 v[4:5], v[116:117], off
	global_store_dwordx2 v[6:7], v[118:119], off
	global_store_dwordx2 v[8:9], v[120:121], off
	global_store_dwordx2 v[10:11], v[122:123], off
	global_store_dwordx2 v[12:13], v[124:125], off
	global_store_dwordx2 v[14:15], v[132:133], off
	global_store_dwordx2 v[16:17], v[126:127], off
	global_store_dwordx2 v[18:19], v[128:129], off
	global_store_dwordx2 v[20:21], v[130:131], off
	global_store_dwordx2 v[22:23], v[134:135], off
	global_store_dwordx2 v[24:25], v[136:137], off
	global_store_dwordx2 v[26:27], v[138:139], off
	global_store_dwordx2 v[28:29], v[140:141], off
	global_store_dwordx2 v[30:31], v[142:143], off
	global_store_dwordx2 v[32:33], v[144:145], off
	global_store_dwordx2 v[34:35], v[146:147], off
	global_store_dwordx2 v[36:37], v[148:149], off
	global_store_dwordx2 v[38:39], v[150:151], off
	global_store_dwordx2 v[40:41], v[152:153], off
	global_store_dwordx2 v[42:43], v[154:155], off
	global_store_dwordx2 v[44:45], v[156:157], off
	s_waitcnt vmcnt(62)
	global_store_dwordx2 v[46:47], v[158:159], off
	global_store_dwordx2 v[48:49], v[160:161], off
	;; [unrolled: 1-line block ×12, first 2 shown]
	s_waitcnt vmcnt(62)
	global_store_dwordx2 v[70:71], v[182:183], off
	global_store_dwordx2 v[72:73], v[184:185], off
	;; [unrolled: 1-line block ×6, first 2 shown]
	s_waitcnt vmcnt(62)
	global_store_dwordx2 v[82:83], v[194:195], off
	global_store_dwordx2 v[84:85], v[196:197], off
	;; [unrolled: 1-line block ×3, first 2 shown]
	s_waitcnt vmcnt(62)
	global_store_dwordx2 v[88:89], v[200:201], off
	s_waitcnt vmcnt(62)
	global_store_dwordx2 v[90:91], v[202:203], off
	;; [unrolled: 2-line block ×10, first 2 shown]
.LBB54_1072:
	s_endpgm
	.section	.rodata,"a",@progbits
	.p2align	6, 0x0
	.amdhsa_kernel _ZN9rocsolver6v33100L18trti2_kernel_smallILi55EdPdEEv13rocblas_fill_17rocblas_diagonal_T1_iil
		.amdhsa_group_segment_fixed_size 888
		.amdhsa_private_segment_fixed_size 448
		.amdhsa_kernarg_size 32
		.amdhsa_user_sgpr_count 8
		.amdhsa_user_sgpr_private_segment_buffer 1
		.amdhsa_user_sgpr_dispatch_ptr 0
		.amdhsa_user_sgpr_queue_ptr 0
		.amdhsa_user_sgpr_kernarg_segment_ptr 1
		.amdhsa_user_sgpr_dispatch_id 0
		.amdhsa_user_sgpr_flat_scratch_init 1
		.amdhsa_user_sgpr_kernarg_preload_length 0
		.amdhsa_user_sgpr_kernarg_preload_offset 0
		.amdhsa_user_sgpr_private_segment_size 0
		.amdhsa_uses_dynamic_stack 0
		.amdhsa_system_sgpr_private_segment_wavefront_offset 1
		.amdhsa_system_sgpr_workgroup_id_x 1
		.amdhsa_system_sgpr_workgroup_id_y 0
		.amdhsa_system_sgpr_workgroup_id_z 0
		.amdhsa_system_sgpr_workgroup_info 0
		.amdhsa_system_vgpr_workitem_id 0
		.amdhsa_next_free_vgpr 220
		.amdhsa_next_free_sgpr 20
		.amdhsa_accum_offset 220
		.amdhsa_reserve_vcc 1
		.amdhsa_reserve_flat_scratch 0
		.amdhsa_float_round_mode_32 0
		.amdhsa_float_round_mode_16_64 0
		.amdhsa_float_denorm_mode_32 3
		.amdhsa_float_denorm_mode_16_64 3
		.amdhsa_dx10_clamp 1
		.amdhsa_ieee_mode 1
		.amdhsa_fp16_overflow 0
		.amdhsa_tg_split 0
		.amdhsa_exception_fp_ieee_invalid_op 0
		.amdhsa_exception_fp_denorm_src 0
		.amdhsa_exception_fp_ieee_div_zero 0
		.amdhsa_exception_fp_ieee_overflow 0
		.amdhsa_exception_fp_ieee_underflow 0
		.amdhsa_exception_fp_ieee_inexact 0
		.amdhsa_exception_int_div_zero 0
	.end_amdhsa_kernel
	.section	.text._ZN9rocsolver6v33100L18trti2_kernel_smallILi55EdPdEEv13rocblas_fill_17rocblas_diagonal_T1_iil,"axG",@progbits,_ZN9rocsolver6v33100L18trti2_kernel_smallILi55EdPdEEv13rocblas_fill_17rocblas_diagonal_T1_iil,comdat
.Lfunc_end54:
	.size	_ZN9rocsolver6v33100L18trti2_kernel_smallILi55EdPdEEv13rocblas_fill_17rocblas_diagonal_T1_iil, .Lfunc_end54-_ZN9rocsolver6v33100L18trti2_kernel_smallILi55EdPdEEv13rocblas_fill_17rocblas_diagonal_T1_iil
                                        ; -- End function
	.section	.AMDGPU.csdata,"",@progbits
; Kernel info:
; codeLenInByte = 31924
; NumSgprs: 24
; NumVgprs: 220
; NumAgprs: 0
; TotalNumVgprs: 220
; ScratchSize: 448
; MemoryBound: 0
; FloatMode: 240
; IeeeMode: 1
; LDSByteSize: 888 bytes/workgroup (compile time only)
; SGPRBlocks: 2
; VGPRBlocks: 27
; NumSGPRsForWavesPerEU: 24
; NumVGPRsForWavesPerEU: 220
; AccumOffset: 220
; Occupancy: 2
; WaveLimiterHint : 0
; COMPUTE_PGM_RSRC2:SCRATCH_EN: 1
; COMPUTE_PGM_RSRC2:USER_SGPR: 8
; COMPUTE_PGM_RSRC2:TRAP_HANDLER: 0
; COMPUTE_PGM_RSRC2:TGID_X_EN: 1
; COMPUTE_PGM_RSRC2:TGID_Y_EN: 0
; COMPUTE_PGM_RSRC2:TGID_Z_EN: 0
; COMPUTE_PGM_RSRC2:TIDIG_COMP_CNT: 0
; COMPUTE_PGM_RSRC3_GFX90A:ACCUM_OFFSET: 54
; COMPUTE_PGM_RSRC3_GFX90A:TG_SPLIT: 0
	.section	.text._ZN9rocsolver6v33100L18trti2_kernel_smallILi56EdPdEEv13rocblas_fill_17rocblas_diagonal_T1_iil,"axG",@progbits,_ZN9rocsolver6v33100L18trti2_kernel_smallILi56EdPdEEv13rocblas_fill_17rocblas_diagonal_T1_iil,comdat
	.globl	_ZN9rocsolver6v33100L18trti2_kernel_smallILi56EdPdEEv13rocblas_fill_17rocblas_diagonal_T1_iil ; -- Begin function _ZN9rocsolver6v33100L18trti2_kernel_smallILi56EdPdEEv13rocblas_fill_17rocblas_diagonal_T1_iil
	.p2align	8
	.type	_ZN9rocsolver6v33100L18trti2_kernel_smallILi56EdPdEEv13rocblas_fill_17rocblas_diagonal_T1_iil,@function
_ZN9rocsolver6v33100L18trti2_kernel_smallILi56EdPdEEv13rocblas_fill_17rocblas_diagonal_T1_iil: ; @_ZN9rocsolver6v33100L18trti2_kernel_smallILi56EdPdEEv13rocblas_fill_17rocblas_diagonal_T1_iil
; %bb.0:
	s_add_u32 s0, s0, s9
	s_addc_u32 s1, s1, 0
	v_cmp_gt_u32_e32 vcc, 56, v0
	s_and_saveexec_b64 s[6:7], vcc
	s_cbranch_execz .LBB55_1092
; %bb.1:
	s_load_dwordx8 s[12:19], s[4:5], 0x0
	s_ashr_i32 s6, s8, 31
	s_waitcnt lgkmcnt(0)
	s_mul_i32 s7, s8, s19
	s_mul_hi_u32 s9, s8, s18
	s_add_i32 s7, s9, s7
	s_mul_i32 s6, s6, s18
	s_add_i32 s7, s7, s6
	s_mul_i32 s6, s8, s18
	s_ashr_i32 s5, s16, 31
	s_lshl_b64 s[6:7], s[6:7], 3
	s_mov_b32 s4, s16
	s_add_u32 s6, s14, s6
	s_addc_u32 s7, s15, s7
	s_lshl_b64 s[4:5], s[4:5], 3
	s_add_u32 s4, s6, s4
	s_addc_u32 s5, s7, s5
	s_add_i32 s6, s17, s17
	v_add_u32_e32 v4, s6, v0
	v_ashrrev_i32_e32 v5, 31, v4
	v_lshlrev_b64 v[2:3], 3, v[4:5]
	v_add_u32_e32 v6, s17, v4
	v_mov_b32_e32 v1, s5
	v_add_co_u32_e32 v2, vcc, s4, v2
	v_ashrrev_i32_e32 v7, 31, v6
	v_addc_co_u32_e32 v3, vcc, v1, v3, vcc
	v_lshlrev_b64 v[4:5], 3, v[6:7]
	v_add_u32_e32 v8, s17, v6
	v_add_co_u32_e32 v4, vcc, s4, v4
	v_ashrrev_i32_e32 v9, 31, v8
	v_addc_co_u32_e32 v5, vcc, v1, v5, vcc
	v_lshlrev_b64 v[6:7], 3, v[8:9]
	v_add_u32_e32 v10, s17, v8
	;; [unrolled: 5-line block ×45, first 2 shown]
	v_add_co_u32_e32 v92, vcc, s4, v92
	v_ashrrev_i32_e32 v97, 31, v96
	v_addc_co_u32_e32 v93, vcc, v1, v93, vcc
	v_lshlrev_b64 v[94:95], 3, v[96:97]
	v_add_co_u32_e32 v94, vcc, s4, v94
	v_add_u32_e32 v98, s17, v96
	v_addc_co_u32_e32 v95, vcc, v1, v95, vcc
	v_ashrrev_i32_e32 v99, 31, v98
	v_lshlrev_b32_e32 v1, 3, v0
	v_lshlrev_b64 v[96:97], 3, v[98:99]
	global_load_dwordx2 v[114:115], v1, s[4:5]
	global_load_dwordx2 v[118:119], v[2:3], off
	v_mov_b32_e32 v99, s5
	v_add_co_u32_e32 v104, vcc, s4, v1
	s_ashr_i32 s7, s17, 31
	s_mov_b32 s6, s17
	v_addc_co_u32_e32 v105, vcc, 0, v99, vcc
	s_lshl_b64 s[6:7], s[6:7], 3
	v_mov_b32_e32 v99, s7
	v_add_co_u32_e32 v106, vcc, s6, v104
	v_addc_co_u32_e32 v107, vcc, v105, v99, vcc
	global_load_dwordx2 v[116:117], v[106:107], off
	global_load_dwordx2 v[120:121], v[4:5], off
	;; [unrolled: 1-line block ×7, first 2 shown]
	v_mov_b32_e32 v100, s5
	v_add_co_u32_e32 v96, vcc, s4, v96
	v_addc_co_u32_e32 v97, vcc, v100, v97, vcc
	v_add_u32_e32 v100, s17, v98
	v_ashrrev_i32_e32 v101, 31, v100
	v_lshlrev_b64 v[98:99], 3, v[100:101]
	v_mov_b32_e32 v102, s5
	v_add_co_u32_e32 v98, vcc, s4, v98
	global_load_dwordx2 v[132:133], v[16:17], off
	global_load_dwordx2 v[134:135], v[18:19], off
	v_addc_co_u32_e32 v99, vcc, v102, v99, vcc
	v_add_u32_e32 v102, s17, v100
	v_ashrrev_i32_e32 v103, 31, v102
	v_lshlrev_b64 v[100:101], 3, v[102:103]
	v_mov_b32_e32 v108, s5
	v_add_co_u32_e32 v100, vcc, s4, v100
	v_addc_co_u32_e32 v101, vcc, v108, v101, vcc
	v_add_u32_e32 v108, s17, v102
	v_ashrrev_i32_e32 v109, 31, v108
	v_lshlrev_b64 v[102:103], 3, v[108:109]
	v_mov_b32_e32 v110, s5
	v_add_co_u32_e32 v102, vcc, s4, v102
	v_addc_co_u32_e32 v103, vcc, v110, v103, vcc
	v_add_u32_e32 v110, s17, v108
	global_load_dwordx2 v[136:137], v[20:21], off
	global_load_dwordx2 v[138:139], v[22:23], off
	v_ashrrev_i32_e32 v111, 31, v110
	v_lshlrev_b64 v[108:109], 3, v[110:111]
	v_mov_b32_e32 v112, s5
	v_add_co_u32_e32 v108, vcc, s4, v108
	v_addc_co_u32_e32 v109, vcc, v112, v109, vcc
	v_add_u32_e32 v112, s17, v110
	v_ashrrev_i32_e32 v113, 31, v112
	v_lshlrev_b64 v[110:111], 3, v[112:113]
	v_add_u32_e32 v112, s17, v112
	global_load_dwordx2 v[140:141], v[24:25], off
	v_mov_b32_e32 v146, s5
	v_add_co_u32_e32 v110, vcc, s4, v110
	v_ashrrev_i32_e32 v113, 31, v112
	v_addc_co_u32_e32 v111, vcc, v146, v111, vcc
	v_lshlrev_b64 v[112:113], 3, v[112:113]
	v_mov_b32_e32 v162, s5
	v_add_co_u32_e32 v112, vcc, s4, v112
	global_load_dwordx2 v[142:143], v[26:27], off
	global_load_dwordx2 v[144:145], v[28:29], off
	;; [unrolled: 1-line block ×10, first 2 shown]
	v_addc_co_u32_e32 v113, vcc, v162, v113, vcc
	global_load_dwordx2 v[162:163], v[46:47], off
	global_load_dwordx2 v[164:165], v[112:113], off
	;; [unrolled: 1-line block ×18, first 2 shown]
	s_cmpk_lg_i32 s13, 0x84
	s_waitcnt vmcnt(41)
	buffer_store_dword v115, off, s[0:3], 0 offset:4
	buffer_store_dword v114, off, s[0:3], 0
	global_load_dwordx2 v[114:115], v[52:53], off
	s_cselect_b64 s[8:9], -1, 0
	s_waitcnt vmcnt(42)
	buffer_store_dword v117, off, s[0:3], 0 offset:12
	buffer_store_dword v116, off, s[0:3], 0 offset:8
	global_load_dwordx2 v[116:117], v[56:57], off
	s_cmpk_eq_i32 s13, 0x84
	buffer_store_dword v119, off, s[0:3], 0 offset:20
	buffer_store_dword v118, off, s[0:3], 0 offset:16
	global_load_dwordx2 v[118:119], v[60:61], off
	s_waitcnt vmcnt(47)
	buffer_store_dword v121, off, s[0:3], 0 offset:28
	buffer_store_dword v120, off, s[0:3], 0 offset:24
	global_load_dwordx2 v[120:121], v[64:65], off
	s_waitcnt vmcnt(49)
	;; [unrolled: 4-line block ×9, first 2 shown]
	buffer_store_dword v136, off, s[0:3], 0 offset:88
	buffer_store_dword v137, off, s[0:3], 0 offset:92
	global_load_dwordx2 v[136:137], v[96:97], off
	s_nop 0
	buffer_store_dword v138, off, s[0:3], 0 offset:96
	buffer_store_dword v139, off, s[0:3], 0 offset:100
	global_load_dwordx2 v[138:139], v[100:101], off
	s_waitcnt vmcnt(62)
	buffer_store_dword v140, off, s[0:3], 0 offset:104
	buffer_store_dword v141, off, s[0:3], 0 offset:108
	global_load_dwordx2 v[140:141], v[108:109], off
	s_nop 0
	buffer_store_dword v143, off, s[0:3], 0 offset:116
	buffer_store_dword v142, off, s[0:3], 0 offset:112
	;; [unrolled: 1-line block ×10, first 2 shown]
	s_waitcnt vmcnt(62)
	buffer_store_dword v153, off, s[0:3], 0 offset:156
	buffer_store_dword v152, off, s[0:3], 0 offset:152
	;; [unrolled: 1-line block ×16, first 2 shown]
	s_waitcnt vmcnt(62)
	buffer_store_dword v114, off, s[0:3], 0 offset:216
	buffer_store_dword v115, off, s[0:3], 0 offset:220
	buffer_store_dword v170, off, s[0:3], 0 offset:224
	buffer_store_dword v171, off, s[0:3], 0 offset:228
	buffer_store_dword v116, off, s[0:3], 0 offset:232
	buffer_store_dword v117, off, s[0:3], 0 offset:236
	buffer_store_dword v172, off, s[0:3], 0 offset:240
	buffer_store_dword v173, off, s[0:3], 0 offset:244
	s_waitcnt vmcnt(62)
	buffer_store_dword v119, off, s[0:3], 0 offset:252
	buffer_store_dword v118, off, s[0:3], 0 offset:248
	buffer_store_dword v175, off, s[0:3], 0 offset:260
	buffer_store_dword v174, off, s[0:3], 0 offset:256
	buffer_store_dword v120, off, s[0:3], 0 offset:264
	buffer_store_dword v121, off, s[0:3], 0 offset:268
	buffer_store_dword v176, off, s[0:3], 0 offset:272
	buffer_store_dword v177, off, s[0:3], 0 offset:276
	;; [unrolled: 9-line block ×3, first 2 shown]
	buffer_store_dword v126, off, s[0:3], 0 offset:312
	buffer_store_dword v127, off, s[0:3], 0 offset:316
	;; [unrolled: 1-line block ×4, first 2 shown]
	s_waitcnt vmcnt(62)
	buffer_store_dword v128, off, s[0:3], 0 offset:328
	buffer_store_dword v129, off, s[0:3], 0 offset:332
	;; [unrolled: 1-line block ×16, first 2 shown]
	s_waitcnt vmcnt(62)
	buffer_store_dword v137, off, s[0:3], 0 offset:396
	buffer_store_dword v136, off, s[0:3], 0 offset:392
	buffer_store_dword v193, off, s[0:3], 0 offset:404
	buffer_store_dword v192, off, s[0:3], 0 offset:400
	buffer_store_dword v138, off, s[0:3], 0 offset:408
	buffer_store_dword v139, off, s[0:3], 0 offset:412
	buffer_store_dword v194, off, s[0:3], 0 offset:416
	buffer_store_dword v195, off, s[0:3], 0 offset:420
	buffer_store_dword v140, off, s[0:3], 0 offset:424
	buffer_store_dword v141, off, s[0:3], 0 offset:428
	buffer_store_dword v196, off, s[0:3], 0 offset:432
	buffer_store_dword v197, off, s[0:3], 0 offset:436
	buffer_store_dword v165, off, s[0:3], 0 offset:444
	buffer_store_dword v164, off, s[0:3], 0 offset:440
	v_mov_b32_e32 v114, 0
	v_mov_b32_e32 v170, 0
	;; [unrolled: 1-line block ×3, first 2 shown]
	s_cbranch_scc1 .LBB55_3
; %bb.2:
	v_lshl_add_u32 v124, v0, 3, v170
	buffer_load_dword v114, v124, s[0:3], 0 offen
	buffer_load_dword v115, v124, s[0:3], 0 offen offset:4
	s_waitcnt vmcnt(0)
	v_div_scale_f64 v[116:117], s[4:5], v[114:115], v[114:115], 1.0
	v_rcp_f64_e32 v[118:119], v[116:117]
	v_div_scale_f64 v[120:121], vcc, 1.0, v[114:115], 1.0
	v_fma_f64 v[122:123], -v[116:117], v[118:119], 1.0
	v_fmac_f64_e32 v[118:119], v[118:119], v[122:123]
	v_fma_f64 v[122:123], -v[116:117], v[118:119], 1.0
	v_fmac_f64_e32 v[118:119], v[118:119], v[122:123]
	v_mul_f64 v[122:123], v[120:121], v[118:119]
	v_fma_f64 v[116:117], -v[116:117], v[122:123], v[120:121]
	v_div_fmas_f64 v[116:117], v[116:117], v[118:119], v[122:123]
	v_div_fixup_f64 v[114:115], v[116:117], v[114:115], 1.0
	buffer_store_dword v114, v124, s[0:3], 0 offen
	buffer_store_dword v115, v124, s[0:3], 0 offen offset:4
	v_xor_b32_e32 v115, 0x80000000, v115
.LBB55_3:
	s_cmpk_eq_i32 s12, 0x79
	v_add_u32_e32 v116, 0x1c0, v1
	v_add_u32_e32 v117, 0, v1
	s_mov_b64 s[4:5], -1
	ds_write_b64 v1, v[114:115]
	s_cbranch_scc1 .LBB55_547
; %bb.4:
	buffer_load_dword v114, off, s[0:3], 0 offset:432
	buffer_load_dword v115, off, s[0:3], 0 offset:436
	v_cmp_eq_u32_e64 s[4:5], 55, v0
	s_waitcnt vmcnt(0)
	ds_write_b64 v116, v[114:115]
	s_waitcnt lgkmcnt(0)
	; wave barrier
	s_waitcnt lgkmcnt(0)
	s_and_saveexec_b64 s[6:7], s[4:5]
	s_cbranch_execz .LBB55_10
; %bb.5:
	s_and_b64 vcc, exec, s[8:9]
	s_cbranch_vccz .LBB55_7
; %bb.6:
	buffer_load_dword v114, v117, s[0:3], 0 offen
	buffer_load_dword v115, v117, s[0:3], 0 offen offset:4
	ds_read_b64 v[118:119], v116
	s_waitcnt vmcnt(0) lgkmcnt(0)
	v_mul_f64 v[114:115], v[114:115], v[118:119]
	s_cbranch_execz .LBB55_8
	s_branch .LBB55_9
.LBB55_7:
                                        ; implicit-def: $vgpr114_vgpr115
.LBB55_8:
	ds_read_b64 v[114:115], v116
.LBB55_9:
	v_mov_b32_e32 v118, 0
	ds_read_b64 v[118:119], v118 offset:432
	s_waitcnt lgkmcnt(0)
	v_mul_f64 v[114:115], v[114:115], v[118:119]
	buffer_store_dword v115, off, s[0:3], 0 offset:436
	buffer_store_dword v114, off, s[0:3], 0 offset:432
.LBB55_10:
	s_or_b64 exec, exec, s[6:7]
	buffer_load_dword v114, off, s[0:3], 0 offset:424
	buffer_load_dword v115, off, s[0:3], 0 offset:428
	v_or_b32_e32 v118, 8, v170
	v_add_u32_e32 v119, 16, v170
	v_add_u32_e32 v120, 24, v170
	;; [unrolled: 1-line block ×52, first 2 shown]
	v_cmp_lt_u32_e64 s[6:7], 53, v0
	s_waitcnt vmcnt(0)
	ds_write_b64 v116, v[114:115]
	s_waitcnt lgkmcnt(0)
	; wave barrier
	s_waitcnt lgkmcnt(0)
	s_and_saveexec_b64 s[10:11], s[6:7]
	s_cbranch_execz .LBB55_16
; %bb.11:
	s_andn2_b64 vcc, exec, s[8:9]
	s_cbranch_vccnz .LBB55_13
; %bb.12:
	buffer_load_dword v114, v117, s[0:3], 0 offen
	buffer_load_dword v115, v117, s[0:3], 0 offen offset:4
	ds_read_b64 v[172:173], v116
	s_waitcnt vmcnt(0) lgkmcnt(0)
	v_mul_f64 v[114:115], v[114:115], v[172:173]
	s_cbranch_execz .LBB55_14
	s_branch .LBB55_15
.LBB55_13:
                                        ; implicit-def: $vgpr114_vgpr115
.LBB55_14:
	ds_read_b64 v[114:115], v116
.LBB55_15:
	buffer_load_dword v176, off, s[0:3], 0 offset:432
	buffer_load_dword v177, off, s[0:3], 0 offset:436
	v_mov_b32_e32 v171, 0
	ds_read2_b64 v[172:175], v171 offset0:53 offset1:110
	s_waitcnt vmcnt(0) lgkmcnt(0)
	v_fma_f64 v[174:175], v[176:177], v[174:175], v[114:115]
	v_cndmask_b32_e64 v115, v115, v175, s[4:5]
	v_cndmask_b32_e64 v114, v114, v174, s[4:5]
	v_mul_f64 v[114:115], v[114:115], v[172:173]
	buffer_store_dword v115, off, s[0:3], 0 offset:428
	buffer_store_dword v114, off, s[0:3], 0 offset:424
.LBB55_16:
	s_or_b64 exec, exec, s[10:11]
	buffer_load_dword v114, off, s[0:3], 0 offset:416
	buffer_load_dword v115, off, s[0:3], 0 offset:420
	v_cmp_lt_u32_e64 s[4:5], 52, v0
	s_waitcnt vmcnt(0)
	ds_write_b64 v116, v[114:115]
	s_waitcnt lgkmcnt(0)
	; wave barrier
	s_waitcnt lgkmcnt(0)
	s_and_saveexec_b64 s[10:11], s[4:5]
	s_cbranch_execz .LBB55_26
; %bb.17:
	s_andn2_b64 vcc, exec, s[8:9]
	s_cbranch_vccnz .LBB55_19
; %bb.18:
	buffer_load_dword v114, v117, s[0:3], 0 offen
	buffer_load_dword v115, v117, s[0:3], 0 offen offset:4
	ds_read_b64 v[172:173], v116
	s_waitcnt vmcnt(0) lgkmcnt(0)
	v_mul_f64 v[114:115], v[114:115], v[172:173]
	s_cbranch_execz .LBB55_20
	s_branch .LBB55_21
.LBB55_19:
                                        ; implicit-def: $vgpr114_vgpr115
.LBB55_20:
	ds_read_b64 v[114:115], v116
.LBB55_21:
	s_and_saveexec_b64 s[12:13], s[6:7]
	s_cbranch_execz .LBB55_25
; %bb.22:
	v_subrev_u32_e32 v171, 53, v0
	s_movk_i32 s14, 0x368
	s_mov_b64 s[6:7], 0
.LBB55_23:                              ; =>This Inner Loop Header: Depth=1
	buffer_load_dword v172, v170, s[0:3], 0 offen
	buffer_load_dword v173, v170, s[0:3], 0 offen offset:4
	v_mov_b32_e32 v174, s14
	ds_read_b64 v[174:175], v174
	v_add_u32_e32 v171, -1, v171
	s_add_i32 s14, s14, 8
	v_cmp_eq_u32_e32 vcc, 0, v171
	v_add_u32_e32 v170, 8, v170
	s_or_b64 s[6:7], vcc, s[6:7]
	s_waitcnt vmcnt(0) lgkmcnt(0)
	v_fmac_f64_e32 v[114:115], v[172:173], v[174:175]
	s_andn2_b64 exec, exec, s[6:7]
	s_cbranch_execnz .LBB55_23
; %bb.24:
	s_or_b64 exec, exec, s[6:7]
.LBB55_25:
	s_or_b64 exec, exec, s[12:13]
	v_mov_b32_e32 v170, 0
	ds_read_b64 v[170:171], v170 offset:416
	s_waitcnt lgkmcnt(0)
	v_mul_f64 v[114:115], v[114:115], v[170:171]
	buffer_store_dword v115, off, s[0:3], 0 offset:420
	buffer_store_dword v114, off, s[0:3], 0 offset:416
.LBB55_26:
	s_or_b64 exec, exec, s[10:11]
	buffer_load_dword v114, off, s[0:3], 0 offset:408
	buffer_load_dword v115, off, s[0:3], 0 offset:412
	v_cmp_lt_u32_e64 s[6:7], 51, v0
	s_waitcnt vmcnt(0)
	ds_write_b64 v116, v[114:115]
	s_waitcnt lgkmcnt(0)
	; wave barrier
	s_waitcnt lgkmcnt(0)
	s_and_saveexec_b64 s[10:11], s[6:7]
	s_cbranch_execz .LBB55_36
; %bb.27:
	s_andn2_b64 vcc, exec, s[8:9]
	s_cbranch_vccnz .LBB55_29
; %bb.28:
	buffer_load_dword v114, v117, s[0:3], 0 offen
	buffer_load_dword v115, v117, s[0:3], 0 offen offset:4
	ds_read_b64 v[170:171], v116
	s_waitcnt vmcnt(0) lgkmcnt(0)
	v_mul_f64 v[114:115], v[114:115], v[170:171]
	s_cbranch_execz .LBB55_30
	s_branch .LBB55_31
.LBB55_29:
                                        ; implicit-def: $vgpr114_vgpr115
.LBB55_30:
	ds_read_b64 v[114:115], v116
.LBB55_31:
	s_and_saveexec_b64 s[12:13], s[4:5]
	s_cbranch_execz .LBB55_35
; %bb.32:
	v_subrev_u32_e32 v170, 52, v0
	s_movk_i32 s14, 0x360
	s_mov_b64 s[4:5], 0
.LBB55_33:                              ; =>This Inner Loop Header: Depth=1
	buffer_load_dword v172, v169, s[0:3], 0 offen
	buffer_load_dword v173, v169, s[0:3], 0 offen offset:4
	v_mov_b32_e32 v171, s14
	ds_read_b64 v[174:175], v171
	v_add_u32_e32 v170, -1, v170
	s_add_i32 s14, s14, 8
	v_cmp_eq_u32_e32 vcc, 0, v170
	v_add_u32_e32 v169, 8, v169
	s_or_b64 s[4:5], vcc, s[4:5]
	s_waitcnt vmcnt(0) lgkmcnt(0)
	v_fmac_f64_e32 v[114:115], v[172:173], v[174:175]
	s_andn2_b64 exec, exec, s[4:5]
	s_cbranch_execnz .LBB55_33
; %bb.34:
	s_or_b64 exec, exec, s[4:5]
.LBB55_35:
	s_or_b64 exec, exec, s[12:13]
	v_mov_b32_e32 v169, 0
	ds_read_b64 v[170:171], v169 offset:408
	s_waitcnt lgkmcnt(0)
	v_mul_f64 v[114:115], v[114:115], v[170:171]
	buffer_store_dword v115, off, s[0:3], 0 offset:412
	buffer_store_dword v114, off, s[0:3], 0 offset:408
.LBB55_36:
	;; [unrolled: 58-line block ×8, first 2 shown]
	s_or_b64 exec, exec, s[10:11]
	buffer_load_dword v114, off, s[0:3], 0 offset:352
	buffer_load_dword v115, off, s[0:3], 0 offset:356
	v_cmp_lt_u32_e64 s[4:5], 44, v0
	s_waitcnt vmcnt(0)
	ds_write_b64 v116, v[114:115]
	s_waitcnt lgkmcnt(0)
	; wave barrier
	s_waitcnt lgkmcnt(0)
	s_and_saveexec_b64 s[10:11], s[4:5]
	s_cbranch_execz .LBB55_106
; %bb.97:
	s_andn2_b64 vcc, exec, s[8:9]
	s_cbranch_vccnz .LBB55_99
; %bb.98:
	buffer_load_dword v114, v117, s[0:3], 0 offen
	buffer_load_dword v115, v117, s[0:3], 0 offen offset:4
	ds_read_b64 v[164:165], v116
	s_waitcnt vmcnt(0) lgkmcnt(0)
	v_mul_f64 v[114:115], v[114:115], v[164:165]
	s_cbranch_execz .LBB55_100
	s_branch .LBB55_101
.LBB55_99:
                                        ; implicit-def: $vgpr114_vgpr115
.LBB55_100:
	ds_read_b64 v[114:115], v116
.LBB55_101:
	s_and_saveexec_b64 s[12:13], s[6:7]
	s_cbranch_execz .LBB55_105
; %bb.102:
	v_subrev_u32_e32 v163, 45, v0
	s_movk_i32 s14, 0x328
	s_mov_b64 s[6:7], 0
.LBB55_103:                             ; =>This Inner Loop Header: Depth=1
	buffer_load_dword v164, v162, s[0:3], 0 offen
	buffer_load_dword v165, v162, s[0:3], 0 offen offset:4
	v_mov_b32_e32 v166, s14
	ds_read_b64 v[166:167], v166
	v_add_u32_e32 v163, -1, v163
	s_add_i32 s14, s14, 8
	v_cmp_eq_u32_e32 vcc, 0, v163
	v_add_u32_e32 v162, 8, v162
	s_or_b64 s[6:7], vcc, s[6:7]
	s_waitcnt vmcnt(0) lgkmcnt(0)
	v_fmac_f64_e32 v[114:115], v[164:165], v[166:167]
	s_andn2_b64 exec, exec, s[6:7]
	s_cbranch_execnz .LBB55_103
; %bb.104:
	s_or_b64 exec, exec, s[6:7]
.LBB55_105:
	s_or_b64 exec, exec, s[12:13]
	v_mov_b32_e32 v162, 0
	ds_read_b64 v[162:163], v162 offset:352
	s_waitcnt lgkmcnt(0)
	v_mul_f64 v[114:115], v[114:115], v[162:163]
	buffer_store_dword v115, off, s[0:3], 0 offset:356
	buffer_store_dword v114, off, s[0:3], 0 offset:352
.LBB55_106:
	s_or_b64 exec, exec, s[10:11]
	buffer_load_dword v114, off, s[0:3], 0 offset:344
	buffer_load_dword v115, off, s[0:3], 0 offset:348
	v_cmp_lt_u32_e64 s[6:7], 43, v0
	s_waitcnt vmcnt(0)
	ds_write_b64 v116, v[114:115]
	s_waitcnt lgkmcnt(0)
	; wave barrier
	s_waitcnt lgkmcnt(0)
	s_and_saveexec_b64 s[10:11], s[6:7]
	s_cbranch_execz .LBB55_116
; %bb.107:
	s_andn2_b64 vcc, exec, s[8:9]
	s_cbranch_vccnz .LBB55_109
; %bb.108:
	buffer_load_dword v114, v117, s[0:3], 0 offen
	buffer_load_dword v115, v117, s[0:3], 0 offen offset:4
	ds_read_b64 v[162:163], v116
	s_waitcnt vmcnt(0) lgkmcnt(0)
	v_mul_f64 v[114:115], v[114:115], v[162:163]
	s_cbranch_execz .LBB55_110
	s_branch .LBB55_111
.LBB55_109:
                                        ; implicit-def: $vgpr114_vgpr115
.LBB55_110:
	ds_read_b64 v[114:115], v116
.LBB55_111:
	s_and_saveexec_b64 s[12:13], s[4:5]
	s_cbranch_execz .LBB55_115
; %bb.112:
	v_subrev_u32_e32 v162, 44, v0
	s_movk_i32 s14, 0x320
	s_mov_b64 s[4:5], 0
.LBB55_113:                             ; =>This Inner Loop Header: Depth=1
	buffer_load_dword v164, v161, s[0:3], 0 offen
	buffer_load_dword v165, v161, s[0:3], 0 offen offset:4
	v_mov_b32_e32 v163, s14
	ds_read_b64 v[166:167], v163
	v_add_u32_e32 v162, -1, v162
	s_add_i32 s14, s14, 8
	v_cmp_eq_u32_e32 vcc, 0, v162
	v_add_u32_e32 v161, 8, v161
	s_or_b64 s[4:5], vcc, s[4:5]
	s_waitcnt vmcnt(0) lgkmcnt(0)
	v_fmac_f64_e32 v[114:115], v[164:165], v[166:167]
	s_andn2_b64 exec, exec, s[4:5]
	s_cbranch_execnz .LBB55_113
; %bb.114:
	s_or_b64 exec, exec, s[4:5]
.LBB55_115:
	s_or_b64 exec, exec, s[12:13]
	v_mov_b32_e32 v161, 0
	ds_read_b64 v[162:163], v161 offset:344
	s_waitcnt lgkmcnt(0)
	v_mul_f64 v[114:115], v[114:115], v[162:163]
	buffer_store_dword v115, off, s[0:3], 0 offset:348
	buffer_store_dword v114, off, s[0:3], 0 offset:344
.LBB55_116:
	;; [unrolled: 58-line block ×29, first 2 shown]
	s_or_b64 exec, exec, s[10:11]
	buffer_load_dword v114, off, s[0:3], 0 offset:120
	buffer_load_dword v115, off, s[0:3], 0 offset:124
	v_cmp_lt_u32_e64 s[6:7], 15, v0
	s_waitcnt vmcnt(0)
	ds_write_b64 v116, v[114:115]
	s_waitcnt lgkmcnt(0)
	; wave barrier
	s_waitcnt lgkmcnt(0)
	s_and_saveexec_b64 s[10:11], s[6:7]
	s_cbranch_execz .LBB55_396
; %bb.387:
	s_andn2_b64 vcc, exec, s[8:9]
	s_cbranch_vccnz .LBB55_389
; %bb.388:
	buffer_load_dword v114, v117, s[0:3], 0 offen
	buffer_load_dword v115, v117, s[0:3], 0 offen offset:4
	ds_read_b64 v[134:135], v116
	s_waitcnt vmcnt(0) lgkmcnt(0)
	v_mul_f64 v[114:115], v[114:115], v[134:135]
	s_cbranch_execz .LBB55_390
	s_branch .LBB55_391
.LBB55_389:
                                        ; implicit-def: $vgpr114_vgpr115
.LBB55_390:
	ds_read_b64 v[114:115], v116
.LBB55_391:
	s_and_saveexec_b64 s[12:13], s[4:5]
	s_cbranch_execz .LBB55_395
; %bb.392:
	v_add_u32_e32 v134, -16, v0
	s_movk_i32 s14, 0x240
	s_mov_b64 s[4:5], 0
.LBB55_393:                             ; =>This Inner Loop Header: Depth=1
	buffer_load_dword v136, v133, s[0:3], 0 offen
	buffer_load_dword v137, v133, s[0:3], 0 offen offset:4
	v_mov_b32_e32 v135, s14
	ds_read_b64 v[138:139], v135
	v_add_u32_e32 v134, -1, v134
	s_add_i32 s14, s14, 8
	v_cmp_eq_u32_e32 vcc, 0, v134
	v_add_u32_e32 v133, 8, v133
	s_or_b64 s[4:5], vcc, s[4:5]
	s_waitcnt vmcnt(0) lgkmcnt(0)
	v_fmac_f64_e32 v[114:115], v[136:137], v[138:139]
	s_andn2_b64 exec, exec, s[4:5]
	s_cbranch_execnz .LBB55_393
; %bb.394:
	s_or_b64 exec, exec, s[4:5]
.LBB55_395:
	s_or_b64 exec, exec, s[12:13]
	v_mov_b32_e32 v133, 0
	ds_read_b64 v[134:135], v133 offset:120
	s_waitcnt lgkmcnt(0)
	v_mul_f64 v[114:115], v[114:115], v[134:135]
	buffer_store_dword v115, off, s[0:3], 0 offset:124
	buffer_store_dword v114, off, s[0:3], 0 offset:120
.LBB55_396:
	s_or_b64 exec, exec, s[10:11]
	buffer_load_dword v114, off, s[0:3], 0 offset:112
	buffer_load_dword v115, off, s[0:3], 0 offset:116
	v_cmp_lt_u32_e64 s[4:5], 14, v0
	s_waitcnt vmcnt(0)
	ds_write_b64 v116, v[114:115]
	s_waitcnt lgkmcnt(0)
	; wave barrier
	s_waitcnt lgkmcnt(0)
	s_and_saveexec_b64 s[10:11], s[4:5]
	s_cbranch_execz .LBB55_406
; %bb.397:
	s_andn2_b64 vcc, exec, s[8:9]
	s_cbranch_vccnz .LBB55_399
; %bb.398:
	buffer_load_dword v114, v117, s[0:3], 0 offen
	buffer_load_dword v115, v117, s[0:3], 0 offen offset:4
	ds_read_b64 v[134:135], v116
	s_waitcnt vmcnt(0) lgkmcnt(0)
	v_mul_f64 v[114:115], v[114:115], v[134:135]
	s_cbranch_execz .LBB55_400
	s_branch .LBB55_401
.LBB55_399:
                                        ; implicit-def: $vgpr114_vgpr115
.LBB55_400:
	ds_read_b64 v[114:115], v116
.LBB55_401:
	s_and_saveexec_b64 s[12:13], s[6:7]
	s_cbranch_execz .LBB55_405
; %bb.402:
	v_add_u32_e32 v133, -15, v0
	s_movk_i32 s14, 0x238
	s_mov_b64 s[6:7], 0
.LBB55_403:                             ; =>This Inner Loop Header: Depth=1
	buffer_load_dword v134, v132, s[0:3], 0 offen
	buffer_load_dword v135, v132, s[0:3], 0 offen offset:4
	v_mov_b32_e32 v136, s14
	ds_read_b64 v[136:137], v136
	v_add_u32_e32 v133, -1, v133
	s_add_i32 s14, s14, 8
	v_cmp_eq_u32_e32 vcc, 0, v133
	v_add_u32_e32 v132, 8, v132
	s_or_b64 s[6:7], vcc, s[6:7]
	s_waitcnt vmcnt(0) lgkmcnt(0)
	v_fmac_f64_e32 v[114:115], v[134:135], v[136:137]
	s_andn2_b64 exec, exec, s[6:7]
	s_cbranch_execnz .LBB55_403
; %bb.404:
	s_or_b64 exec, exec, s[6:7]
.LBB55_405:
	s_or_b64 exec, exec, s[12:13]
	v_mov_b32_e32 v132, 0
	ds_read_b64 v[132:133], v132 offset:112
	s_waitcnt lgkmcnt(0)
	v_mul_f64 v[114:115], v[114:115], v[132:133]
	buffer_store_dword v115, off, s[0:3], 0 offset:116
	buffer_store_dword v114, off, s[0:3], 0 offset:112
.LBB55_406:
	;; [unrolled: 58-line block ×15, first 2 shown]
	s_or_b64 exec, exec, s[10:11]
	buffer_load_dword v114, off, s[0:3], 0
	buffer_load_dword v115, off, s[0:3], 0 offset:4
	v_cmp_ne_u32_e32 vcc, 0, v0
	s_waitcnt vmcnt(0)
	ds_write_b64 v116, v[114:115]
	s_waitcnt lgkmcnt(0)
	; wave barrier
	s_waitcnt lgkmcnt(0)
	s_and_saveexec_b64 s[4:5], vcc
	s_cbranch_execz .LBB55_546
; %bb.537:
	s_andn2_b64 vcc, exec, s[8:9]
	s_cbranch_vccnz .LBB55_539
; %bb.538:
	buffer_load_dword v114, v117, s[0:3], 0 offen
	buffer_load_dword v115, v117, s[0:3], 0 offen offset:4
	ds_read_b64 v[120:121], v116
	s_waitcnt vmcnt(0) lgkmcnt(0)
	v_mul_f64 v[114:115], v[114:115], v[120:121]
	s_cbranch_execz .LBB55_540
	s_branch .LBB55_541
.LBB55_539:
                                        ; implicit-def: $vgpr114_vgpr115
.LBB55_540:
	ds_read_b64 v[114:115], v116
.LBB55_541:
	s_and_saveexec_b64 s[10:11], s[6:7]
	s_cbranch_execz .LBB55_545
; %bb.542:
	v_add_u32_e32 v119, -1, v0
	s_movk_i32 s12, 0x1c8
	s_mov_b64 s[6:7], 0
.LBB55_543:                             ; =>This Inner Loop Header: Depth=1
	buffer_load_dword v120, v118, s[0:3], 0 offen
	buffer_load_dword v121, v118, s[0:3], 0 offen offset:4
	v_mov_b32_e32 v122, s12
	ds_read_b64 v[122:123], v122
	v_add_u32_e32 v119, -1, v119
	s_add_i32 s12, s12, 8
	v_cmp_eq_u32_e32 vcc, 0, v119
	v_add_u32_e32 v118, 8, v118
	s_or_b64 s[6:7], vcc, s[6:7]
	s_waitcnt vmcnt(0) lgkmcnt(0)
	v_fmac_f64_e32 v[114:115], v[120:121], v[122:123]
	s_andn2_b64 exec, exec, s[6:7]
	s_cbranch_execnz .LBB55_543
; %bb.544:
	s_or_b64 exec, exec, s[6:7]
.LBB55_545:
	s_or_b64 exec, exec, s[10:11]
	v_mov_b32_e32 v118, 0
	ds_read_b64 v[118:119], v118
	s_waitcnt lgkmcnt(0)
	v_mul_f64 v[114:115], v[114:115], v[118:119]
	buffer_store_dword v115, off, s[0:3], 0 offset:4
	buffer_store_dword v114, off, s[0:3], 0
.LBB55_546:
	s_or_b64 exec, exec, s[4:5]
	s_mov_b64 s[4:5], 0
.LBB55_547:
	s_and_b64 vcc, exec, s[4:5]
	s_cbranch_vccz .LBB55_1091
; %bb.548:
	buffer_load_dword v114, off, s[0:3], 0 offset:8
	buffer_load_dword v115, off, s[0:3], 0 offset:12
	v_cmp_eq_u32_e64 s[6:7], 0, v0
	s_waitcnt vmcnt(0)
	ds_write_b64 v116, v[114:115]
	s_waitcnt lgkmcnt(0)
	; wave barrier
	s_waitcnt lgkmcnt(0)
	s_and_saveexec_b64 s[4:5], s[6:7]
	s_cbranch_execz .LBB55_554
; %bb.549:
	s_and_b64 vcc, exec, s[8:9]
	s_cbranch_vccz .LBB55_551
; %bb.550:
	buffer_load_dword v114, v117, s[0:3], 0 offen
	buffer_load_dword v115, v117, s[0:3], 0 offen offset:4
	ds_read_b64 v[118:119], v116
	s_waitcnt vmcnt(0) lgkmcnt(0)
	v_mul_f64 v[114:115], v[114:115], v[118:119]
	s_cbranch_execz .LBB55_552
	s_branch .LBB55_553
.LBB55_551:
                                        ; implicit-def: $vgpr114_vgpr115
.LBB55_552:
	ds_read_b64 v[114:115], v116
.LBB55_553:
	v_mov_b32_e32 v118, 0
	ds_read_b64 v[118:119], v118 offset:8
	s_waitcnt lgkmcnt(0)
	v_mul_f64 v[114:115], v[114:115], v[118:119]
	buffer_store_dword v115, off, s[0:3], 0 offset:12
	buffer_store_dword v114, off, s[0:3], 0 offset:8
.LBB55_554:
	s_or_b64 exec, exec, s[4:5]
	buffer_load_dword v114, off, s[0:3], 0 offset:16
	buffer_load_dword v115, off, s[0:3], 0 offset:20
	v_cndmask_b32_e64 v118, 0, 1, s[8:9]
	v_cmp_gt_u32_e32 vcc, 2, v0
	v_cmp_ne_u32_e64 s[4:5], 1, v118
	s_waitcnt vmcnt(0)
	ds_write_b64 v116, v[114:115]
	s_waitcnt lgkmcnt(0)
	; wave barrier
	s_waitcnt lgkmcnt(0)
	s_and_saveexec_b64 s[8:9], vcc
	s_cbranch_execz .LBB55_562
; %bb.555:
	s_and_b64 vcc, exec, s[4:5]
	s_cbranch_vccnz .LBB55_557
; %bb.556:
	buffer_load_dword v114, v117, s[0:3], 0 offen
	buffer_load_dword v115, v117, s[0:3], 0 offen offset:4
	ds_read_b64 v[118:119], v116
	s_waitcnt vmcnt(0) lgkmcnt(0)
	v_mul_f64 v[114:115], v[114:115], v[118:119]
	s_cbranch_execz .LBB55_558
	s_branch .LBB55_559
.LBB55_557:
                                        ; implicit-def: $vgpr114_vgpr115
.LBB55_558:
	ds_read_b64 v[114:115], v116
.LBB55_559:
	s_and_saveexec_b64 s[10:11], s[6:7]
	s_cbranch_execz .LBB55_561
; %bb.560:
	buffer_load_dword v118, v117, s[0:3], 0 offen offset:8
	buffer_load_dword v119, v117, s[0:3], 0 offen offset:12
	ds_read_b64 v[120:121], v116 offset:8
	s_waitcnt vmcnt(0) lgkmcnt(0)
	v_fmac_f64_e32 v[114:115], v[118:119], v[120:121]
.LBB55_561:
	s_or_b64 exec, exec, s[10:11]
	v_mov_b32_e32 v118, 0
	ds_read_b64 v[118:119], v118 offset:16
	s_waitcnt lgkmcnt(0)
	v_mul_f64 v[114:115], v[114:115], v[118:119]
	buffer_store_dword v115, off, s[0:3], 0 offset:20
	buffer_store_dword v114, off, s[0:3], 0 offset:16
.LBB55_562:
	s_or_b64 exec, exec, s[8:9]
	buffer_load_dword v114, off, s[0:3], 0 offset:24
	buffer_load_dword v115, off, s[0:3], 0 offset:28
	v_cmp_gt_u32_e32 vcc, 3, v0
	s_waitcnt vmcnt(0)
	ds_write_b64 v116, v[114:115]
	s_waitcnt lgkmcnt(0)
	; wave barrier
	s_waitcnt lgkmcnt(0)
	s_and_saveexec_b64 s[8:9], vcc
	s_cbranch_execz .LBB55_570
; %bb.563:
	s_and_b64 vcc, exec, s[4:5]
	s_cbranch_vccnz .LBB55_565
; %bb.564:
	buffer_load_dword v114, v117, s[0:3], 0 offen
	buffer_load_dword v115, v117, s[0:3], 0 offen offset:4
	ds_read_b64 v[118:119], v116
	s_waitcnt vmcnt(0) lgkmcnt(0)
	v_mul_f64 v[114:115], v[114:115], v[118:119]
	s_cbranch_execz .LBB55_566
	s_branch .LBB55_567
.LBB55_565:
                                        ; implicit-def: $vgpr114_vgpr115
.LBB55_566:
	ds_read_b64 v[114:115], v116
.LBB55_567:
	v_cmp_ne_u32_e32 vcc, 2, v0
	s_and_saveexec_b64 s[10:11], vcc
	s_cbranch_execz .LBB55_569
; %bb.568:
	buffer_load_dword v119, v117, s[0:3], 0 offen offset:12
	buffer_load_dword v120, off, s[0:3], 0 offset:16
	buffer_load_dword v118, v117, s[0:3], 0 offen offset:8
	buffer_load_dword v121, off, s[0:3], 0 offset:20
	v_mov_b32_e32 v124, 0
	ds_read_b64 v[122:123], v116 offset:8
	ds_read_b64 v[124:125], v124 offset:464
	s_waitcnt vmcnt(1) lgkmcnt(1)
	v_fmac_f64_e32 v[114:115], v[118:119], v[122:123]
	s_waitcnt vmcnt(0) lgkmcnt(0)
	v_fma_f64 v[118:119], v[120:121], v[124:125], v[114:115]
	v_cndmask_b32_e64 v115, v115, v119, s[6:7]
	v_cndmask_b32_e64 v114, v114, v118, s[6:7]
.LBB55_569:
	s_or_b64 exec, exec, s[10:11]
	v_mov_b32_e32 v118, 0
	ds_read_b64 v[118:119], v118 offset:24
	s_waitcnt lgkmcnt(0)
	v_mul_f64 v[114:115], v[114:115], v[118:119]
	buffer_store_dword v115, off, s[0:3], 0 offset:28
	buffer_store_dword v114, off, s[0:3], 0 offset:24
.LBB55_570:
	s_or_b64 exec, exec, s[8:9]
	buffer_load_dword v114, off, s[0:3], 0 offset:32
	buffer_load_dword v115, off, s[0:3], 0 offset:36
	v_cmp_gt_u32_e32 vcc, 4, v0
	s_waitcnt vmcnt(0)
	ds_write_b64 v116, v[114:115]
	s_waitcnt lgkmcnt(0)
	; wave barrier
	s_waitcnt lgkmcnt(0)
	s_and_saveexec_b64 s[6:7], vcc
	s_cbranch_execz .LBB55_580
; %bb.571:
	s_and_b64 vcc, exec, s[4:5]
	s_cbranch_vccnz .LBB55_573
; %bb.572:
	buffer_load_dword v114, v117, s[0:3], 0 offen
	buffer_load_dword v115, v117, s[0:3], 0 offen offset:4
	ds_read_b64 v[118:119], v116
	s_waitcnt vmcnt(0) lgkmcnt(0)
	v_mul_f64 v[114:115], v[114:115], v[118:119]
	s_cbranch_execz .LBB55_574
	s_branch .LBB55_575
.LBB55_573:
                                        ; implicit-def: $vgpr114_vgpr115
.LBB55_574:
	ds_read_b64 v[114:115], v116
.LBB55_575:
	v_cmp_ne_u32_e32 vcc, 3, v0
	s_and_saveexec_b64 s[8:9], vcc
	s_cbranch_execz .LBB55_579
; %bb.576:
	v_mov_b32_e32 v119, 0
	v_add_u32_e32 v118, 0x1c8, v1
	v_add3_u32 v119, v1, v119, 8
	s_mov_b64 s[10:11], 0
	v_mov_b32_e32 v120, v0
.LBB55_577:                             ; =>This Inner Loop Header: Depth=1
	buffer_load_dword v122, v119, s[0:3], 0 offen
	buffer_load_dword v123, v119, s[0:3], 0 offen offset:4
	ds_read_b64 v[124:125], v118
	v_add_u32_e32 v120, 1, v120
	v_cmp_lt_u32_e32 vcc, 2, v120
	v_add_u32_e32 v118, 8, v118
	v_add_u32_e32 v119, 8, v119
	s_or_b64 s[10:11], vcc, s[10:11]
	s_waitcnt vmcnt(0) lgkmcnt(0)
	v_fmac_f64_e32 v[114:115], v[122:123], v[124:125]
	s_andn2_b64 exec, exec, s[10:11]
	s_cbranch_execnz .LBB55_577
; %bb.578:
	s_or_b64 exec, exec, s[10:11]
.LBB55_579:
	s_or_b64 exec, exec, s[8:9]
	v_mov_b32_e32 v118, 0
	ds_read_b64 v[118:119], v118 offset:32
	s_waitcnt lgkmcnt(0)
	v_mul_f64 v[114:115], v[114:115], v[118:119]
	buffer_store_dword v115, off, s[0:3], 0 offset:36
	buffer_store_dword v114, off, s[0:3], 0 offset:32
.LBB55_580:
	s_or_b64 exec, exec, s[6:7]
	buffer_load_dword v114, off, s[0:3], 0 offset:40
	buffer_load_dword v115, off, s[0:3], 0 offset:44
	v_cmp_gt_u32_e32 vcc, 5, v0
	s_waitcnt vmcnt(0)
	ds_write_b64 v116, v[114:115]
	s_waitcnt lgkmcnt(0)
	; wave barrier
	s_waitcnt lgkmcnt(0)
	s_and_saveexec_b64 s[6:7], vcc
	s_cbranch_execz .LBB55_590
; %bb.581:
	s_and_b64 vcc, exec, s[4:5]
	s_cbranch_vccnz .LBB55_583
; %bb.582:
	buffer_load_dword v114, v117, s[0:3], 0 offen
	buffer_load_dword v115, v117, s[0:3], 0 offen offset:4
	ds_read_b64 v[118:119], v116
	s_waitcnt vmcnt(0) lgkmcnt(0)
	v_mul_f64 v[114:115], v[114:115], v[118:119]
	s_cbranch_execz .LBB55_584
	s_branch .LBB55_585
.LBB55_583:
                                        ; implicit-def: $vgpr114_vgpr115
.LBB55_584:
	ds_read_b64 v[114:115], v116
.LBB55_585:
	v_cmp_ne_u32_e32 vcc, 4, v0
	s_and_saveexec_b64 s[8:9], vcc
	s_cbranch_execz .LBB55_589
; %bb.586:
	v_mov_b32_e32 v119, 0
	v_add_u32_e32 v118, 0x1c8, v1
	v_add3_u32 v119, v1, v119, 8
	s_mov_b64 s[10:11], 0
	v_mov_b32_e32 v120, v0
.LBB55_587:                             ; =>This Inner Loop Header: Depth=1
	buffer_load_dword v122, v119, s[0:3], 0 offen
	buffer_load_dword v123, v119, s[0:3], 0 offen offset:4
	ds_read_b64 v[124:125], v118
	v_add_u32_e32 v120, 1, v120
	v_cmp_lt_u32_e32 vcc, 3, v120
	v_add_u32_e32 v118, 8, v118
	v_add_u32_e32 v119, 8, v119
	s_or_b64 s[10:11], vcc, s[10:11]
	s_waitcnt vmcnt(0) lgkmcnt(0)
	v_fmac_f64_e32 v[114:115], v[122:123], v[124:125]
	s_andn2_b64 exec, exec, s[10:11]
	s_cbranch_execnz .LBB55_587
; %bb.588:
	s_or_b64 exec, exec, s[10:11]
.LBB55_589:
	s_or_b64 exec, exec, s[8:9]
	v_mov_b32_e32 v118, 0
	ds_read_b64 v[118:119], v118 offset:40
	s_waitcnt lgkmcnt(0)
	v_mul_f64 v[114:115], v[114:115], v[118:119]
	buffer_store_dword v115, off, s[0:3], 0 offset:44
	buffer_store_dword v114, off, s[0:3], 0 offset:40
.LBB55_590:
	;; [unrolled: 60-line block ×43, first 2 shown]
	s_or_b64 exec, exec, s[6:7]
	buffer_load_dword v114, off, s[0:3], 0 offset:376
	buffer_load_dword v115, off, s[0:3], 0 offset:380
	v_cmp_gt_u32_e32 vcc, 47, v0
	s_waitcnt vmcnt(0)
	ds_write_b64 v116, v[114:115]
	s_waitcnt lgkmcnt(0)
	; wave barrier
	s_waitcnt lgkmcnt(0)
	s_and_saveexec_b64 s[6:7], vcc
	s_cbranch_execz .LBB55_1010
; %bb.1001:
	s_and_b64 vcc, exec, s[4:5]
	s_cbranch_vccnz .LBB55_1003
; %bb.1002:
	buffer_load_dword v114, v117, s[0:3], 0 offen
	buffer_load_dword v115, v117, s[0:3], 0 offen offset:4
	ds_read_b64 v[118:119], v116
	s_waitcnt vmcnt(0) lgkmcnt(0)
	v_mul_f64 v[114:115], v[114:115], v[118:119]
	s_cbranch_execz .LBB55_1004
	s_branch .LBB55_1005
.LBB55_1003:
                                        ; implicit-def: $vgpr114_vgpr115
.LBB55_1004:
	ds_read_b64 v[114:115], v116
.LBB55_1005:
	v_cmp_ne_u32_e32 vcc, 46, v0
	s_and_saveexec_b64 s[8:9], vcc
	s_cbranch_execz .LBB55_1009
; %bb.1006:
	v_mov_b32_e32 v119, 0
	v_add_u32_e32 v118, 0x1c8, v1
	v_add3_u32 v119, v1, v119, 8
	s_mov_b64 s[10:11], 0
	v_mov_b32_e32 v120, v0
.LBB55_1007:                            ; =>This Inner Loop Header: Depth=1
	buffer_load_dword v122, v119, s[0:3], 0 offen
	buffer_load_dword v123, v119, s[0:3], 0 offen offset:4
	ds_read_b64 v[124:125], v118
	v_add_u32_e32 v120, 1, v120
	v_cmp_lt_u32_e32 vcc, 45, v120
	v_add_u32_e32 v118, 8, v118
	v_add_u32_e32 v119, 8, v119
	s_or_b64 s[10:11], vcc, s[10:11]
	s_waitcnt vmcnt(0) lgkmcnt(0)
	v_fmac_f64_e32 v[114:115], v[122:123], v[124:125]
	s_andn2_b64 exec, exec, s[10:11]
	s_cbranch_execnz .LBB55_1007
; %bb.1008:
	s_or_b64 exec, exec, s[10:11]
.LBB55_1009:
	s_or_b64 exec, exec, s[8:9]
	v_mov_b32_e32 v118, 0
	ds_read_b64 v[118:119], v118 offset:376
	s_waitcnt lgkmcnt(0)
	v_mul_f64 v[114:115], v[114:115], v[118:119]
	buffer_store_dword v115, off, s[0:3], 0 offset:380
	buffer_store_dword v114, off, s[0:3], 0 offset:376
.LBB55_1010:
	s_or_b64 exec, exec, s[6:7]
	buffer_load_dword v114, off, s[0:3], 0 offset:384
	buffer_load_dword v115, off, s[0:3], 0 offset:388
	v_cmp_gt_u32_e32 vcc, 48, v0
	s_waitcnt vmcnt(0)
	ds_write_b64 v116, v[114:115]
	s_waitcnt lgkmcnt(0)
	; wave barrier
	s_waitcnt lgkmcnt(0)
	s_and_saveexec_b64 s[6:7], vcc
	s_cbranch_execz .LBB55_1020
; %bb.1011:
	s_and_b64 vcc, exec, s[4:5]
	s_cbranch_vccnz .LBB55_1013
; %bb.1012:
	buffer_load_dword v114, v117, s[0:3], 0 offen
	buffer_load_dword v115, v117, s[0:3], 0 offen offset:4
	ds_read_b64 v[118:119], v116
	s_waitcnt vmcnt(0) lgkmcnt(0)
	v_mul_f64 v[114:115], v[114:115], v[118:119]
	s_cbranch_execz .LBB55_1014
	s_branch .LBB55_1015
.LBB55_1013:
                                        ; implicit-def: $vgpr114_vgpr115
.LBB55_1014:
	ds_read_b64 v[114:115], v116
.LBB55_1015:
	v_cmp_ne_u32_e32 vcc, 47, v0
	s_and_saveexec_b64 s[8:9], vcc
	s_cbranch_execz .LBB55_1019
; %bb.1016:
	v_mov_b32_e32 v119, 0
	v_add_u32_e32 v118, 0x1c8, v1
	v_add3_u32 v119, v1, v119, 8
	s_mov_b64 s[10:11], 0
	v_mov_b32_e32 v120, v0
.LBB55_1017:                            ; =>This Inner Loop Header: Depth=1
	buffer_load_dword v122, v119, s[0:3], 0 offen
	buffer_load_dword v123, v119, s[0:3], 0 offen offset:4
	ds_read_b64 v[124:125], v118
	v_add_u32_e32 v120, 1, v120
	v_cmp_lt_u32_e32 vcc, 46, v120
	v_add_u32_e32 v118, 8, v118
	v_add_u32_e32 v119, 8, v119
	s_or_b64 s[10:11], vcc, s[10:11]
	s_waitcnt vmcnt(0) lgkmcnt(0)
	v_fmac_f64_e32 v[114:115], v[122:123], v[124:125]
	s_andn2_b64 exec, exec, s[10:11]
	s_cbranch_execnz .LBB55_1017
; %bb.1018:
	s_or_b64 exec, exec, s[10:11]
.LBB55_1019:
	s_or_b64 exec, exec, s[8:9]
	v_mov_b32_e32 v118, 0
	ds_read_b64 v[118:119], v118 offset:384
	s_waitcnt lgkmcnt(0)
	v_mul_f64 v[114:115], v[114:115], v[118:119]
	buffer_store_dword v115, off, s[0:3], 0 offset:388
	buffer_store_dword v114, off, s[0:3], 0 offset:384
.LBB55_1020:
	;; [unrolled: 60-line block ×7, first 2 shown]
	s_or_b64 exec, exec, s[6:7]
	buffer_load_dword v114, off, s[0:3], 0 offset:432
	buffer_load_dword v115, off, s[0:3], 0 offset:436
	v_cmp_gt_u32_e64 s[6:7], 54, v0
	s_waitcnt vmcnt(0)
	ds_write_b64 v116, v[114:115]
	s_waitcnt lgkmcnt(0)
	; wave barrier
	s_waitcnt lgkmcnt(0)
	s_and_saveexec_b64 s[8:9], s[6:7]
	s_cbranch_execz .LBB55_1080
; %bb.1071:
	s_and_b64 vcc, exec, s[4:5]
	s_cbranch_vccnz .LBB55_1073
; %bb.1072:
	buffer_load_dword v114, v117, s[0:3], 0 offen
	buffer_load_dword v115, v117, s[0:3], 0 offen offset:4
	ds_read_b64 v[118:119], v116
	s_waitcnt vmcnt(0) lgkmcnt(0)
	v_mul_f64 v[114:115], v[114:115], v[118:119]
	s_cbranch_execz .LBB55_1074
	s_branch .LBB55_1075
.LBB55_1073:
                                        ; implicit-def: $vgpr114_vgpr115
.LBB55_1074:
	ds_read_b64 v[114:115], v116
.LBB55_1075:
	v_cmp_ne_u32_e32 vcc, 53, v0
	s_and_saveexec_b64 s[10:11], vcc
	s_cbranch_execz .LBB55_1079
; %bb.1076:
	v_mov_b32_e32 v119, 0
	v_add_u32_e32 v118, 0x1c8, v1
	v_add3_u32 v119, v1, v119, 8
	s_mov_b64 s[12:13], 0
	v_mov_b32_e32 v120, v0
.LBB55_1077:                            ; =>This Inner Loop Header: Depth=1
	buffer_load_dword v122, v119, s[0:3], 0 offen
	buffer_load_dword v123, v119, s[0:3], 0 offen offset:4
	ds_read_b64 v[124:125], v118
	v_add_u32_e32 v120, 1, v120
	v_cmp_lt_u32_e32 vcc, 52, v120
	v_add_u32_e32 v118, 8, v118
	v_add_u32_e32 v119, 8, v119
	s_or_b64 s[12:13], vcc, s[12:13]
	s_waitcnt vmcnt(0) lgkmcnt(0)
	v_fmac_f64_e32 v[114:115], v[122:123], v[124:125]
	s_andn2_b64 exec, exec, s[12:13]
	s_cbranch_execnz .LBB55_1077
; %bb.1078:
	s_or_b64 exec, exec, s[12:13]
.LBB55_1079:
	s_or_b64 exec, exec, s[10:11]
	v_mov_b32_e32 v118, 0
	ds_read_b64 v[118:119], v118 offset:432
	s_waitcnt lgkmcnt(0)
	v_mul_f64 v[114:115], v[114:115], v[118:119]
	buffer_store_dword v115, off, s[0:3], 0 offset:436
	buffer_store_dword v114, off, s[0:3], 0 offset:432
.LBB55_1080:
	s_or_b64 exec, exec, s[8:9]
	buffer_load_dword v114, off, s[0:3], 0 offset:440
	buffer_load_dword v115, off, s[0:3], 0 offset:444
	v_cmp_ne_u32_e32 vcc, 55, v0
	s_waitcnt vmcnt(0)
	ds_write_b64 v116, v[114:115]
	s_waitcnt lgkmcnt(0)
	; wave barrier
	s_waitcnt lgkmcnt(0)
	s_and_saveexec_b64 s[8:9], vcc
	s_cbranch_execz .LBB55_1090
; %bb.1081:
	s_and_b64 vcc, exec, s[4:5]
	s_cbranch_vccnz .LBB55_1083
; %bb.1082:
	buffer_load_dword v114, v117, s[0:3], 0 offen
	buffer_load_dword v115, v117, s[0:3], 0 offen offset:4
	ds_read_b64 v[118:119], v116
	s_waitcnt vmcnt(0) lgkmcnt(0)
	v_mul_f64 v[114:115], v[114:115], v[118:119]
	s_cbranch_execz .LBB55_1084
	s_branch .LBB55_1085
.LBB55_1083:
                                        ; implicit-def: $vgpr114_vgpr115
.LBB55_1084:
	ds_read_b64 v[114:115], v116
.LBB55_1085:
	s_and_saveexec_b64 s[4:5], s[6:7]
	s_cbranch_execz .LBB55_1089
; %bb.1086:
	v_mov_b32_e32 v117, 0
	v_add_u32_e32 v116, 0x1c8, v1
	v_add3_u32 v1, v1, v117, 8
	s_mov_b64 s[6:7], 0
.LBB55_1087:                            ; =>This Inner Loop Header: Depth=1
	buffer_load_dword v118, v1, s[0:3], 0 offen
	buffer_load_dword v119, v1, s[0:3], 0 offen offset:4
	ds_read_b64 v[120:121], v116
	v_add_u32_e32 v0, 1, v0
	v_cmp_lt_u32_e32 vcc, 53, v0
	v_add_u32_e32 v116, 8, v116
	v_add_u32_e32 v1, 8, v1
	s_or_b64 s[6:7], vcc, s[6:7]
	s_waitcnt vmcnt(0) lgkmcnt(0)
	v_fmac_f64_e32 v[114:115], v[118:119], v[120:121]
	s_andn2_b64 exec, exec, s[6:7]
	s_cbranch_execnz .LBB55_1087
; %bb.1088:
	s_or_b64 exec, exec, s[6:7]
.LBB55_1089:
	s_or_b64 exec, exec, s[4:5]
	v_mov_b32_e32 v0, 0
	ds_read_b64 v[0:1], v0 offset:440
	s_waitcnt lgkmcnt(0)
	v_mul_f64 v[0:1], v[114:115], v[0:1]
	buffer_store_dword v1, off, s[0:3], 0 offset:444
	buffer_store_dword v0, off, s[0:3], 0 offset:440
.LBB55_1090:
	s_or_b64 exec, exec, s[8:9]
.LBB55_1091:
	buffer_load_dword v0, off, s[0:3], 0
	buffer_load_dword v1, off, s[0:3], 0 offset:4
	buffer_load_dword v114, off, s[0:3], 0 offset:8
	;; [unrolled: 1-line block ×111, first 2 shown]
	s_waitcnt vmcnt(62)
	global_store_dwordx2 v[104:105], v[0:1], off
	global_store_dwordx2 v[106:107], v[114:115], off
	;; [unrolled: 1-line block ×25, first 2 shown]
	s_waitcnt vmcnt(62)
	global_store_dwordx2 v[48:49], v[162:163], off
	global_store_dwordx2 v[50:51], v[164:165], off
	;; [unrolled: 1-line block ×12, first 2 shown]
	s_waitcnt vmcnt(62)
	global_store_dwordx2 v[72:73], v[186:187], off
	global_store_dwordx2 v[74:75], v[188:189], off
	;; [unrolled: 1-line block ×6, first 2 shown]
	s_waitcnt vmcnt(62)
	global_store_dwordx2 v[84:85], v[198:199], off
	global_store_dwordx2 v[86:87], v[200:201], off
	;; [unrolled: 1-line block ×3, first 2 shown]
	s_waitcnt vmcnt(62)
	global_store_dwordx2 v[90:91], v[204:205], off
	global_store_dwordx2 v[92:93], v[206:207], off
	s_waitcnt vmcnt(62)
	global_store_dwordx2 v[94:95], v[208:209], off
	s_waitcnt vmcnt(61)
	;; [unrolled: 2-line block ×8, first 2 shown]
	global_store_dwordx2 v[112:113], v[222:223], off
.LBB55_1092:
	s_endpgm
	.section	.rodata,"a",@progbits
	.p2align	6, 0x0
	.amdhsa_kernel _ZN9rocsolver6v33100L18trti2_kernel_smallILi56EdPdEEv13rocblas_fill_17rocblas_diagonal_T1_iil
		.amdhsa_group_segment_fixed_size 896
		.amdhsa_private_segment_fixed_size 464
		.amdhsa_kernarg_size 32
		.amdhsa_user_sgpr_count 8
		.amdhsa_user_sgpr_private_segment_buffer 1
		.amdhsa_user_sgpr_dispatch_ptr 0
		.amdhsa_user_sgpr_queue_ptr 0
		.amdhsa_user_sgpr_kernarg_segment_ptr 1
		.amdhsa_user_sgpr_dispatch_id 0
		.amdhsa_user_sgpr_flat_scratch_init 1
		.amdhsa_user_sgpr_kernarg_preload_length 0
		.amdhsa_user_sgpr_kernarg_preload_offset 0
		.amdhsa_user_sgpr_private_segment_size 0
		.amdhsa_uses_dynamic_stack 0
		.amdhsa_system_sgpr_private_segment_wavefront_offset 1
		.amdhsa_system_sgpr_workgroup_id_x 1
		.amdhsa_system_sgpr_workgroup_id_y 0
		.amdhsa_system_sgpr_workgroup_id_z 0
		.amdhsa_system_sgpr_workgroup_info 0
		.amdhsa_system_vgpr_workitem_id 0
		.amdhsa_next_free_vgpr 224
		.amdhsa_next_free_sgpr 20
		.amdhsa_accum_offset 224
		.amdhsa_reserve_vcc 1
		.amdhsa_reserve_flat_scratch 0
		.amdhsa_float_round_mode_32 0
		.amdhsa_float_round_mode_16_64 0
		.amdhsa_float_denorm_mode_32 3
		.amdhsa_float_denorm_mode_16_64 3
		.amdhsa_dx10_clamp 1
		.amdhsa_ieee_mode 1
		.amdhsa_fp16_overflow 0
		.amdhsa_tg_split 0
		.amdhsa_exception_fp_ieee_invalid_op 0
		.amdhsa_exception_fp_denorm_src 0
		.amdhsa_exception_fp_ieee_div_zero 0
		.amdhsa_exception_fp_ieee_overflow 0
		.amdhsa_exception_fp_ieee_underflow 0
		.amdhsa_exception_fp_ieee_inexact 0
		.amdhsa_exception_int_div_zero 0
	.end_amdhsa_kernel
	.section	.text._ZN9rocsolver6v33100L18trti2_kernel_smallILi56EdPdEEv13rocblas_fill_17rocblas_diagonal_T1_iil,"axG",@progbits,_ZN9rocsolver6v33100L18trti2_kernel_smallILi56EdPdEEv13rocblas_fill_17rocblas_diagonal_T1_iil,comdat
.Lfunc_end55:
	.size	_ZN9rocsolver6v33100L18trti2_kernel_smallILi56EdPdEEv13rocblas_fill_17rocblas_diagonal_T1_iil, .Lfunc_end55-_ZN9rocsolver6v33100L18trti2_kernel_smallILi56EdPdEEv13rocblas_fill_17rocblas_diagonal_T1_iil
                                        ; -- End function
	.section	.AMDGPU.csdata,"",@progbits
; Kernel info:
; codeLenInByte = 32516
; NumSgprs: 24
; NumVgprs: 224
; NumAgprs: 0
; TotalNumVgprs: 224
; ScratchSize: 464
; MemoryBound: 0
; FloatMode: 240
; IeeeMode: 1
; LDSByteSize: 896 bytes/workgroup (compile time only)
; SGPRBlocks: 2
; VGPRBlocks: 27
; NumSGPRsForWavesPerEU: 24
; NumVGPRsForWavesPerEU: 224
; AccumOffset: 224
; Occupancy: 2
; WaveLimiterHint : 0
; COMPUTE_PGM_RSRC2:SCRATCH_EN: 1
; COMPUTE_PGM_RSRC2:USER_SGPR: 8
; COMPUTE_PGM_RSRC2:TRAP_HANDLER: 0
; COMPUTE_PGM_RSRC2:TGID_X_EN: 1
; COMPUTE_PGM_RSRC2:TGID_Y_EN: 0
; COMPUTE_PGM_RSRC2:TGID_Z_EN: 0
; COMPUTE_PGM_RSRC2:TIDIG_COMP_CNT: 0
; COMPUTE_PGM_RSRC3_GFX90A:ACCUM_OFFSET: 55
; COMPUTE_PGM_RSRC3_GFX90A:TG_SPLIT: 0
	.section	.text._ZN9rocsolver6v33100L18trti2_kernel_smallILi57EdPdEEv13rocblas_fill_17rocblas_diagonal_T1_iil,"axG",@progbits,_ZN9rocsolver6v33100L18trti2_kernel_smallILi57EdPdEEv13rocblas_fill_17rocblas_diagonal_T1_iil,comdat
	.globl	_ZN9rocsolver6v33100L18trti2_kernel_smallILi57EdPdEEv13rocblas_fill_17rocblas_diagonal_T1_iil ; -- Begin function _ZN9rocsolver6v33100L18trti2_kernel_smallILi57EdPdEEv13rocblas_fill_17rocblas_diagonal_T1_iil
	.p2align	8
	.type	_ZN9rocsolver6v33100L18trti2_kernel_smallILi57EdPdEEv13rocblas_fill_17rocblas_diagonal_T1_iil,@function
_ZN9rocsolver6v33100L18trti2_kernel_smallILi57EdPdEEv13rocblas_fill_17rocblas_diagonal_T1_iil: ; @_ZN9rocsolver6v33100L18trti2_kernel_smallILi57EdPdEEv13rocblas_fill_17rocblas_diagonal_T1_iil
; %bb.0:
	s_add_u32 s0, s0, s9
	s_addc_u32 s1, s1, 0
	v_cmp_gt_u32_e32 vcc, 57, v0
	s_and_saveexec_b64 s[6:7], vcc
	s_cbranch_execz .LBB56_1112
; %bb.1:
	s_load_dwordx8 s[12:19], s[4:5], 0x0
	s_ashr_i32 s6, s8, 31
	s_waitcnt lgkmcnt(0)
	s_mul_i32 s7, s8, s19
	s_mul_hi_u32 s9, s8, s18
	s_add_i32 s7, s9, s7
	s_mul_i32 s6, s6, s18
	s_add_i32 s7, s7, s6
	s_mul_i32 s6, s8, s18
	s_ashr_i32 s5, s16, 31
	s_lshl_b64 s[6:7], s[6:7], 3
	s_mov_b32 s4, s16
	s_add_u32 s6, s14, s6
	s_addc_u32 s7, s15, s7
	s_lshl_b64 s[4:5], s[4:5], 3
	s_add_u32 s4, s6, s4
	s_addc_u32 s5, s7, s5
	s_add_i32 s6, s17, s17
	v_add_u32_e32 v4, s6, v0
	v_ashrrev_i32_e32 v5, 31, v4
	v_lshlrev_b64 v[2:3], 3, v[4:5]
	v_add_u32_e32 v6, s17, v4
	v_mov_b32_e32 v1, s5
	v_add_co_u32_e32 v2, vcc, s4, v2
	v_ashrrev_i32_e32 v7, 31, v6
	v_addc_co_u32_e32 v3, vcc, v1, v3, vcc
	v_lshlrev_b64 v[4:5], 3, v[6:7]
	v_add_u32_e32 v8, s17, v6
	v_add_co_u32_e32 v4, vcc, s4, v4
	v_ashrrev_i32_e32 v9, 31, v8
	v_addc_co_u32_e32 v5, vcc, v1, v5, vcc
	v_lshlrev_b64 v[6:7], 3, v[8:9]
	v_add_u32_e32 v10, s17, v8
	;; [unrolled: 5-line block ×46, first 2 shown]
	v_add_co_u32_e32 v94, vcc, s4, v94
	v_ashrrev_i32_e32 v99, 31, v98
	v_addc_co_u32_e32 v95, vcc, v1, v95, vcc
	v_lshlrev_b64 v[96:97], 3, v[98:99]
	v_add_co_u32_e32 v96, vcc, s4, v96
	v_addc_co_u32_e32 v97, vcc, v1, v97, vcc
	v_lshlrev_b32_e32 v1, 3, v0
	v_add_u32_e32 v100, s17, v98
	global_load_dwordx2 v[116:117], v1, s[4:5]
	global_load_dwordx2 v[120:121], v[2:3], off
	global_load_dwordx2 v[122:123], v[4:5], off
	v_mov_b32_e32 v98, s5
	v_add_co_u32_e32 v104, vcc, s4, v1
	s_ashr_i32 s7, s17, 31
	s_mov_b32 s6, s17
	v_addc_co_u32_e32 v105, vcc, 0, v98, vcc
	s_lshl_b64 s[6:7], s[6:7], 3
	v_mov_b32_e32 v98, s7
	v_add_co_u32_e32 v108, vcc, s6, v104
	v_addc_co_u32_e32 v109, vcc, v105, v98, vcc
	global_load_dwordx2 v[118:119], v[108:109], off
	global_load_dwordx2 v[124:125], v[6:7], off
	;; [unrolled: 1-line block ×7, first 2 shown]
	v_ashrrev_i32_e32 v101, 31, v100
	global_load_dwordx2 v[136:137], v[18:19], off
	global_load_dwordx2 v[138:139], v[20:21], off
	v_lshlrev_b64 v[98:99], 3, v[100:101]
	v_mov_b32_e32 v102, s5
	v_add_co_u32_e32 v98, vcc, s4, v98
	v_addc_co_u32_e32 v99, vcc, v102, v99, vcc
	v_add_u32_e32 v102, s17, v100
	v_ashrrev_i32_e32 v103, 31, v102
	v_lshlrev_b64 v[100:101], 3, v[102:103]
	v_mov_b32_e32 v106, s5
	v_add_co_u32_e32 v100, vcc, s4, v100
	v_addc_co_u32_e32 v101, vcc, v106, v101, vcc
	v_add_u32_e32 v106, s17, v102
	v_ashrrev_i32_e32 v107, 31, v106
	v_lshlrev_b64 v[102:103], 3, v[106:107]
	global_load_dwordx2 v[140:141], v[22:23], off
	global_load_dwordx2 v[142:143], v[24:25], off
	v_mov_b32_e32 v110, s5
	v_add_co_u32_e32 v102, vcc, s4, v102
	v_addc_co_u32_e32 v103, vcc, v110, v103, vcc
	v_add_u32_e32 v110, s17, v106
	v_ashrrev_i32_e32 v111, 31, v110
	v_lshlrev_b64 v[106:107], 3, v[110:111]
	v_mov_b32_e32 v112, s5
	v_add_co_u32_e32 v106, vcc, s4, v106
	v_addc_co_u32_e32 v107, vcc, v112, v107, vcc
	v_add_u32_e32 v112, s17, v110
	v_ashrrev_i32_e32 v113, 31, v112
	global_load_dwordx2 v[144:145], v[26:27], off
	global_load_dwordx2 v[146:147], v[28:29], off
	v_lshlrev_b64 v[110:111], 3, v[112:113]
	v_mov_b32_e32 v114, s5
	v_add_co_u32_e32 v110, vcc, s4, v110
	v_addc_co_u32_e32 v111, vcc, v114, v111, vcc
	v_add_u32_e32 v114, s17, v112
	v_ashrrev_i32_e32 v115, 31, v114
	v_lshlrev_b64 v[112:113], 3, v[114:115]
	v_mov_b32_e32 v148, s5
	v_add_co_u32_e32 v112, vcc, s4, v112
	v_addc_co_u32_e32 v113, vcc, v148, v113, vcc
	global_load_dwordx2 v[148:149], v[30:31], off
	global_load_dwordx2 v[150:151], v[32:33], off
	;; [unrolled: 1-line block ×7, first 2 shown]
	v_add_u32_e32 v114, s17, v114
	v_ashrrev_i32_e32 v115, 31, v114
	v_lshlrev_b64 v[114:115], 3, v[114:115]
	v_mov_b32_e32 v162, s5
	v_add_co_u32_e32 v114, vcc, s4, v114
	v_addc_co_u32_e32 v115, vcc, v162, v115, vcc
	global_load_dwordx2 v[162:163], v[44:45], off
	global_load_dwordx2 v[164:165], v[46:47], off
	;; [unrolled: 1-line block ×18, first 2 shown]
	s_cmpk_lg_i32 s13, 0x84
	s_waitcnt vmcnt(40)
	buffer_store_dword v117, off, s[0:3], 0 offset:4
	buffer_store_dword v116, off, s[0:3], 0
	global_load_dwordx2 v[116:117], v[48:49], off
	s_cselect_b64 s[8:9], -1, 0
	s_waitcnt vmcnt(40)
	buffer_store_dword v119, off, s[0:3], 0 offset:12
	buffer_store_dword v118, off, s[0:3], 0 offset:8
	global_load_dwordx2 v[118:119], v[52:53], off
	s_cmpk_eq_i32 s13, 0x84
	buffer_store_dword v121, off, s[0:3], 0 offset:20
	buffer_store_dword v120, off, s[0:3], 0 offset:16
	global_load_dwordx2 v[120:121], v[56:57], off
	s_nop 0
	buffer_store_dword v123, off, s[0:3], 0 offset:28
	buffer_store_dword v122, off, s[0:3], 0 offset:24
	global_load_dwordx2 v[122:123], v[60:61], off
	s_waitcnt vmcnt(48)
	buffer_store_dword v125, off, s[0:3], 0 offset:36
	buffer_store_dword v124, off, s[0:3], 0 offset:32
	global_load_dwordx2 v[124:125], v[64:65], off
	s_waitcnt vmcnt(50)
	;; [unrolled: 4-line block ×9, first 2 shown]
	buffer_store_dword v140, off, s[0:3], 0 offset:96
	buffer_store_dword v141, off, s[0:3], 0 offset:100
	global_load_dwordx2 v[140:141], v[96:97], off
	s_nop 0
	buffer_store_dword v142, off, s[0:3], 0 offset:104
	buffer_store_dword v143, off, s[0:3], 0 offset:108
	global_load_dwordx2 v[142:143], v[100:101], off
	s_nop 0
	buffer_store_dword v145, off, s[0:3], 0 offset:116
	buffer_store_dword v144, off, s[0:3], 0 offset:112
	global_load_dwordx2 v[144:145], v[106:107], off
	s_waitcnt vmcnt(62)
	buffer_store_dword v146, off, s[0:3], 0 offset:120
	buffer_store_dword v147, off, s[0:3], 0 offset:124
	global_load_dwordx2 v[146:147], v[112:113], off
	s_nop 0
	buffer_store_dword v148, off, s[0:3], 0 offset:128
	buffer_store_dword v149, off, s[0:3], 0 offset:132
	;; [unrolled: 1-line block ×16, first 2 shown]
	s_waitcnt vmcnt(62)
	buffer_store_dword v164, off, s[0:3], 0 offset:192
	buffer_store_dword v165, off, s[0:3], 0 offset:196
	s_waitcnt vmcnt(62)
	buffer_store_dword v117, off, s[0:3], 0 offset:204
	buffer_store_dword v116, off, s[0:3], 0 offset:200
	buffer_store_dword v167, off, s[0:3], 0 offset:212
	buffer_store_dword v166, off, s[0:3], 0 offset:208
	s_waitcnt vmcnt(62)
	buffer_store_dword v118, off, s[0:3], 0 offset:216
	buffer_store_dword v119, off, s[0:3], 0 offset:220
	;; [unrolled: 5-line block ×3, first 2 shown]
	buffer_store_dword v170, off, s[0:3], 0 offset:240
	buffer_store_dword v171, off, s[0:3], 0 offset:244
	;; [unrolled: 1-line block ×6, first 2 shown]
	s_waitcnt vmcnt(62)
	buffer_store_dword v124, off, s[0:3], 0 offset:264
	buffer_store_dword v125, off, s[0:3], 0 offset:268
	;; [unrolled: 1-line block ×8, first 2 shown]
	s_waitcnt vmcnt(62)
	buffer_store_dword v129, off, s[0:3], 0 offset:300
	buffer_store_dword v128, off, s[0:3], 0 offset:296
	;; [unrolled: 1-line block ×12, first 2 shown]
	s_waitcnt vmcnt(62)
	buffer_store_dword v135, off, s[0:3], 0 offset:348
	buffer_store_dword v134, off, s[0:3], 0 offset:344
	;; [unrolled: 1-line block ×16, first 2 shown]
	s_waitcnt vmcnt(62)
	buffer_store_dword v142, off, s[0:3], 0 offset:408
	buffer_store_dword v143, off, s[0:3], 0 offset:412
	;; [unrolled: 1-line block ×12, first 2 shown]
	v_mov_b32_e32 v116, 0
	v_mov_b32_e32 v173, 0
	;; [unrolled: 1-line block ×3, first 2 shown]
	s_cbranch_scc1 .LBB56_3
; %bb.2:
	v_lshl_add_u32 v126, v0, 3, v173
	buffer_load_dword v116, v126, s[0:3], 0 offen
	buffer_load_dword v117, v126, s[0:3], 0 offen offset:4
	s_waitcnt vmcnt(0)
	v_div_scale_f64 v[118:119], s[4:5], v[116:117], v[116:117], 1.0
	v_rcp_f64_e32 v[120:121], v[118:119]
	v_div_scale_f64 v[122:123], vcc, 1.0, v[116:117], 1.0
	v_fma_f64 v[124:125], -v[118:119], v[120:121], 1.0
	v_fmac_f64_e32 v[120:121], v[120:121], v[124:125]
	v_fma_f64 v[124:125], -v[118:119], v[120:121], 1.0
	v_fmac_f64_e32 v[120:121], v[120:121], v[124:125]
	v_mul_f64 v[124:125], v[122:123], v[120:121]
	v_fma_f64 v[118:119], -v[118:119], v[124:125], v[122:123]
	v_div_fmas_f64 v[118:119], v[118:119], v[120:121], v[124:125]
	v_div_fixup_f64 v[116:117], v[118:119], v[116:117], 1.0
	buffer_store_dword v116, v126, s[0:3], 0 offen
	buffer_store_dword v117, v126, s[0:3], 0 offen offset:4
	v_xor_b32_e32 v117, 0x80000000, v117
.LBB56_3:
	s_cmpk_eq_i32 s12, 0x79
	v_add_u32_e32 v118, 0x1d0, v1
	v_add_u32_e32 v119, 0, v1
	s_mov_b64 s[4:5], -1
	ds_write_b64 v1, v[116:117]
	s_cbranch_scc1 .LBB56_557
; %bb.4:
	buffer_load_dword v116, off, s[0:3], 0 offset:440
	buffer_load_dword v117, off, s[0:3], 0 offset:444
	v_cmp_eq_u32_e64 s[4:5], 56, v0
	s_waitcnt vmcnt(0)
	ds_write_b64 v118, v[116:117]
	s_waitcnt lgkmcnt(0)
	; wave barrier
	s_waitcnt lgkmcnt(0)
	s_and_saveexec_b64 s[6:7], s[4:5]
	s_cbranch_execz .LBB56_10
; %bb.5:
	s_and_b64 vcc, exec, s[8:9]
	s_cbranch_vccz .LBB56_7
; %bb.6:
	buffer_load_dword v116, v119, s[0:3], 0 offen
	buffer_load_dword v117, v119, s[0:3], 0 offen offset:4
	ds_read_b64 v[120:121], v118
	s_waitcnt vmcnt(0) lgkmcnt(0)
	v_mul_f64 v[116:117], v[116:117], v[120:121]
	s_cbranch_execz .LBB56_8
	s_branch .LBB56_9
.LBB56_7:
                                        ; implicit-def: $vgpr116_vgpr117
.LBB56_8:
	ds_read_b64 v[116:117], v118
.LBB56_9:
	v_mov_b32_e32 v120, 0
	ds_read_b64 v[120:121], v120 offset:440
	s_waitcnt lgkmcnt(0)
	v_mul_f64 v[116:117], v[116:117], v[120:121]
	buffer_store_dword v117, off, s[0:3], 0 offset:444
	buffer_store_dword v116, off, s[0:3], 0 offset:440
.LBB56_10:
	s_or_b64 exec, exec, s[6:7]
	buffer_load_dword v116, off, s[0:3], 0 offset:432
	buffer_load_dword v117, off, s[0:3], 0 offset:436
	v_or_b32_e32 v120, 8, v173
	v_add_u32_e32 v121, 16, v173
	v_add_u32_e32 v122, 24, v173
	;; [unrolled: 1-line block ×53, first 2 shown]
	v_cmp_lt_u32_e64 s[6:7], 54, v0
	s_waitcnt vmcnt(0)
	ds_write_b64 v118, v[116:117]
	s_waitcnt lgkmcnt(0)
	; wave barrier
	s_waitcnt lgkmcnt(0)
	s_and_saveexec_b64 s[10:11], s[6:7]
	s_cbranch_execz .LBB56_16
; %bb.11:
	s_andn2_b64 vcc, exec, s[8:9]
	s_cbranch_vccnz .LBB56_13
; %bb.12:
	buffer_load_dword v116, v119, s[0:3], 0 offen
	buffer_load_dword v117, v119, s[0:3], 0 offen offset:4
	ds_read_b64 v[174:175], v118
	s_waitcnt vmcnt(0) lgkmcnt(0)
	v_mul_f64 v[116:117], v[116:117], v[174:175]
	s_cbranch_execz .LBB56_14
	s_branch .LBB56_15
.LBB56_13:
                                        ; implicit-def: $vgpr116_vgpr117
.LBB56_14:
	ds_read_b64 v[116:117], v118
.LBB56_15:
	buffer_load_dword v178, off, s[0:3], 0 offset:440
	buffer_load_dword v179, off, s[0:3], 0 offset:444
	v_mov_b32_e32 v174, 0
	ds_read2_b64 v[174:177], v174 offset0:54 offset1:113
	s_waitcnt vmcnt(0) lgkmcnt(0)
	v_fma_f64 v[176:177], v[178:179], v[176:177], v[116:117]
	v_cndmask_b32_e64 v117, v117, v177, s[4:5]
	v_cndmask_b32_e64 v116, v116, v176, s[4:5]
	v_mul_f64 v[116:117], v[116:117], v[174:175]
	buffer_store_dword v117, off, s[0:3], 0 offset:436
	buffer_store_dword v116, off, s[0:3], 0 offset:432
.LBB56_16:
	s_or_b64 exec, exec, s[10:11]
	buffer_load_dword v116, off, s[0:3], 0 offset:424
	buffer_load_dword v117, off, s[0:3], 0 offset:428
	v_cmp_lt_u32_e64 s[4:5], 53, v0
	s_waitcnt vmcnt(0)
	ds_write_b64 v118, v[116:117]
	s_waitcnt lgkmcnt(0)
	; wave barrier
	s_waitcnt lgkmcnt(0)
	s_and_saveexec_b64 s[10:11], s[4:5]
	s_cbranch_execz .LBB56_26
; %bb.17:
	s_andn2_b64 vcc, exec, s[8:9]
	s_cbranch_vccnz .LBB56_19
; %bb.18:
	buffer_load_dword v116, v119, s[0:3], 0 offen
	buffer_load_dword v117, v119, s[0:3], 0 offen offset:4
	ds_read_b64 v[174:175], v118
	s_waitcnt vmcnt(0) lgkmcnt(0)
	v_mul_f64 v[116:117], v[116:117], v[174:175]
	s_cbranch_execz .LBB56_20
	s_branch .LBB56_21
.LBB56_19:
                                        ; implicit-def: $vgpr116_vgpr117
.LBB56_20:
	ds_read_b64 v[116:117], v118
.LBB56_21:
	s_and_saveexec_b64 s[12:13], s[6:7]
	s_cbranch_execz .LBB56_25
; %bb.22:
	v_subrev_u32_e32 v174, 54, v0
	s_movk_i32 s14, 0x380
	s_mov_b64 s[6:7], 0
.LBB56_23:                              ; =>This Inner Loop Header: Depth=1
	buffer_load_dword v176, v173, s[0:3], 0 offen
	buffer_load_dword v177, v173, s[0:3], 0 offen offset:4
	v_mov_b32_e32 v175, s14
	ds_read_b64 v[178:179], v175
	v_add_u32_e32 v174, -1, v174
	s_add_i32 s14, s14, 8
	v_cmp_eq_u32_e32 vcc, 0, v174
	v_add_u32_e32 v173, 8, v173
	s_or_b64 s[6:7], vcc, s[6:7]
	s_waitcnt vmcnt(0) lgkmcnt(0)
	v_fmac_f64_e32 v[116:117], v[176:177], v[178:179]
	s_andn2_b64 exec, exec, s[6:7]
	s_cbranch_execnz .LBB56_23
; %bb.24:
	s_or_b64 exec, exec, s[6:7]
.LBB56_25:
	s_or_b64 exec, exec, s[12:13]
	v_mov_b32_e32 v173, 0
	ds_read_b64 v[174:175], v173 offset:424
	s_waitcnt lgkmcnt(0)
	v_mul_f64 v[116:117], v[116:117], v[174:175]
	buffer_store_dword v117, off, s[0:3], 0 offset:428
	buffer_store_dword v116, off, s[0:3], 0 offset:424
.LBB56_26:
	s_or_b64 exec, exec, s[10:11]
	buffer_load_dword v116, off, s[0:3], 0 offset:416
	buffer_load_dword v117, off, s[0:3], 0 offset:420
	v_cmp_lt_u32_e64 s[6:7], 52, v0
	s_waitcnt vmcnt(0)
	ds_write_b64 v118, v[116:117]
	s_waitcnt lgkmcnt(0)
	; wave barrier
	s_waitcnt lgkmcnt(0)
	s_and_saveexec_b64 s[10:11], s[6:7]
	s_cbranch_execz .LBB56_36
; %bb.27:
	s_andn2_b64 vcc, exec, s[8:9]
	s_cbranch_vccnz .LBB56_29
; %bb.28:
	buffer_load_dword v116, v119, s[0:3], 0 offen
	buffer_load_dword v117, v119, s[0:3], 0 offen offset:4
	ds_read_b64 v[174:175], v118
	s_waitcnt vmcnt(0) lgkmcnt(0)
	v_mul_f64 v[116:117], v[116:117], v[174:175]
	s_cbranch_execz .LBB56_30
	s_branch .LBB56_31
.LBB56_29:
                                        ; implicit-def: $vgpr116_vgpr117
.LBB56_30:
	ds_read_b64 v[116:117], v118
.LBB56_31:
	s_and_saveexec_b64 s[12:13], s[4:5]
	s_cbranch_execz .LBB56_35
; %bb.32:
	v_subrev_u32_e32 v173, 53, v0
	s_movk_i32 s14, 0x378
	s_mov_b64 s[4:5], 0
.LBB56_33:                              ; =>This Inner Loop Header: Depth=1
	buffer_load_dword v174, v172, s[0:3], 0 offen
	buffer_load_dword v175, v172, s[0:3], 0 offen offset:4
	v_mov_b32_e32 v176, s14
	ds_read_b64 v[176:177], v176
	v_add_u32_e32 v173, -1, v173
	s_add_i32 s14, s14, 8
	v_cmp_eq_u32_e32 vcc, 0, v173
	v_add_u32_e32 v172, 8, v172
	s_or_b64 s[4:5], vcc, s[4:5]
	s_waitcnt vmcnt(0) lgkmcnt(0)
	v_fmac_f64_e32 v[116:117], v[174:175], v[176:177]
	s_andn2_b64 exec, exec, s[4:5]
	s_cbranch_execnz .LBB56_33
; %bb.34:
	s_or_b64 exec, exec, s[4:5]
.LBB56_35:
	s_or_b64 exec, exec, s[12:13]
	v_mov_b32_e32 v172, 0
	ds_read_b64 v[172:173], v172 offset:416
	s_waitcnt lgkmcnt(0)
	v_mul_f64 v[116:117], v[116:117], v[172:173]
	buffer_store_dword v117, off, s[0:3], 0 offset:420
	buffer_store_dword v116, off, s[0:3], 0 offset:416
.LBB56_36:
	;; [unrolled: 58-line block ×8, first 2 shown]
	s_or_b64 exec, exec, s[10:11]
	buffer_load_dword v116, off, s[0:3], 0 offset:360
	buffer_load_dword v117, off, s[0:3], 0 offset:364
	v_cmp_lt_u32_e64 s[4:5], 45, v0
	s_waitcnt vmcnt(0)
	ds_write_b64 v118, v[116:117]
	s_waitcnt lgkmcnt(0)
	; wave barrier
	s_waitcnt lgkmcnt(0)
	s_and_saveexec_b64 s[10:11], s[4:5]
	s_cbranch_execz .LBB56_106
; %bb.97:
	s_andn2_b64 vcc, exec, s[8:9]
	s_cbranch_vccnz .LBB56_99
; %bb.98:
	buffer_load_dword v116, v119, s[0:3], 0 offen
	buffer_load_dword v117, v119, s[0:3], 0 offen offset:4
	ds_read_b64 v[166:167], v118
	s_waitcnt vmcnt(0) lgkmcnt(0)
	v_mul_f64 v[116:117], v[116:117], v[166:167]
	s_cbranch_execz .LBB56_100
	s_branch .LBB56_101
.LBB56_99:
                                        ; implicit-def: $vgpr116_vgpr117
.LBB56_100:
	ds_read_b64 v[116:117], v118
.LBB56_101:
	s_and_saveexec_b64 s[12:13], s[6:7]
	s_cbranch_execz .LBB56_105
; %bb.102:
	v_subrev_u32_e32 v166, 46, v0
	s_movk_i32 s14, 0x340
	s_mov_b64 s[6:7], 0
.LBB56_103:                             ; =>This Inner Loop Header: Depth=1
	buffer_load_dword v168, v165, s[0:3], 0 offen
	buffer_load_dword v169, v165, s[0:3], 0 offen offset:4
	v_mov_b32_e32 v167, s14
	ds_read_b64 v[170:171], v167
	v_add_u32_e32 v166, -1, v166
	s_add_i32 s14, s14, 8
	v_cmp_eq_u32_e32 vcc, 0, v166
	v_add_u32_e32 v165, 8, v165
	s_or_b64 s[6:7], vcc, s[6:7]
	s_waitcnt vmcnt(0) lgkmcnt(0)
	v_fmac_f64_e32 v[116:117], v[168:169], v[170:171]
	s_andn2_b64 exec, exec, s[6:7]
	s_cbranch_execnz .LBB56_103
; %bb.104:
	s_or_b64 exec, exec, s[6:7]
.LBB56_105:
	s_or_b64 exec, exec, s[12:13]
	v_mov_b32_e32 v165, 0
	ds_read_b64 v[166:167], v165 offset:360
	s_waitcnt lgkmcnt(0)
	v_mul_f64 v[116:117], v[116:117], v[166:167]
	buffer_store_dword v117, off, s[0:3], 0 offset:364
	buffer_store_dword v116, off, s[0:3], 0 offset:360
.LBB56_106:
	s_or_b64 exec, exec, s[10:11]
	buffer_load_dword v116, off, s[0:3], 0 offset:352
	buffer_load_dword v117, off, s[0:3], 0 offset:356
	v_cmp_lt_u32_e64 s[6:7], 44, v0
	s_waitcnt vmcnt(0)
	ds_write_b64 v118, v[116:117]
	s_waitcnt lgkmcnt(0)
	; wave barrier
	s_waitcnt lgkmcnt(0)
	s_and_saveexec_b64 s[10:11], s[6:7]
	s_cbranch_execz .LBB56_116
; %bb.107:
	s_andn2_b64 vcc, exec, s[8:9]
	s_cbranch_vccnz .LBB56_109
; %bb.108:
	buffer_load_dword v116, v119, s[0:3], 0 offen
	buffer_load_dword v117, v119, s[0:3], 0 offen offset:4
	ds_read_b64 v[166:167], v118
	s_waitcnt vmcnt(0) lgkmcnt(0)
	v_mul_f64 v[116:117], v[116:117], v[166:167]
	s_cbranch_execz .LBB56_110
	s_branch .LBB56_111
.LBB56_109:
                                        ; implicit-def: $vgpr116_vgpr117
.LBB56_110:
	ds_read_b64 v[116:117], v118
.LBB56_111:
	s_and_saveexec_b64 s[12:13], s[4:5]
	s_cbranch_execz .LBB56_115
; %bb.112:
	v_subrev_u32_e32 v165, 45, v0
	s_movk_i32 s14, 0x338
	s_mov_b64 s[4:5], 0
.LBB56_113:                             ; =>This Inner Loop Header: Depth=1
	buffer_load_dword v166, v164, s[0:3], 0 offen
	buffer_load_dword v167, v164, s[0:3], 0 offen offset:4
	v_mov_b32_e32 v168, s14
	ds_read_b64 v[168:169], v168
	v_add_u32_e32 v165, -1, v165
	s_add_i32 s14, s14, 8
	v_cmp_eq_u32_e32 vcc, 0, v165
	v_add_u32_e32 v164, 8, v164
	s_or_b64 s[4:5], vcc, s[4:5]
	s_waitcnt vmcnt(0) lgkmcnt(0)
	v_fmac_f64_e32 v[116:117], v[166:167], v[168:169]
	s_andn2_b64 exec, exec, s[4:5]
	s_cbranch_execnz .LBB56_113
; %bb.114:
	s_or_b64 exec, exec, s[4:5]
.LBB56_115:
	s_or_b64 exec, exec, s[12:13]
	v_mov_b32_e32 v164, 0
	ds_read_b64 v[164:165], v164 offset:352
	s_waitcnt lgkmcnt(0)
	v_mul_f64 v[116:117], v[116:117], v[164:165]
	buffer_store_dword v117, off, s[0:3], 0 offset:356
	buffer_store_dword v116, off, s[0:3], 0 offset:352
.LBB56_116:
	;; [unrolled: 58-line block ×30, first 2 shown]
	s_or_b64 exec, exec, s[10:11]
	buffer_load_dword v116, off, s[0:3], 0 offset:120
	buffer_load_dword v117, off, s[0:3], 0 offset:124
	v_cmp_lt_u32_e64 s[4:5], 15, v0
	s_waitcnt vmcnt(0)
	ds_write_b64 v118, v[116:117]
	s_waitcnt lgkmcnt(0)
	; wave barrier
	s_waitcnt lgkmcnt(0)
	s_and_saveexec_b64 s[10:11], s[4:5]
	s_cbranch_execz .LBB56_406
; %bb.397:
	s_andn2_b64 vcc, exec, s[8:9]
	s_cbranch_vccnz .LBB56_399
; %bb.398:
	buffer_load_dword v116, v119, s[0:3], 0 offen
	buffer_load_dword v117, v119, s[0:3], 0 offen offset:4
	ds_read_b64 v[136:137], v118
	s_waitcnt vmcnt(0) lgkmcnt(0)
	v_mul_f64 v[116:117], v[116:117], v[136:137]
	s_cbranch_execz .LBB56_400
	s_branch .LBB56_401
.LBB56_399:
                                        ; implicit-def: $vgpr116_vgpr117
.LBB56_400:
	ds_read_b64 v[116:117], v118
.LBB56_401:
	s_and_saveexec_b64 s[12:13], s[6:7]
	s_cbranch_execz .LBB56_405
; %bb.402:
	v_add_u32_e32 v136, -16, v0
	s_movk_i32 s14, 0x250
	s_mov_b64 s[6:7], 0
.LBB56_403:                             ; =>This Inner Loop Header: Depth=1
	buffer_load_dword v138, v135, s[0:3], 0 offen
	buffer_load_dword v139, v135, s[0:3], 0 offen offset:4
	v_mov_b32_e32 v137, s14
	ds_read_b64 v[140:141], v137
	v_add_u32_e32 v136, -1, v136
	s_add_i32 s14, s14, 8
	v_cmp_eq_u32_e32 vcc, 0, v136
	v_add_u32_e32 v135, 8, v135
	s_or_b64 s[6:7], vcc, s[6:7]
	s_waitcnt vmcnt(0) lgkmcnt(0)
	v_fmac_f64_e32 v[116:117], v[138:139], v[140:141]
	s_andn2_b64 exec, exec, s[6:7]
	s_cbranch_execnz .LBB56_403
; %bb.404:
	s_or_b64 exec, exec, s[6:7]
.LBB56_405:
	s_or_b64 exec, exec, s[12:13]
	v_mov_b32_e32 v135, 0
	ds_read_b64 v[136:137], v135 offset:120
	s_waitcnt lgkmcnt(0)
	v_mul_f64 v[116:117], v[116:117], v[136:137]
	buffer_store_dword v117, off, s[0:3], 0 offset:124
	buffer_store_dword v116, off, s[0:3], 0 offset:120
.LBB56_406:
	s_or_b64 exec, exec, s[10:11]
	buffer_load_dword v116, off, s[0:3], 0 offset:112
	buffer_load_dword v117, off, s[0:3], 0 offset:116
	v_cmp_lt_u32_e64 s[6:7], 14, v0
	s_waitcnt vmcnt(0)
	ds_write_b64 v118, v[116:117]
	s_waitcnt lgkmcnt(0)
	; wave barrier
	s_waitcnt lgkmcnt(0)
	s_and_saveexec_b64 s[10:11], s[6:7]
	s_cbranch_execz .LBB56_416
; %bb.407:
	s_andn2_b64 vcc, exec, s[8:9]
	s_cbranch_vccnz .LBB56_409
; %bb.408:
	buffer_load_dword v116, v119, s[0:3], 0 offen
	buffer_load_dword v117, v119, s[0:3], 0 offen offset:4
	ds_read_b64 v[136:137], v118
	s_waitcnt vmcnt(0) lgkmcnt(0)
	v_mul_f64 v[116:117], v[116:117], v[136:137]
	s_cbranch_execz .LBB56_410
	s_branch .LBB56_411
.LBB56_409:
                                        ; implicit-def: $vgpr116_vgpr117
.LBB56_410:
	ds_read_b64 v[116:117], v118
.LBB56_411:
	s_and_saveexec_b64 s[12:13], s[4:5]
	s_cbranch_execz .LBB56_415
; %bb.412:
	v_add_u32_e32 v135, -15, v0
	s_movk_i32 s14, 0x248
	s_mov_b64 s[4:5], 0
.LBB56_413:                             ; =>This Inner Loop Header: Depth=1
	buffer_load_dword v136, v134, s[0:3], 0 offen
	buffer_load_dword v137, v134, s[0:3], 0 offen offset:4
	v_mov_b32_e32 v138, s14
	ds_read_b64 v[138:139], v138
	v_add_u32_e32 v135, -1, v135
	s_add_i32 s14, s14, 8
	v_cmp_eq_u32_e32 vcc, 0, v135
	v_add_u32_e32 v134, 8, v134
	s_or_b64 s[4:5], vcc, s[4:5]
	s_waitcnt vmcnt(0) lgkmcnt(0)
	v_fmac_f64_e32 v[116:117], v[136:137], v[138:139]
	s_andn2_b64 exec, exec, s[4:5]
	s_cbranch_execnz .LBB56_413
; %bb.414:
	s_or_b64 exec, exec, s[4:5]
.LBB56_415:
	s_or_b64 exec, exec, s[12:13]
	v_mov_b32_e32 v134, 0
	ds_read_b64 v[134:135], v134 offset:112
	s_waitcnt lgkmcnt(0)
	v_mul_f64 v[116:117], v[116:117], v[134:135]
	buffer_store_dword v117, off, s[0:3], 0 offset:116
	buffer_store_dword v116, off, s[0:3], 0 offset:112
.LBB56_416:
	s_or_b64 exec, exec, s[10:11]
	buffer_load_dword v116, off, s[0:3], 0 offset:104
	buffer_load_dword v117, off, s[0:3], 0 offset:108
	v_cmp_lt_u32_e64 s[4:5], 13, v0
	s_waitcnt vmcnt(0)
	ds_write_b64 v118, v[116:117]
	s_waitcnt lgkmcnt(0)
	; wave barrier
	s_waitcnt lgkmcnt(0)
	s_and_saveexec_b64 s[10:11], s[4:5]
	s_cbranch_execz .LBB56_426
; %bb.417:
	s_andn2_b64 vcc, exec, s[8:9]
	s_cbranch_vccnz .LBB56_419
; %bb.418:
	buffer_load_dword v116, v119, s[0:3], 0 offen
	buffer_load_dword v117, v119, s[0:3], 0 offen offset:4
	ds_read_b64 v[134:135], v118
	s_waitcnt vmcnt(0) lgkmcnt(0)
	v_mul_f64 v[116:117], v[116:117], v[134:135]
	s_cbranch_execz .LBB56_420
	s_branch .LBB56_421
.LBB56_419:
                                        ; implicit-def: $vgpr116_vgpr117
.LBB56_420:
	ds_read_b64 v[116:117], v118
.LBB56_421:
	s_and_saveexec_b64 s[12:13], s[6:7]
	s_cbranch_execz .LBB56_425
; %bb.422:
	v_add_u32_e32 v134, -14, v0
	s_movk_i32 s14, 0x240
	s_mov_b64 s[6:7], 0
.LBB56_423:                             ; =>This Inner Loop Header: Depth=1
	buffer_load_dword v136, v133, s[0:3], 0 offen
	buffer_load_dword v137, v133, s[0:3], 0 offen offset:4
	v_mov_b32_e32 v135, s14
	ds_read_b64 v[138:139], v135
	v_add_u32_e32 v134, -1, v134
	s_add_i32 s14, s14, 8
	v_cmp_eq_u32_e32 vcc, 0, v134
	v_add_u32_e32 v133, 8, v133
	s_or_b64 s[6:7], vcc, s[6:7]
	s_waitcnt vmcnt(0) lgkmcnt(0)
	v_fmac_f64_e32 v[116:117], v[136:137], v[138:139]
	s_andn2_b64 exec, exec, s[6:7]
	s_cbranch_execnz .LBB56_423
; %bb.424:
	s_or_b64 exec, exec, s[6:7]
.LBB56_425:
	s_or_b64 exec, exec, s[12:13]
	v_mov_b32_e32 v133, 0
	ds_read_b64 v[134:135], v133 offset:104
	s_waitcnt lgkmcnt(0)
	v_mul_f64 v[116:117], v[116:117], v[134:135]
	buffer_store_dword v117, off, s[0:3], 0 offset:108
	buffer_store_dword v116, off, s[0:3], 0 offset:104
.LBB56_426:
	s_or_b64 exec, exec, s[10:11]
	buffer_load_dword v116, off, s[0:3], 0 offset:96
	buffer_load_dword v117, off, s[0:3], 0 offset:100
	v_cmp_lt_u32_e64 s[6:7], 12, v0
	s_waitcnt vmcnt(0)
	ds_write_b64 v118, v[116:117]
	s_waitcnt lgkmcnt(0)
	; wave barrier
	s_waitcnt lgkmcnt(0)
	s_and_saveexec_b64 s[10:11], s[6:7]
	s_cbranch_execz .LBB56_436
; %bb.427:
	s_andn2_b64 vcc, exec, s[8:9]
	s_cbranch_vccnz .LBB56_429
; %bb.428:
	buffer_load_dword v116, v119, s[0:3], 0 offen
	buffer_load_dword v117, v119, s[0:3], 0 offen offset:4
	ds_read_b64 v[134:135], v118
	s_waitcnt vmcnt(0) lgkmcnt(0)
	v_mul_f64 v[116:117], v[116:117], v[134:135]
	s_cbranch_execz .LBB56_430
	s_branch .LBB56_431
.LBB56_429:
                                        ; implicit-def: $vgpr116_vgpr117
.LBB56_430:
	ds_read_b64 v[116:117], v118
.LBB56_431:
	s_and_saveexec_b64 s[12:13], s[4:5]
	s_cbranch_execz .LBB56_435
; %bb.432:
	v_add_u32_e32 v133, -13, v0
	s_movk_i32 s14, 0x238
	s_mov_b64 s[4:5], 0
.LBB56_433:                             ; =>This Inner Loop Header: Depth=1
	buffer_load_dword v134, v132, s[0:3], 0 offen
	buffer_load_dword v135, v132, s[0:3], 0 offen offset:4
	v_mov_b32_e32 v136, s14
	ds_read_b64 v[136:137], v136
	v_add_u32_e32 v133, -1, v133
	s_add_i32 s14, s14, 8
	v_cmp_eq_u32_e32 vcc, 0, v133
	v_add_u32_e32 v132, 8, v132
	s_or_b64 s[4:5], vcc, s[4:5]
	s_waitcnt vmcnt(0) lgkmcnt(0)
	v_fmac_f64_e32 v[116:117], v[134:135], v[136:137]
	s_andn2_b64 exec, exec, s[4:5]
	s_cbranch_execnz .LBB56_433
; %bb.434:
	s_or_b64 exec, exec, s[4:5]
.LBB56_435:
	s_or_b64 exec, exec, s[12:13]
	v_mov_b32_e32 v132, 0
	ds_read_b64 v[132:133], v132 offset:96
	s_waitcnt lgkmcnt(0)
	v_mul_f64 v[116:117], v[116:117], v[132:133]
	buffer_store_dword v117, off, s[0:3], 0 offset:100
	buffer_store_dword v116, off, s[0:3], 0 offset:96
.LBB56_436:
	s_or_b64 exec, exec, s[10:11]
	buffer_load_dword v116, off, s[0:3], 0 offset:88
	buffer_load_dword v117, off, s[0:3], 0 offset:92
	v_cmp_lt_u32_e64 s[4:5], 11, v0
	s_waitcnt vmcnt(0)
	ds_write_b64 v118, v[116:117]
	s_waitcnt lgkmcnt(0)
	; wave barrier
	s_waitcnt lgkmcnt(0)
	s_and_saveexec_b64 s[10:11], s[4:5]
	s_cbranch_execz .LBB56_446
; %bb.437:
	s_andn2_b64 vcc, exec, s[8:9]
	s_cbranch_vccnz .LBB56_439
; %bb.438:
	buffer_load_dword v116, v119, s[0:3], 0 offen
	buffer_load_dword v117, v119, s[0:3], 0 offen offset:4
	ds_read_b64 v[132:133], v118
	s_waitcnt vmcnt(0) lgkmcnt(0)
	v_mul_f64 v[116:117], v[116:117], v[132:133]
	s_cbranch_execz .LBB56_440
	s_branch .LBB56_441
.LBB56_439:
                                        ; implicit-def: $vgpr116_vgpr117
.LBB56_440:
	ds_read_b64 v[116:117], v118
.LBB56_441:
	s_and_saveexec_b64 s[12:13], s[6:7]
	s_cbranch_execz .LBB56_445
; %bb.442:
	v_add_u32_e32 v132, -12, v0
	s_movk_i32 s14, 0x230
	s_mov_b64 s[6:7], 0
.LBB56_443:                             ; =>This Inner Loop Header: Depth=1
	buffer_load_dword v134, v131, s[0:3], 0 offen
	buffer_load_dword v135, v131, s[0:3], 0 offen offset:4
	v_mov_b32_e32 v133, s14
	ds_read_b64 v[136:137], v133
	v_add_u32_e32 v132, -1, v132
	s_add_i32 s14, s14, 8
	v_cmp_eq_u32_e32 vcc, 0, v132
	v_add_u32_e32 v131, 8, v131
	s_or_b64 s[6:7], vcc, s[6:7]
	s_waitcnt vmcnt(0) lgkmcnt(0)
	v_fmac_f64_e32 v[116:117], v[134:135], v[136:137]
	s_andn2_b64 exec, exec, s[6:7]
	s_cbranch_execnz .LBB56_443
; %bb.444:
	s_or_b64 exec, exec, s[6:7]
.LBB56_445:
	s_or_b64 exec, exec, s[12:13]
	v_mov_b32_e32 v131, 0
	ds_read_b64 v[132:133], v131 offset:88
	s_waitcnt lgkmcnt(0)
	v_mul_f64 v[116:117], v[116:117], v[132:133]
	buffer_store_dword v117, off, s[0:3], 0 offset:92
	buffer_store_dword v116, off, s[0:3], 0 offset:88
.LBB56_446:
	s_or_b64 exec, exec, s[10:11]
	buffer_load_dword v116, off, s[0:3], 0 offset:80
	buffer_load_dword v117, off, s[0:3], 0 offset:84
	v_cmp_lt_u32_e64 s[6:7], 10, v0
	s_waitcnt vmcnt(0)
	ds_write_b64 v118, v[116:117]
	s_waitcnt lgkmcnt(0)
	; wave barrier
	s_waitcnt lgkmcnt(0)
	s_and_saveexec_b64 s[10:11], s[6:7]
	s_cbranch_execz .LBB56_456
; %bb.447:
	s_andn2_b64 vcc, exec, s[8:9]
	s_cbranch_vccnz .LBB56_449
; %bb.448:
	buffer_load_dword v116, v119, s[0:3], 0 offen
	buffer_load_dword v117, v119, s[0:3], 0 offen offset:4
	ds_read_b64 v[132:133], v118
	s_waitcnt vmcnt(0) lgkmcnt(0)
	v_mul_f64 v[116:117], v[116:117], v[132:133]
	s_cbranch_execz .LBB56_450
	s_branch .LBB56_451
.LBB56_449:
                                        ; implicit-def: $vgpr116_vgpr117
.LBB56_450:
	ds_read_b64 v[116:117], v118
.LBB56_451:
	s_and_saveexec_b64 s[12:13], s[4:5]
	s_cbranch_execz .LBB56_455
; %bb.452:
	v_add_u32_e32 v131, -11, v0
	s_movk_i32 s14, 0x228
	s_mov_b64 s[4:5], 0
.LBB56_453:                             ; =>This Inner Loop Header: Depth=1
	buffer_load_dword v132, v130, s[0:3], 0 offen
	buffer_load_dword v133, v130, s[0:3], 0 offen offset:4
	v_mov_b32_e32 v134, s14
	ds_read_b64 v[134:135], v134
	v_add_u32_e32 v131, -1, v131
	s_add_i32 s14, s14, 8
	v_cmp_eq_u32_e32 vcc, 0, v131
	v_add_u32_e32 v130, 8, v130
	s_or_b64 s[4:5], vcc, s[4:5]
	s_waitcnt vmcnt(0) lgkmcnt(0)
	v_fmac_f64_e32 v[116:117], v[132:133], v[134:135]
	s_andn2_b64 exec, exec, s[4:5]
	s_cbranch_execnz .LBB56_453
; %bb.454:
	s_or_b64 exec, exec, s[4:5]
.LBB56_455:
	s_or_b64 exec, exec, s[12:13]
	v_mov_b32_e32 v130, 0
	ds_read_b64 v[130:131], v130 offset:80
	s_waitcnt lgkmcnt(0)
	v_mul_f64 v[116:117], v[116:117], v[130:131]
	buffer_store_dword v117, off, s[0:3], 0 offset:84
	buffer_store_dword v116, off, s[0:3], 0 offset:80
.LBB56_456:
	s_or_b64 exec, exec, s[10:11]
	buffer_load_dword v116, off, s[0:3], 0 offset:72
	buffer_load_dword v117, off, s[0:3], 0 offset:76
	v_cmp_lt_u32_e64 s[4:5], 9, v0
	s_waitcnt vmcnt(0)
	ds_write_b64 v118, v[116:117]
	s_waitcnt lgkmcnt(0)
	; wave barrier
	s_waitcnt lgkmcnt(0)
	s_and_saveexec_b64 s[10:11], s[4:5]
	s_cbranch_execz .LBB56_466
; %bb.457:
	s_andn2_b64 vcc, exec, s[8:9]
	s_cbranch_vccnz .LBB56_459
; %bb.458:
	buffer_load_dword v116, v119, s[0:3], 0 offen
	buffer_load_dword v117, v119, s[0:3], 0 offen offset:4
	ds_read_b64 v[130:131], v118
	s_waitcnt vmcnt(0) lgkmcnt(0)
	v_mul_f64 v[116:117], v[116:117], v[130:131]
	s_cbranch_execz .LBB56_460
	s_branch .LBB56_461
.LBB56_459:
                                        ; implicit-def: $vgpr116_vgpr117
.LBB56_460:
	ds_read_b64 v[116:117], v118
.LBB56_461:
	s_and_saveexec_b64 s[12:13], s[6:7]
	s_cbranch_execz .LBB56_465
; %bb.462:
	v_add_u32_e32 v130, -10, v0
	s_movk_i32 s14, 0x220
	s_mov_b64 s[6:7], 0
.LBB56_463:                             ; =>This Inner Loop Header: Depth=1
	buffer_load_dword v132, v129, s[0:3], 0 offen
	buffer_load_dword v133, v129, s[0:3], 0 offen offset:4
	v_mov_b32_e32 v131, s14
	ds_read_b64 v[134:135], v131
	v_add_u32_e32 v130, -1, v130
	s_add_i32 s14, s14, 8
	v_cmp_eq_u32_e32 vcc, 0, v130
	v_add_u32_e32 v129, 8, v129
	s_or_b64 s[6:7], vcc, s[6:7]
	s_waitcnt vmcnt(0) lgkmcnt(0)
	v_fmac_f64_e32 v[116:117], v[132:133], v[134:135]
	s_andn2_b64 exec, exec, s[6:7]
	s_cbranch_execnz .LBB56_463
; %bb.464:
	s_or_b64 exec, exec, s[6:7]
.LBB56_465:
	s_or_b64 exec, exec, s[12:13]
	v_mov_b32_e32 v129, 0
	ds_read_b64 v[130:131], v129 offset:72
	s_waitcnt lgkmcnt(0)
	v_mul_f64 v[116:117], v[116:117], v[130:131]
	buffer_store_dword v117, off, s[0:3], 0 offset:76
	buffer_store_dword v116, off, s[0:3], 0 offset:72
.LBB56_466:
	s_or_b64 exec, exec, s[10:11]
	buffer_load_dword v116, off, s[0:3], 0 offset:64
	buffer_load_dword v117, off, s[0:3], 0 offset:68
	v_cmp_lt_u32_e64 s[6:7], 8, v0
	s_waitcnt vmcnt(0)
	ds_write_b64 v118, v[116:117]
	s_waitcnt lgkmcnt(0)
	; wave barrier
	s_waitcnt lgkmcnt(0)
	s_and_saveexec_b64 s[10:11], s[6:7]
	s_cbranch_execz .LBB56_476
; %bb.467:
	s_andn2_b64 vcc, exec, s[8:9]
	s_cbranch_vccnz .LBB56_469
; %bb.468:
	buffer_load_dword v116, v119, s[0:3], 0 offen
	buffer_load_dword v117, v119, s[0:3], 0 offen offset:4
	ds_read_b64 v[130:131], v118
	s_waitcnt vmcnt(0) lgkmcnt(0)
	v_mul_f64 v[116:117], v[116:117], v[130:131]
	s_cbranch_execz .LBB56_470
	s_branch .LBB56_471
.LBB56_469:
                                        ; implicit-def: $vgpr116_vgpr117
.LBB56_470:
	ds_read_b64 v[116:117], v118
.LBB56_471:
	s_and_saveexec_b64 s[12:13], s[4:5]
	s_cbranch_execz .LBB56_475
; %bb.472:
	v_add_u32_e32 v129, -9, v0
	s_movk_i32 s14, 0x218
	s_mov_b64 s[4:5], 0
.LBB56_473:                             ; =>This Inner Loop Header: Depth=1
	buffer_load_dword v130, v128, s[0:3], 0 offen
	buffer_load_dword v131, v128, s[0:3], 0 offen offset:4
	v_mov_b32_e32 v132, s14
	ds_read_b64 v[132:133], v132
	v_add_u32_e32 v129, -1, v129
	s_add_i32 s14, s14, 8
	v_cmp_eq_u32_e32 vcc, 0, v129
	v_add_u32_e32 v128, 8, v128
	s_or_b64 s[4:5], vcc, s[4:5]
	s_waitcnt vmcnt(0) lgkmcnt(0)
	v_fmac_f64_e32 v[116:117], v[130:131], v[132:133]
	s_andn2_b64 exec, exec, s[4:5]
	s_cbranch_execnz .LBB56_473
; %bb.474:
	s_or_b64 exec, exec, s[4:5]
.LBB56_475:
	s_or_b64 exec, exec, s[12:13]
	v_mov_b32_e32 v128, 0
	ds_read_b64 v[128:129], v128 offset:64
	s_waitcnt lgkmcnt(0)
	v_mul_f64 v[116:117], v[116:117], v[128:129]
	buffer_store_dword v117, off, s[0:3], 0 offset:68
	buffer_store_dword v116, off, s[0:3], 0 offset:64
.LBB56_476:
	s_or_b64 exec, exec, s[10:11]
	buffer_load_dword v116, off, s[0:3], 0 offset:56
	buffer_load_dword v117, off, s[0:3], 0 offset:60
	v_cmp_lt_u32_e64 s[4:5], 7, v0
	s_waitcnt vmcnt(0)
	ds_write_b64 v118, v[116:117]
	s_waitcnt lgkmcnt(0)
	; wave barrier
	s_waitcnt lgkmcnt(0)
	s_and_saveexec_b64 s[10:11], s[4:5]
	s_cbranch_execz .LBB56_486
; %bb.477:
	s_andn2_b64 vcc, exec, s[8:9]
	s_cbranch_vccnz .LBB56_479
; %bb.478:
	buffer_load_dword v116, v119, s[0:3], 0 offen
	buffer_load_dword v117, v119, s[0:3], 0 offen offset:4
	ds_read_b64 v[128:129], v118
	s_waitcnt vmcnt(0) lgkmcnt(0)
	v_mul_f64 v[116:117], v[116:117], v[128:129]
	s_cbranch_execz .LBB56_480
	s_branch .LBB56_481
.LBB56_479:
                                        ; implicit-def: $vgpr116_vgpr117
.LBB56_480:
	ds_read_b64 v[116:117], v118
.LBB56_481:
	s_and_saveexec_b64 s[12:13], s[6:7]
	s_cbranch_execz .LBB56_485
; %bb.482:
	v_add_u32_e32 v128, -8, v0
	s_movk_i32 s14, 0x210
	s_mov_b64 s[6:7], 0
.LBB56_483:                             ; =>This Inner Loop Header: Depth=1
	buffer_load_dword v130, v127, s[0:3], 0 offen
	buffer_load_dword v131, v127, s[0:3], 0 offen offset:4
	v_mov_b32_e32 v129, s14
	ds_read_b64 v[132:133], v129
	v_add_u32_e32 v128, -1, v128
	s_add_i32 s14, s14, 8
	v_cmp_eq_u32_e32 vcc, 0, v128
	v_add_u32_e32 v127, 8, v127
	s_or_b64 s[6:7], vcc, s[6:7]
	s_waitcnt vmcnt(0) lgkmcnt(0)
	v_fmac_f64_e32 v[116:117], v[130:131], v[132:133]
	s_andn2_b64 exec, exec, s[6:7]
	s_cbranch_execnz .LBB56_483
; %bb.484:
	s_or_b64 exec, exec, s[6:7]
.LBB56_485:
	s_or_b64 exec, exec, s[12:13]
	v_mov_b32_e32 v127, 0
	ds_read_b64 v[128:129], v127 offset:56
	s_waitcnt lgkmcnt(0)
	v_mul_f64 v[116:117], v[116:117], v[128:129]
	buffer_store_dword v117, off, s[0:3], 0 offset:60
	buffer_store_dword v116, off, s[0:3], 0 offset:56
.LBB56_486:
	s_or_b64 exec, exec, s[10:11]
	buffer_load_dword v116, off, s[0:3], 0 offset:48
	buffer_load_dword v117, off, s[0:3], 0 offset:52
	v_cmp_lt_u32_e64 s[6:7], 6, v0
	s_waitcnt vmcnt(0)
	ds_write_b64 v118, v[116:117]
	s_waitcnt lgkmcnt(0)
	; wave barrier
	s_waitcnt lgkmcnt(0)
	s_and_saveexec_b64 s[10:11], s[6:7]
	s_cbranch_execz .LBB56_496
; %bb.487:
	s_andn2_b64 vcc, exec, s[8:9]
	s_cbranch_vccnz .LBB56_489
; %bb.488:
	buffer_load_dword v116, v119, s[0:3], 0 offen
	buffer_load_dword v117, v119, s[0:3], 0 offen offset:4
	ds_read_b64 v[128:129], v118
	s_waitcnt vmcnt(0) lgkmcnt(0)
	v_mul_f64 v[116:117], v[116:117], v[128:129]
	s_cbranch_execz .LBB56_490
	s_branch .LBB56_491
.LBB56_489:
                                        ; implicit-def: $vgpr116_vgpr117
.LBB56_490:
	ds_read_b64 v[116:117], v118
.LBB56_491:
	s_and_saveexec_b64 s[12:13], s[4:5]
	s_cbranch_execz .LBB56_495
; %bb.492:
	v_add_u32_e32 v127, -7, v0
	s_movk_i32 s14, 0x208
	s_mov_b64 s[4:5], 0
.LBB56_493:                             ; =>This Inner Loop Header: Depth=1
	buffer_load_dword v128, v126, s[0:3], 0 offen
	buffer_load_dword v129, v126, s[0:3], 0 offen offset:4
	v_mov_b32_e32 v130, s14
	ds_read_b64 v[130:131], v130
	v_add_u32_e32 v127, -1, v127
	s_add_i32 s14, s14, 8
	v_cmp_eq_u32_e32 vcc, 0, v127
	v_add_u32_e32 v126, 8, v126
	s_or_b64 s[4:5], vcc, s[4:5]
	s_waitcnt vmcnt(0) lgkmcnt(0)
	v_fmac_f64_e32 v[116:117], v[128:129], v[130:131]
	s_andn2_b64 exec, exec, s[4:5]
	s_cbranch_execnz .LBB56_493
; %bb.494:
	s_or_b64 exec, exec, s[4:5]
.LBB56_495:
	s_or_b64 exec, exec, s[12:13]
	v_mov_b32_e32 v126, 0
	ds_read_b64 v[126:127], v126 offset:48
	s_waitcnt lgkmcnt(0)
	v_mul_f64 v[116:117], v[116:117], v[126:127]
	buffer_store_dword v117, off, s[0:3], 0 offset:52
	buffer_store_dword v116, off, s[0:3], 0 offset:48
.LBB56_496:
	s_or_b64 exec, exec, s[10:11]
	buffer_load_dword v116, off, s[0:3], 0 offset:40
	buffer_load_dword v117, off, s[0:3], 0 offset:44
	v_cmp_lt_u32_e64 s[4:5], 5, v0
	s_waitcnt vmcnt(0)
	ds_write_b64 v118, v[116:117]
	s_waitcnt lgkmcnt(0)
	; wave barrier
	s_waitcnt lgkmcnt(0)
	s_and_saveexec_b64 s[10:11], s[4:5]
	s_cbranch_execz .LBB56_506
; %bb.497:
	s_andn2_b64 vcc, exec, s[8:9]
	s_cbranch_vccnz .LBB56_499
; %bb.498:
	buffer_load_dword v116, v119, s[0:3], 0 offen
	buffer_load_dword v117, v119, s[0:3], 0 offen offset:4
	ds_read_b64 v[126:127], v118
	s_waitcnt vmcnt(0) lgkmcnt(0)
	v_mul_f64 v[116:117], v[116:117], v[126:127]
	s_cbranch_execz .LBB56_500
	s_branch .LBB56_501
.LBB56_499:
                                        ; implicit-def: $vgpr116_vgpr117
.LBB56_500:
	ds_read_b64 v[116:117], v118
.LBB56_501:
	s_and_saveexec_b64 s[12:13], s[6:7]
	s_cbranch_execz .LBB56_505
; %bb.502:
	v_add_u32_e32 v126, -6, v0
	s_movk_i32 s14, 0x200
	s_mov_b64 s[6:7], 0
.LBB56_503:                             ; =>This Inner Loop Header: Depth=1
	buffer_load_dword v128, v125, s[0:3], 0 offen
	buffer_load_dword v129, v125, s[0:3], 0 offen offset:4
	v_mov_b32_e32 v127, s14
	ds_read_b64 v[130:131], v127
	v_add_u32_e32 v126, -1, v126
	s_add_i32 s14, s14, 8
	v_cmp_eq_u32_e32 vcc, 0, v126
	v_add_u32_e32 v125, 8, v125
	s_or_b64 s[6:7], vcc, s[6:7]
	s_waitcnt vmcnt(0) lgkmcnt(0)
	v_fmac_f64_e32 v[116:117], v[128:129], v[130:131]
	s_andn2_b64 exec, exec, s[6:7]
	s_cbranch_execnz .LBB56_503
; %bb.504:
	s_or_b64 exec, exec, s[6:7]
.LBB56_505:
	s_or_b64 exec, exec, s[12:13]
	v_mov_b32_e32 v125, 0
	ds_read_b64 v[126:127], v125 offset:40
	s_waitcnt lgkmcnt(0)
	v_mul_f64 v[116:117], v[116:117], v[126:127]
	buffer_store_dword v117, off, s[0:3], 0 offset:44
	buffer_store_dword v116, off, s[0:3], 0 offset:40
.LBB56_506:
	s_or_b64 exec, exec, s[10:11]
	buffer_load_dword v116, off, s[0:3], 0 offset:32
	buffer_load_dword v117, off, s[0:3], 0 offset:36
	v_cmp_lt_u32_e64 s[6:7], 4, v0
	s_waitcnt vmcnt(0)
	ds_write_b64 v118, v[116:117]
	s_waitcnt lgkmcnt(0)
	; wave barrier
	s_waitcnt lgkmcnt(0)
	s_and_saveexec_b64 s[10:11], s[6:7]
	s_cbranch_execz .LBB56_516
; %bb.507:
	s_andn2_b64 vcc, exec, s[8:9]
	s_cbranch_vccnz .LBB56_509
; %bb.508:
	buffer_load_dword v116, v119, s[0:3], 0 offen
	buffer_load_dword v117, v119, s[0:3], 0 offen offset:4
	ds_read_b64 v[126:127], v118
	s_waitcnt vmcnt(0) lgkmcnt(0)
	v_mul_f64 v[116:117], v[116:117], v[126:127]
	s_cbranch_execz .LBB56_510
	s_branch .LBB56_511
.LBB56_509:
                                        ; implicit-def: $vgpr116_vgpr117
.LBB56_510:
	ds_read_b64 v[116:117], v118
.LBB56_511:
	s_and_saveexec_b64 s[12:13], s[4:5]
	s_cbranch_execz .LBB56_515
; %bb.512:
	v_add_u32_e32 v125, -5, v0
	s_movk_i32 s14, 0x1f8
	s_mov_b64 s[4:5], 0
.LBB56_513:                             ; =>This Inner Loop Header: Depth=1
	buffer_load_dword v126, v124, s[0:3], 0 offen
	buffer_load_dword v127, v124, s[0:3], 0 offen offset:4
	v_mov_b32_e32 v128, s14
	ds_read_b64 v[128:129], v128
	v_add_u32_e32 v125, -1, v125
	s_add_i32 s14, s14, 8
	v_cmp_eq_u32_e32 vcc, 0, v125
	v_add_u32_e32 v124, 8, v124
	s_or_b64 s[4:5], vcc, s[4:5]
	s_waitcnt vmcnt(0) lgkmcnt(0)
	v_fmac_f64_e32 v[116:117], v[126:127], v[128:129]
	s_andn2_b64 exec, exec, s[4:5]
	s_cbranch_execnz .LBB56_513
; %bb.514:
	s_or_b64 exec, exec, s[4:5]
.LBB56_515:
	s_or_b64 exec, exec, s[12:13]
	v_mov_b32_e32 v124, 0
	ds_read_b64 v[124:125], v124 offset:32
	s_waitcnt lgkmcnt(0)
	v_mul_f64 v[116:117], v[116:117], v[124:125]
	buffer_store_dword v117, off, s[0:3], 0 offset:36
	buffer_store_dword v116, off, s[0:3], 0 offset:32
.LBB56_516:
	s_or_b64 exec, exec, s[10:11]
	buffer_load_dword v116, off, s[0:3], 0 offset:24
	buffer_load_dword v117, off, s[0:3], 0 offset:28
	v_cmp_lt_u32_e64 s[4:5], 3, v0
	s_waitcnt vmcnt(0)
	ds_write_b64 v118, v[116:117]
	s_waitcnt lgkmcnt(0)
	; wave barrier
	s_waitcnt lgkmcnt(0)
	s_and_saveexec_b64 s[10:11], s[4:5]
	s_cbranch_execz .LBB56_526
; %bb.517:
	s_andn2_b64 vcc, exec, s[8:9]
	s_cbranch_vccnz .LBB56_519
; %bb.518:
	buffer_load_dword v116, v119, s[0:3], 0 offen
	buffer_load_dword v117, v119, s[0:3], 0 offen offset:4
	ds_read_b64 v[124:125], v118
	s_waitcnt vmcnt(0) lgkmcnt(0)
	v_mul_f64 v[116:117], v[116:117], v[124:125]
	s_cbranch_execz .LBB56_520
	s_branch .LBB56_521
.LBB56_519:
                                        ; implicit-def: $vgpr116_vgpr117
.LBB56_520:
	ds_read_b64 v[116:117], v118
.LBB56_521:
	s_and_saveexec_b64 s[12:13], s[6:7]
	s_cbranch_execz .LBB56_525
; %bb.522:
	v_add_u32_e32 v124, -4, v0
	s_movk_i32 s14, 0x1f0
	s_mov_b64 s[6:7], 0
.LBB56_523:                             ; =>This Inner Loop Header: Depth=1
	buffer_load_dword v126, v123, s[0:3], 0 offen
	buffer_load_dword v127, v123, s[0:3], 0 offen offset:4
	v_mov_b32_e32 v125, s14
	ds_read_b64 v[128:129], v125
	v_add_u32_e32 v124, -1, v124
	s_add_i32 s14, s14, 8
	v_cmp_eq_u32_e32 vcc, 0, v124
	v_add_u32_e32 v123, 8, v123
	s_or_b64 s[6:7], vcc, s[6:7]
	s_waitcnt vmcnt(0) lgkmcnt(0)
	v_fmac_f64_e32 v[116:117], v[126:127], v[128:129]
	s_andn2_b64 exec, exec, s[6:7]
	s_cbranch_execnz .LBB56_523
; %bb.524:
	s_or_b64 exec, exec, s[6:7]
.LBB56_525:
	s_or_b64 exec, exec, s[12:13]
	v_mov_b32_e32 v123, 0
	ds_read_b64 v[124:125], v123 offset:24
	s_waitcnt lgkmcnt(0)
	v_mul_f64 v[116:117], v[116:117], v[124:125]
	buffer_store_dword v117, off, s[0:3], 0 offset:28
	buffer_store_dword v116, off, s[0:3], 0 offset:24
.LBB56_526:
	s_or_b64 exec, exec, s[10:11]
	buffer_load_dword v116, off, s[0:3], 0 offset:16
	buffer_load_dword v117, off, s[0:3], 0 offset:20
	v_cmp_lt_u32_e64 s[6:7], 2, v0
	s_waitcnt vmcnt(0)
	ds_write_b64 v118, v[116:117]
	s_waitcnt lgkmcnt(0)
	; wave barrier
	s_waitcnt lgkmcnt(0)
	s_and_saveexec_b64 s[10:11], s[6:7]
	s_cbranch_execz .LBB56_536
; %bb.527:
	s_andn2_b64 vcc, exec, s[8:9]
	s_cbranch_vccnz .LBB56_529
; %bb.528:
	buffer_load_dword v116, v119, s[0:3], 0 offen
	buffer_load_dword v117, v119, s[0:3], 0 offen offset:4
	ds_read_b64 v[124:125], v118
	s_waitcnt vmcnt(0) lgkmcnt(0)
	v_mul_f64 v[116:117], v[116:117], v[124:125]
	s_cbranch_execz .LBB56_530
	s_branch .LBB56_531
.LBB56_529:
                                        ; implicit-def: $vgpr116_vgpr117
.LBB56_530:
	ds_read_b64 v[116:117], v118
.LBB56_531:
	s_and_saveexec_b64 s[12:13], s[4:5]
	s_cbranch_execz .LBB56_535
; %bb.532:
	v_add_u32_e32 v123, -3, v0
	s_movk_i32 s14, 0x1e8
	s_mov_b64 s[4:5], 0
.LBB56_533:                             ; =>This Inner Loop Header: Depth=1
	buffer_load_dword v124, v122, s[0:3], 0 offen
	buffer_load_dword v125, v122, s[0:3], 0 offen offset:4
	v_mov_b32_e32 v126, s14
	ds_read_b64 v[126:127], v126
	v_add_u32_e32 v123, -1, v123
	s_add_i32 s14, s14, 8
	v_cmp_eq_u32_e32 vcc, 0, v123
	v_add_u32_e32 v122, 8, v122
	s_or_b64 s[4:5], vcc, s[4:5]
	s_waitcnt vmcnt(0) lgkmcnt(0)
	v_fmac_f64_e32 v[116:117], v[124:125], v[126:127]
	s_andn2_b64 exec, exec, s[4:5]
	s_cbranch_execnz .LBB56_533
; %bb.534:
	s_or_b64 exec, exec, s[4:5]
.LBB56_535:
	s_or_b64 exec, exec, s[12:13]
	v_mov_b32_e32 v122, 0
	ds_read_b64 v[122:123], v122 offset:16
	s_waitcnt lgkmcnt(0)
	v_mul_f64 v[116:117], v[116:117], v[122:123]
	buffer_store_dword v117, off, s[0:3], 0 offset:20
	buffer_store_dword v116, off, s[0:3], 0 offset:16
.LBB56_536:
	s_or_b64 exec, exec, s[10:11]
	buffer_load_dword v116, off, s[0:3], 0 offset:8
	buffer_load_dword v117, off, s[0:3], 0 offset:12
	v_cmp_lt_u32_e64 s[4:5], 1, v0
	s_waitcnt vmcnt(0)
	ds_write_b64 v118, v[116:117]
	s_waitcnt lgkmcnt(0)
	; wave barrier
	s_waitcnt lgkmcnt(0)
	s_and_saveexec_b64 s[10:11], s[4:5]
	s_cbranch_execz .LBB56_546
; %bb.537:
	s_andn2_b64 vcc, exec, s[8:9]
	s_cbranch_vccnz .LBB56_539
; %bb.538:
	buffer_load_dword v116, v119, s[0:3], 0 offen
	buffer_load_dword v117, v119, s[0:3], 0 offen offset:4
	ds_read_b64 v[122:123], v118
	s_waitcnt vmcnt(0) lgkmcnt(0)
	v_mul_f64 v[116:117], v[116:117], v[122:123]
	s_cbranch_execz .LBB56_540
	s_branch .LBB56_541
.LBB56_539:
                                        ; implicit-def: $vgpr116_vgpr117
.LBB56_540:
	ds_read_b64 v[116:117], v118
.LBB56_541:
	s_and_saveexec_b64 s[12:13], s[6:7]
	s_cbranch_execz .LBB56_545
; %bb.542:
	v_add_u32_e32 v122, -2, v0
	s_movk_i32 s14, 0x1e0
	s_mov_b64 s[6:7], 0
.LBB56_543:                             ; =>This Inner Loop Header: Depth=1
	buffer_load_dword v124, v121, s[0:3], 0 offen
	buffer_load_dword v125, v121, s[0:3], 0 offen offset:4
	v_mov_b32_e32 v123, s14
	ds_read_b64 v[126:127], v123
	v_add_u32_e32 v122, -1, v122
	s_add_i32 s14, s14, 8
	v_cmp_eq_u32_e32 vcc, 0, v122
	v_add_u32_e32 v121, 8, v121
	s_or_b64 s[6:7], vcc, s[6:7]
	s_waitcnt vmcnt(0) lgkmcnt(0)
	v_fmac_f64_e32 v[116:117], v[124:125], v[126:127]
	s_andn2_b64 exec, exec, s[6:7]
	s_cbranch_execnz .LBB56_543
; %bb.544:
	s_or_b64 exec, exec, s[6:7]
.LBB56_545:
	s_or_b64 exec, exec, s[12:13]
	v_mov_b32_e32 v121, 0
	ds_read_b64 v[122:123], v121 offset:8
	s_waitcnt lgkmcnt(0)
	v_mul_f64 v[116:117], v[116:117], v[122:123]
	buffer_store_dword v117, off, s[0:3], 0 offset:12
	buffer_store_dword v116, off, s[0:3], 0 offset:8
.LBB56_546:
	s_or_b64 exec, exec, s[10:11]
	buffer_load_dword v116, off, s[0:3], 0
	buffer_load_dword v117, off, s[0:3], 0 offset:4
	v_cmp_ne_u32_e32 vcc, 0, v0
	s_waitcnt vmcnt(0)
	ds_write_b64 v118, v[116:117]
	s_waitcnt lgkmcnt(0)
	; wave barrier
	s_waitcnt lgkmcnt(0)
	s_and_saveexec_b64 s[6:7], vcc
	s_cbranch_execz .LBB56_556
; %bb.547:
	s_andn2_b64 vcc, exec, s[8:9]
	s_cbranch_vccnz .LBB56_549
; %bb.548:
	buffer_load_dword v116, v119, s[0:3], 0 offen
	buffer_load_dword v117, v119, s[0:3], 0 offen offset:4
	ds_read_b64 v[122:123], v118
	s_waitcnt vmcnt(0) lgkmcnt(0)
	v_mul_f64 v[116:117], v[116:117], v[122:123]
	s_cbranch_execz .LBB56_550
	s_branch .LBB56_551
.LBB56_549:
                                        ; implicit-def: $vgpr116_vgpr117
.LBB56_550:
	ds_read_b64 v[116:117], v118
.LBB56_551:
	s_and_saveexec_b64 s[10:11], s[4:5]
	s_cbranch_execz .LBB56_555
; %bb.552:
	v_add_u32_e32 v121, -1, v0
	s_movk_i32 s12, 0x1d8
	s_mov_b64 s[4:5], 0
.LBB56_553:                             ; =>This Inner Loop Header: Depth=1
	buffer_load_dword v122, v120, s[0:3], 0 offen
	buffer_load_dword v123, v120, s[0:3], 0 offen offset:4
	v_mov_b32_e32 v124, s12
	ds_read_b64 v[124:125], v124
	v_add_u32_e32 v121, -1, v121
	s_add_i32 s12, s12, 8
	v_cmp_eq_u32_e32 vcc, 0, v121
	v_add_u32_e32 v120, 8, v120
	s_or_b64 s[4:5], vcc, s[4:5]
	s_waitcnt vmcnt(0) lgkmcnt(0)
	v_fmac_f64_e32 v[116:117], v[122:123], v[124:125]
	s_andn2_b64 exec, exec, s[4:5]
	s_cbranch_execnz .LBB56_553
; %bb.554:
	s_or_b64 exec, exec, s[4:5]
.LBB56_555:
	s_or_b64 exec, exec, s[10:11]
	v_mov_b32_e32 v120, 0
	ds_read_b64 v[120:121], v120
	s_waitcnt lgkmcnt(0)
	v_mul_f64 v[116:117], v[116:117], v[120:121]
	buffer_store_dword v117, off, s[0:3], 0 offset:4
	buffer_store_dword v116, off, s[0:3], 0
.LBB56_556:
	s_or_b64 exec, exec, s[6:7]
	s_mov_b64 s[4:5], 0
.LBB56_557:
	s_and_b64 vcc, exec, s[4:5]
	s_cbranch_vccz .LBB56_1111
; %bb.558:
	buffer_load_dword v116, off, s[0:3], 0 offset:8
	buffer_load_dword v117, off, s[0:3], 0 offset:12
	v_cmp_eq_u32_e64 s[6:7], 0, v0
	s_waitcnt vmcnt(0)
	ds_write_b64 v118, v[116:117]
	s_waitcnt lgkmcnt(0)
	; wave barrier
	s_waitcnt lgkmcnt(0)
	s_and_saveexec_b64 s[4:5], s[6:7]
	s_cbranch_execz .LBB56_564
; %bb.559:
	s_and_b64 vcc, exec, s[8:9]
	s_cbranch_vccz .LBB56_561
; %bb.560:
	buffer_load_dword v116, v119, s[0:3], 0 offen
	buffer_load_dword v117, v119, s[0:3], 0 offen offset:4
	ds_read_b64 v[120:121], v118
	s_waitcnt vmcnt(0) lgkmcnt(0)
	v_mul_f64 v[116:117], v[116:117], v[120:121]
	s_cbranch_execz .LBB56_562
	s_branch .LBB56_563
.LBB56_561:
                                        ; implicit-def: $vgpr116_vgpr117
.LBB56_562:
	ds_read_b64 v[116:117], v118
.LBB56_563:
	v_mov_b32_e32 v120, 0
	ds_read_b64 v[120:121], v120 offset:8
	s_waitcnt lgkmcnt(0)
	v_mul_f64 v[116:117], v[116:117], v[120:121]
	buffer_store_dword v117, off, s[0:3], 0 offset:12
	buffer_store_dword v116, off, s[0:3], 0 offset:8
.LBB56_564:
	s_or_b64 exec, exec, s[4:5]
	buffer_load_dword v116, off, s[0:3], 0 offset:16
	buffer_load_dword v117, off, s[0:3], 0 offset:20
	v_cndmask_b32_e64 v120, 0, 1, s[8:9]
	v_cmp_gt_u32_e32 vcc, 2, v0
	v_cmp_ne_u32_e64 s[4:5], 1, v120
	s_waitcnt vmcnt(0)
	ds_write_b64 v118, v[116:117]
	s_waitcnt lgkmcnt(0)
	; wave barrier
	s_waitcnt lgkmcnt(0)
	s_and_saveexec_b64 s[8:9], vcc
	s_cbranch_execz .LBB56_572
; %bb.565:
	s_and_b64 vcc, exec, s[4:5]
	s_cbranch_vccnz .LBB56_567
; %bb.566:
	buffer_load_dword v116, v119, s[0:3], 0 offen
	buffer_load_dword v117, v119, s[0:3], 0 offen offset:4
	ds_read_b64 v[120:121], v118
	s_waitcnt vmcnt(0) lgkmcnt(0)
	v_mul_f64 v[116:117], v[116:117], v[120:121]
	s_cbranch_execz .LBB56_568
	s_branch .LBB56_569
.LBB56_567:
                                        ; implicit-def: $vgpr116_vgpr117
.LBB56_568:
	ds_read_b64 v[116:117], v118
.LBB56_569:
	s_and_saveexec_b64 s[10:11], s[6:7]
	s_cbranch_execz .LBB56_571
; %bb.570:
	buffer_load_dword v120, v119, s[0:3], 0 offen offset:8
	buffer_load_dword v121, v119, s[0:3], 0 offen offset:12
	ds_read_b64 v[122:123], v118 offset:8
	s_waitcnt vmcnt(0) lgkmcnt(0)
	v_fmac_f64_e32 v[116:117], v[120:121], v[122:123]
.LBB56_571:
	s_or_b64 exec, exec, s[10:11]
	v_mov_b32_e32 v120, 0
	ds_read_b64 v[120:121], v120 offset:16
	s_waitcnt lgkmcnt(0)
	v_mul_f64 v[116:117], v[116:117], v[120:121]
	buffer_store_dword v117, off, s[0:3], 0 offset:20
	buffer_store_dword v116, off, s[0:3], 0 offset:16
.LBB56_572:
	s_or_b64 exec, exec, s[8:9]
	buffer_load_dword v116, off, s[0:3], 0 offset:24
	buffer_load_dword v117, off, s[0:3], 0 offset:28
	v_cmp_gt_u32_e32 vcc, 3, v0
	s_waitcnt vmcnt(0)
	ds_write_b64 v118, v[116:117]
	s_waitcnt lgkmcnt(0)
	; wave barrier
	s_waitcnt lgkmcnt(0)
	s_and_saveexec_b64 s[8:9], vcc
	s_cbranch_execz .LBB56_580
; %bb.573:
	s_and_b64 vcc, exec, s[4:5]
	s_cbranch_vccnz .LBB56_575
; %bb.574:
	buffer_load_dword v116, v119, s[0:3], 0 offen
	buffer_load_dword v117, v119, s[0:3], 0 offen offset:4
	ds_read_b64 v[120:121], v118
	s_waitcnt vmcnt(0) lgkmcnt(0)
	v_mul_f64 v[116:117], v[116:117], v[120:121]
	s_cbranch_execz .LBB56_576
	s_branch .LBB56_577
.LBB56_575:
                                        ; implicit-def: $vgpr116_vgpr117
.LBB56_576:
	ds_read_b64 v[116:117], v118
.LBB56_577:
	v_cmp_ne_u32_e32 vcc, 2, v0
	s_and_saveexec_b64 s[10:11], vcc
	s_cbranch_execz .LBB56_579
; %bb.578:
	buffer_load_dword v121, v119, s[0:3], 0 offen offset:12
	buffer_load_dword v122, off, s[0:3], 0 offset:16
	buffer_load_dword v120, v119, s[0:3], 0 offen offset:8
	buffer_load_dword v123, off, s[0:3], 0 offset:20
	v_mov_b32_e32 v126, 0
	ds_read_b64 v[124:125], v118 offset:8
	ds_read_b64 v[126:127], v126 offset:480
	s_waitcnt vmcnt(1) lgkmcnt(1)
	v_fmac_f64_e32 v[116:117], v[120:121], v[124:125]
	s_waitcnt vmcnt(0) lgkmcnt(0)
	v_fma_f64 v[120:121], v[122:123], v[126:127], v[116:117]
	v_cndmask_b32_e64 v117, v117, v121, s[6:7]
	v_cndmask_b32_e64 v116, v116, v120, s[6:7]
.LBB56_579:
	s_or_b64 exec, exec, s[10:11]
	v_mov_b32_e32 v120, 0
	ds_read_b64 v[120:121], v120 offset:24
	s_waitcnt lgkmcnt(0)
	v_mul_f64 v[116:117], v[116:117], v[120:121]
	buffer_store_dword v117, off, s[0:3], 0 offset:28
	buffer_store_dword v116, off, s[0:3], 0 offset:24
.LBB56_580:
	s_or_b64 exec, exec, s[8:9]
	buffer_load_dword v116, off, s[0:3], 0 offset:32
	buffer_load_dword v117, off, s[0:3], 0 offset:36
	v_cmp_gt_u32_e32 vcc, 4, v0
	s_waitcnt vmcnt(0)
	ds_write_b64 v118, v[116:117]
	s_waitcnt lgkmcnt(0)
	; wave barrier
	s_waitcnt lgkmcnt(0)
	s_and_saveexec_b64 s[6:7], vcc
	s_cbranch_execz .LBB56_590
; %bb.581:
	s_and_b64 vcc, exec, s[4:5]
	s_cbranch_vccnz .LBB56_583
; %bb.582:
	buffer_load_dword v116, v119, s[0:3], 0 offen
	buffer_load_dword v117, v119, s[0:3], 0 offen offset:4
	ds_read_b64 v[120:121], v118
	s_waitcnt vmcnt(0) lgkmcnt(0)
	v_mul_f64 v[116:117], v[116:117], v[120:121]
	s_cbranch_execz .LBB56_584
	s_branch .LBB56_585
.LBB56_583:
                                        ; implicit-def: $vgpr116_vgpr117
.LBB56_584:
	ds_read_b64 v[116:117], v118
.LBB56_585:
	v_cmp_ne_u32_e32 vcc, 3, v0
	s_and_saveexec_b64 s[8:9], vcc
	s_cbranch_execz .LBB56_589
; %bb.586:
	v_mov_b32_e32 v121, 0
	v_add_u32_e32 v120, 0x1d8, v1
	v_add3_u32 v121, v1, v121, 8
	s_mov_b64 s[10:11], 0
	v_mov_b32_e32 v122, v0
.LBB56_587:                             ; =>This Inner Loop Header: Depth=1
	buffer_load_dword v124, v121, s[0:3], 0 offen
	buffer_load_dword v125, v121, s[0:3], 0 offen offset:4
	ds_read_b64 v[126:127], v120
	v_add_u32_e32 v122, 1, v122
	v_cmp_lt_u32_e32 vcc, 2, v122
	v_add_u32_e32 v120, 8, v120
	v_add_u32_e32 v121, 8, v121
	s_or_b64 s[10:11], vcc, s[10:11]
	s_waitcnt vmcnt(0) lgkmcnt(0)
	v_fmac_f64_e32 v[116:117], v[124:125], v[126:127]
	s_andn2_b64 exec, exec, s[10:11]
	s_cbranch_execnz .LBB56_587
; %bb.588:
	s_or_b64 exec, exec, s[10:11]
.LBB56_589:
	s_or_b64 exec, exec, s[8:9]
	v_mov_b32_e32 v120, 0
	ds_read_b64 v[120:121], v120 offset:32
	s_waitcnt lgkmcnt(0)
	v_mul_f64 v[116:117], v[116:117], v[120:121]
	buffer_store_dword v117, off, s[0:3], 0 offset:36
	buffer_store_dword v116, off, s[0:3], 0 offset:32
.LBB56_590:
	s_or_b64 exec, exec, s[6:7]
	buffer_load_dword v116, off, s[0:3], 0 offset:40
	buffer_load_dword v117, off, s[0:3], 0 offset:44
	v_cmp_gt_u32_e32 vcc, 5, v0
	s_waitcnt vmcnt(0)
	ds_write_b64 v118, v[116:117]
	s_waitcnt lgkmcnt(0)
	; wave barrier
	s_waitcnt lgkmcnt(0)
	s_and_saveexec_b64 s[6:7], vcc
	s_cbranch_execz .LBB56_600
; %bb.591:
	s_and_b64 vcc, exec, s[4:5]
	s_cbranch_vccnz .LBB56_593
; %bb.592:
	buffer_load_dword v116, v119, s[0:3], 0 offen
	buffer_load_dword v117, v119, s[0:3], 0 offen offset:4
	ds_read_b64 v[120:121], v118
	s_waitcnt vmcnt(0) lgkmcnt(0)
	v_mul_f64 v[116:117], v[116:117], v[120:121]
	s_cbranch_execz .LBB56_594
	s_branch .LBB56_595
.LBB56_593:
                                        ; implicit-def: $vgpr116_vgpr117
.LBB56_594:
	ds_read_b64 v[116:117], v118
.LBB56_595:
	v_cmp_ne_u32_e32 vcc, 4, v0
	s_and_saveexec_b64 s[8:9], vcc
	s_cbranch_execz .LBB56_599
; %bb.596:
	v_mov_b32_e32 v121, 0
	v_add_u32_e32 v120, 0x1d8, v1
	v_add3_u32 v121, v1, v121, 8
	s_mov_b64 s[10:11], 0
	v_mov_b32_e32 v122, v0
.LBB56_597:                             ; =>This Inner Loop Header: Depth=1
	buffer_load_dword v124, v121, s[0:3], 0 offen
	buffer_load_dword v125, v121, s[0:3], 0 offen offset:4
	ds_read_b64 v[126:127], v120
	v_add_u32_e32 v122, 1, v122
	v_cmp_lt_u32_e32 vcc, 3, v122
	v_add_u32_e32 v120, 8, v120
	v_add_u32_e32 v121, 8, v121
	s_or_b64 s[10:11], vcc, s[10:11]
	s_waitcnt vmcnt(0) lgkmcnt(0)
	v_fmac_f64_e32 v[116:117], v[124:125], v[126:127]
	s_andn2_b64 exec, exec, s[10:11]
	s_cbranch_execnz .LBB56_597
; %bb.598:
	s_or_b64 exec, exec, s[10:11]
.LBB56_599:
	s_or_b64 exec, exec, s[8:9]
	v_mov_b32_e32 v120, 0
	ds_read_b64 v[120:121], v120 offset:40
	s_waitcnt lgkmcnt(0)
	v_mul_f64 v[116:117], v[116:117], v[120:121]
	buffer_store_dword v117, off, s[0:3], 0 offset:44
	buffer_store_dword v116, off, s[0:3], 0 offset:40
.LBB56_600:
	s_or_b64 exec, exec, s[6:7]
	buffer_load_dword v116, off, s[0:3], 0 offset:48
	buffer_load_dword v117, off, s[0:3], 0 offset:52
	v_cmp_gt_u32_e32 vcc, 6, v0
	s_waitcnt vmcnt(0)
	ds_write_b64 v118, v[116:117]
	s_waitcnt lgkmcnt(0)
	; wave barrier
	s_waitcnt lgkmcnt(0)
	s_and_saveexec_b64 s[6:7], vcc
	s_cbranch_execz .LBB56_610
; %bb.601:
	s_and_b64 vcc, exec, s[4:5]
	s_cbranch_vccnz .LBB56_603
; %bb.602:
	buffer_load_dword v116, v119, s[0:3], 0 offen
	buffer_load_dword v117, v119, s[0:3], 0 offen offset:4
	ds_read_b64 v[120:121], v118
	s_waitcnt vmcnt(0) lgkmcnt(0)
	v_mul_f64 v[116:117], v[116:117], v[120:121]
	s_cbranch_execz .LBB56_604
	s_branch .LBB56_605
.LBB56_603:
                                        ; implicit-def: $vgpr116_vgpr117
.LBB56_604:
	ds_read_b64 v[116:117], v118
.LBB56_605:
	v_cmp_ne_u32_e32 vcc, 5, v0
	s_and_saveexec_b64 s[8:9], vcc
	s_cbranch_execz .LBB56_609
; %bb.606:
	v_mov_b32_e32 v121, 0
	v_add_u32_e32 v120, 0x1d8, v1
	v_add3_u32 v121, v1, v121, 8
	s_mov_b64 s[10:11], 0
	v_mov_b32_e32 v122, v0
.LBB56_607:                             ; =>This Inner Loop Header: Depth=1
	buffer_load_dword v124, v121, s[0:3], 0 offen
	buffer_load_dword v125, v121, s[0:3], 0 offen offset:4
	ds_read_b64 v[126:127], v120
	v_add_u32_e32 v122, 1, v122
	v_cmp_lt_u32_e32 vcc, 4, v122
	v_add_u32_e32 v120, 8, v120
	v_add_u32_e32 v121, 8, v121
	s_or_b64 s[10:11], vcc, s[10:11]
	s_waitcnt vmcnt(0) lgkmcnt(0)
	v_fmac_f64_e32 v[116:117], v[124:125], v[126:127]
	s_andn2_b64 exec, exec, s[10:11]
	s_cbranch_execnz .LBB56_607
; %bb.608:
	s_or_b64 exec, exec, s[10:11]
.LBB56_609:
	s_or_b64 exec, exec, s[8:9]
	v_mov_b32_e32 v120, 0
	ds_read_b64 v[120:121], v120 offset:48
	s_waitcnt lgkmcnt(0)
	v_mul_f64 v[116:117], v[116:117], v[120:121]
	buffer_store_dword v117, off, s[0:3], 0 offset:52
	buffer_store_dword v116, off, s[0:3], 0 offset:48
.LBB56_610:
	s_or_b64 exec, exec, s[6:7]
	buffer_load_dword v116, off, s[0:3], 0 offset:56
	buffer_load_dword v117, off, s[0:3], 0 offset:60
	v_cmp_gt_u32_e32 vcc, 7, v0
	s_waitcnt vmcnt(0)
	ds_write_b64 v118, v[116:117]
	s_waitcnt lgkmcnt(0)
	; wave barrier
	s_waitcnt lgkmcnt(0)
	s_and_saveexec_b64 s[6:7], vcc
	s_cbranch_execz .LBB56_620
; %bb.611:
	s_and_b64 vcc, exec, s[4:5]
	s_cbranch_vccnz .LBB56_613
; %bb.612:
	buffer_load_dword v116, v119, s[0:3], 0 offen
	buffer_load_dword v117, v119, s[0:3], 0 offen offset:4
	ds_read_b64 v[120:121], v118
	s_waitcnt vmcnt(0) lgkmcnt(0)
	v_mul_f64 v[116:117], v[116:117], v[120:121]
	s_cbranch_execz .LBB56_614
	s_branch .LBB56_615
.LBB56_613:
                                        ; implicit-def: $vgpr116_vgpr117
.LBB56_614:
	ds_read_b64 v[116:117], v118
.LBB56_615:
	v_cmp_ne_u32_e32 vcc, 6, v0
	s_and_saveexec_b64 s[8:9], vcc
	s_cbranch_execz .LBB56_619
; %bb.616:
	v_mov_b32_e32 v121, 0
	v_add_u32_e32 v120, 0x1d8, v1
	v_add3_u32 v121, v1, v121, 8
	s_mov_b64 s[10:11], 0
	v_mov_b32_e32 v122, v0
.LBB56_617:                             ; =>This Inner Loop Header: Depth=1
	buffer_load_dword v124, v121, s[0:3], 0 offen
	buffer_load_dword v125, v121, s[0:3], 0 offen offset:4
	ds_read_b64 v[126:127], v120
	v_add_u32_e32 v122, 1, v122
	v_cmp_lt_u32_e32 vcc, 5, v122
	v_add_u32_e32 v120, 8, v120
	v_add_u32_e32 v121, 8, v121
	s_or_b64 s[10:11], vcc, s[10:11]
	s_waitcnt vmcnt(0) lgkmcnt(0)
	v_fmac_f64_e32 v[116:117], v[124:125], v[126:127]
	s_andn2_b64 exec, exec, s[10:11]
	s_cbranch_execnz .LBB56_617
; %bb.618:
	s_or_b64 exec, exec, s[10:11]
.LBB56_619:
	s_or_b64 exec, exec, s[8:9]
	v_mov_b32_e32 v120, 0
	ds_read_b64 v[120:121], v120 offset:56
	s_waitcnt lgkmcnt(0)
	v_mul_f64 v[116:117], v[116:117], v[120:121]
	buffer_store_dword v117, off, s[0:3], 0 offset:60
	buffer_store_dword v116, off, s[0:3], 0 offset:56
.LBB56_620:
	s_or_b64 exec, exec, s[6:7]
	buffer_load_dword v116, off, s[0:3], 0 offset:64
	buffer_load_dword v117, off, s[0:3], 0 offset:68
	v_cmp_gt_u32_e32 vcc, 8, v0
	s_waitcnt vmcnt(0)
	ds_write_b64 v118, v[116:117]
	s_waitcnt lgkmcnt(0)
	; wave barrier
	s_waitcnt lgkmcnt(0)
	s_and_saveexec_b64 s[6:7], vcc
	s_cbranch_execz .LBB56_630
; %bb.621:
	s_and_b64 vcc, exec, s[4:5]
	s_cbranch_vccnz .LBB56_623
; %bb.622:
	buffer_load_dword v116, v119, s[0:3], 0 offen
	buffer_load_dword v117, v119, s[0:3], 0 offen offset:4
	ds_read_b64 v[120:121], v118
	s_waitcnt vmcnt(0) lgkmcnt(0)
	v_mul_f64 v[116:117], v[116:117], v[120:121]
	s_cbranch_execz .LBB56_624
	s_branch .LBB56_625
.LBB56_623:
                                        ; implicit-def: $vgpr116_vgpr117
.LBB56_624:
	ds_read_b64 v[116:117], v118
.LBB56_625:
	v_cmp_ne_u32_e32 vcc, 7, v0
	s_and_saveexec_b64 s[8:9], vcc
	s_cbranch_execz .LBB56_629
; %bb.626:
	v_mov_b32_e32 v121, 0
	v_add_u32_e32 v120, 0x1d8, v1
	v_add3_u32 v121, v1, v121, 8
	s_mov_b64 s[10:11], 0
	v_mov_b32_e32 v122, v0
.LBB56_627:                             ; =>This Inner Loop Header: Depth=1
	buffer_load_dword v124, v121, s[0:3], 0 offen
	buffer_load_dword v125, v121, s[0:3], 0 offen offset:4
	ds_read_b64 v[126:127], v120
	v_add_u32_e32 v122, 1, v122
	v_cmp_lt_u32_e32 vcc, 6, v122
	v_add_u32_e32 v120, 8, v120
	v_add_u32_e32 v121, 8, v121
	s_or_b64 s[10:11], vcc, s[10:11]
	s_waitcnt vmcnt(0) lgkmcnt(0)
	v_fmac_f64_e32 v[116:117], v[124:125], v[126:127]
	s_andn2_b64 exec, exec, s[10:11]
	s_cbranch_execnz .LBB56_627
; %bb.628:
	s_or_b64 exec, exec, s[10:11]
.LBB56_629:
	s_or_b64 exec, exec, s[8:9]
	v_mov_b32_e32 v120, 0
	ds_read_b64 v[120:121], v120 offset:64
	s_waitcnt lgkmcnt(0)
	v_mul_f64 v[116:117], v[116:117], v[120:121]
	buffer_store_dword v117, off, s[0:3], 0 offset:68
	buffer_store_dword v116, off, s[0:3], 0 offset:64
.LBB56_630:
	s_or_b64 exec, exec, s[6:7]
	buffer_load_dword v116, off, s[0:3], 0 offset:72
	buffer_load_dword v117, off, s[0:3], 0 offset:76
	v_cmp_gt_u32_e32 vcc, 9, v0
	s_waitcnt vmcnt(0)
	ds_write_b64 v118, v[116:117]
	s_waitcnt lgkmcnt(0)
	; wave barrier
	s_waitcnt lgkmcnt(0)
	s_and_saveexec_b64 s[6:7], vcc
	s_cbranch_execz .LBB56_640
; %bb.631:
	s_and_b64 vcc, exec, s[4:5]
	s_cbranch_vccnz .LBB56_633
; %bb.632:
	buffer_load_dword v116, v119, s[0:3], 0 offen
	buffer_load_dword v117, v119, s[0:3], 0 offen offset:4
	ds_read_b64 v[120:121], v118
	s_waitcnt vmcnt(0) lgkmcnt(0)
	v_mul_f64 v[116:117], v[116:117], v[120:121]
	s_cbranch_execz .LBB56_634
	s_branch .LBB56_635
.LBB56_633:
                                        ; implicit-def: $vgpr116_vgpr117
.LBB56_634:
	ds_read_b64 v[116:117], v118
.LBB56_635:
	v_cmp_ne_u32_e32 vcc, 8, v0
	s_and_saveexec_b64 s[8:9], vcc
	s_cbranch_execz .LBB56_639
; %bb.636:
	v_mov_b32_e32 v121, 0
	v_add_u32_e32 v120, 0x1d8, v1
	v_add3_u32 v121, v1, v121, 8
	s_mov_b64 s[10:11], 0
	v_mov_b32_e32 v122, v0
.LBB56_637:                             ; =>This Inner Loop Header: Depth=1
	buffer_load_dword v124, v121, s[0:3], 0 offen
	buffer_load_dword v125, v121, s[0:3], 0 offen offset:4
	ds_read_b64 v[126:127], v120
	v_add_u32_e32 v122, 1, v122
	v_cmp_lt_u32_e32 vcc, 7, v122
	v_add_u32_e32 v120, 8, v120
	v_add_u32_e32 v121, 8, v121
	s_or_b64 s[10:11], vcc, s[10:11]
	s_waitcnt vmcnt(0) lgkmcnt(0)
	v_fmac_f64_e32 v[116:117], v[124:125], v[126:127]
	s_andn2_b64 exec, exec, s[10:11]
	s_cbranch_execnz .LBB56_637
; %bb.638:
	s_or_b64 exec, exec, s[10:11]
.LBB56_639:
	s_or_b64 exec, exec, s[8:9]
	v_mov_b32_e32 v120, 0
	ds_read_b64 v[120:121], v120 offset:72
	s_waitcnt lgkmcnt(0)
	v_mul_f64 v[116:117], v[116:117], v[120:121]
	buffer_store_dword v117, off, s[0:3], 0 offset:76
	buffer_store_dword v116, off, s[0:3], 0 offset:72
.LBB56_640:
	s_or_b64 exec, exec, s[6:7]
	buffer_load_dword v116, off, s[0:3], 0 offset:80
	buffer_load_dword v117, off, s[0:3], 0 offset:84
	v_cmp_gt_u32_e32 vcc, 10, v0
	s_waitcnt vmcnt(0)
	ds_write_b64 v118, v[116:117]
	s_waitcnt lgkmcnt(0)
	; wave barrier
	s_waitcnt lgkmcnt(0)
	s_and_saveexec_b64 s[6:7], vcc
	s_cbranch_execz .LBB56_650
; %bb.641:
	s_and_b64 vcc, exec, s[4:5]
	s_cbranch_vccnz .LBB56_643
; %bb.642:
	buffer_load_dword v116, v119, s[0:3], 0 offen
	buffer_load_dword v117, v119, s[0:3], 0 offen offset:4
	ds_read_b64 v[120:121], v118
	s_waitcnt vmcnt(0) lgkmcnt(0)
	v_mul_f64 v[116:117], v[116:117], v[120:121]
	s_cbranch_execz .LBB56_644
	s_branch .LBB56_645
.LBB56_643:
                                        ; implicit-def: $vgpr116_vgpr117
.LBB56_644:
	ds_read_b64 v[116:117], v118
.LBB56_645:
	v_cmp_ne_u32_e32 vcc, 9, v0
	s_and_saveexec_b64 s[8:9], vcc
	s_cbranch_execz .LBB56_649
; %bb.646:
	v_mov_b32_e32 v121, 0
	v_add_u32_e32 v120, 0x1d8, v1
	v_add3_u32 v121, v1, v121, 8
	s_mov_b64 s[10:11], 0
	v_mov_b32_e32 v122, v0
.LBB56_647:                             ; =>This Inner Loop Header: Depth=1
	buffer_load_dword v124, v121, s[0:3], 0 offen
	buffer_load_dword v125, v121, s[0:3], 0 offen offset:4
	ds_read_b64 v[126:127], v120
	v_add_u32_e32 v122, 1, v122
	v_cmp_lt_u32_e32 vcc, 8, v122
	v_add_u32_e32 v120, 8, v120
	v_add_u32_e32 v121, 8, v121
	s_or_b64 s[10:11], vcc, s[10:11]
	s_waitcnt vmcnt(0) lgkmcnt(0)
	v_fmac_f64_e32 v[116:117], v[124:125], v[126:127]
	s_andn2_b64 exec, exec, s[10:11]
	s_cbranch_execnz .LBB56_647
; %bb.648:
	s_or_b64 exec, exec, s[10:11]
.LBB56_649:
	s_or_b64 exec, exec, s[8:9]
	v_mov_b32_e32 v120, 0
	ds_read_b64 v[120:121], v120 offset:80
	s_waitcnt lgkmcnt(0)
	v_mul_f64 v[116:117], v[116:117], v[120:121]
	buffer_store_dword v117, off, s[0:3], 0 offset:84
	buffer_store_dword v116, off, s[0:3], 0 offset:80
.LBB56_650:
	s_or_b64 exec, exec, s[6:7]
	buffer_load_dword v116, off, s[0:3], 0 offset:88
	buffer_load_dword v117, off, s[0:3], 0 offset:92
	v_cmp_gt_u32_e32 vcc, 11, v0
	s_waitcnt vmcnt(0)
	ds_write_b64 v118, v[116:117]
	s_waitcnt lgkmcnt(0)
	; wave barrier
	s_waitcnt lgkmcnt(0)
	s_and_saveexec_b64 s[6:7], vcc
	s_cbranch_execz .LBB56_660
; %bb.651:
	s_and_b64 vcc, exec, s[4:5]
	s_cbranch_vccnz .LBB56_653
; %bb.652:
	buffer_load_dword v116, v119, s[0:3], 0 offen
	buffer_load_dword v117, v119, s[0:3], 0 offen offset:4
	ds_read_b64 v[120:121], v118
	s_waitcnt vmcnt(0) lgkmcnt(0)
	v_mul_f64 v[116:117], v[116:117], v[120:121]
	s_cbranch_execz .LBB56_654
	s_branch .LBB56_655
.LBB56_653:
                                        ; implicit-def: $vgpr116_vgpr117
.LBB56_654:
	ds_read_b64 v[116:117], v118
.LBB56_655:
	v_cmp_ne_u32_e32 vcc, 10, v0
	s_and_saveexec_b64 s[8:9], vcc
	s_cbranch_execz .LBB56_659
; %bb.656:
	v_mov_b32_e32 v121, 0
	v_add_u32_e32 v120, 0x1d8, v1
	v_add3_u32 v121, v1, v121, 8
	s_mov_b64 s[10:11], 0
	v_mov_b32_e32 v122, v0
.LBB56_657:                             ; =>This Inner Loop Header: Depth=1
	buffer_load_dword v124, v121, s[0:3], 0 offen
	buffer_load_dword v125, v121, s[0:3], 0 offen offset:4
	ds_read_b64 v[126:127], v120
	v_add_u32_e32 v122, 1, v122
	v_cmp_lt_u32_e32 vcc, 9, v122
	v_add_u32_e32 v120, 8, v120
	v_add_u32_e32 v121, 8, v121
	s_or_b64 s[10:11], vcc, s[10:11]
	s_waitcnt vmcnt(0) lgkmcnt(0)
	v_fmac_f64_e32 v[116:117], v[124:125], v[126:127]
	s_andn2_b64 exec, exec, s[10:11]
	s_cbranch_execnz .LBB56_657
; %bb.658:
	s_or_b64 exec, exec, s[10:11]
.LBB56_659:
	s_or_b64 exec, exec, s[8:9]
	v_mov_b32_e32 v120, 0
	ds_read_b64 v[120:121], v120 offset:88
	s_waitcnt lgkmcnt(0)
	v_mul_f64 v[116:117], v[116:117], v[120:121]
	buffer_store_dword v117, off, s[0:3], 0 offset:92
	buffer_store_dword v116, off, s[0:3], 0 offset:88
.LBB56_660:
	s_or_b64 exec, exec, s[6:7]
	buffer_load_dword v116, off, s[0:3], 0 offset:96
	buffer_load_dword v117, off, s[0:3], 0 offset:100
	v_cmp_gt_u32_e32 vcc, 12, v0
	s_waitcnt vmcnt(0)
	ds_write_b64 v118, v[116:117]
	s_waitcnt lgkmcnt(0)
	; wave barrier
	s_waitcnt lgkmcnt(0)
	s_and_saveexec_b64 s[6:7], vcc
	s_cbranch_execz .LBB56_670
; %bb.661:
	s_and_b64 vcc, exec, s[4:5]
	s_cbranch_vccnz .LBB56_663
; %bb.662:
	buffer_load_dword v116, v119, s[0:3], 0 offen
	buffer_load_dword v117, v119, s[0:3], 0 offen offset:4
	ds_read_b64 v[120:121], v118
	s_waitcnt vmcnt(0) lgkmcnt(0)
	v_mul_f64 v[116:117], v[116:117], v[120:121]
	s_cbranch_execz .LBB56_664
	s_branch .LBB56_665
.LBB56_663:
                                        ; implicit-def: $vgpr116_vgpr117
.LBB56_664:
	ds_read_b64 v[116:117], v118
.LBB56_665:
	v_cmp_ne_u32_e32 vcc, 11, v0
	s_and_saveexec_b64 s[8:9], vcc
	s_cbranch_execz .LBB56_669
; %bb.666:
	v_mov_b32_e32 v121, 0
	v_add_u32_e32 v120, 0x1d8, v1
	v_add3_u32 v121, v1, v121, 8
	s_mov_b64 s[10:11], 0
	v_mov_b32_e32 v122, v0
.LBB56_667:                             ; =>This Inner Loop Header: Depth=1
	buffer_load_dword v124, v121, s[0:3], 0 offen
	buffer_load_dword v125, v121, s[0:3], 0 offen offset:4
	ds_read_b64 v[126:127], v120
	v_add_u32_e32 v122, 1, v122
	v_cmp_lt_u32_e32 vcc, 10, v122
	v_add_u32_e32 v120, 8, v120
	v_add_u32_e32 v121, 8, v121
	s_or_b64 s[10:11], vcc, s[10:11]
	s_waitcnt vmcnt(0) lgkmcnt(0)
	v_fmac_f64_e32 v[116:117], v[124:125], v[126:127]
	s_andn2_b64 exec, exec, s[10:11]
	s_cbranch_execnz .LBB56_667
; %bb.668:
	s_or_b64 exec, exec, s[10:11]
.LBB56_669:
	s_or_b64 exec, exec, s[8:9]
	v_mov_b32_e32 v120, 0
	ds_read_b64 v[120:121], v120 offset:96
	s_waitcnt lgkmcnt(0)
	v_mul_f64 v[116:117], v[116:117], v[120:121]
	buffer_store_dword v117, off, s[0:3], 0 offset:100
	buffer_store_dword v116, off, s[0:3], 0 offset:96
.LBB56_670:
	s_or_b64 exec, exec, s[6:7]
	buffer_load_dword v116, off, s[0:3], 0 offset:104
	buffer_load_dword v117, off, s[0:3], 0 offset:108
	v_cmp_gt_u32_e32 vcc, 13, v0
	s_waitcnt vmcnt(0)
	ds_write_b64 v118, v[116:117]
	s_waitcnt lgkmcnt(0)
	; wave barrier
	s_waitcnt lgkmcnt(0)
	s_and_saveexec_b64 s[6:7], vcc
	s_cbranch_execz .LBB56_680
; %bb.671:
	s_and_b64 vcc, exec, s[4:5]
	s_cbranch_vccnz .LBB56_673
; %bb.672:
	buffer_load_dword v116, v119, s[0:3], 0 offen
	buffer_load_dword v117, v119, s[0:3], 0 offen offset:4
	ds_read_b64 v[120:121], v118
	s_waitcnt vmcnt(0) lgkmcnt(0)
	v_mul_f64 v[116:117], v[116:117], v[120:121]
	s_cbranch_execz .LBB56_674
	s_branch .LBB56_675
.LBB56_673:
                                        ; implicit-def: $vgpr116_vgpr117
.LBB56_674:
	ds_read_b64 v[116:117], v118
.LBB56_675:
	v_cmp_ne_u32_e32 vcc, 12, v0
	s_and_saveexec_b64 s[8:9], vcc
	s_cbranch_execz .LBB56_679
; %bb.676:
	v_mov_b32_e32 v121, 0
	v_add_u32_e32 v120, 0x1d8, v1
	v_add3_u32 v121, v1, v121, 8
	s_mov_b64 s[10:11], 0
	v_mov_b32_e32 v122, v0
.LBB56_677:                             ; =>This Inner Loop Header: Depth=1
	buffer_load_dword v124, v121, s[0:3], 0 offen
	buffer_load_dword v125, v121, s[0:3], 0 offen offset:4
	ds_read_b64 v[126:127], v120
	v_add_u32_e32 v122, 1, v122
	v_cmp_lt_u32_e32 vcc, 11, v122
	v_add_u32_e32 v120, 8, v120
	v_add_u32_e32 v121, 8, v121
	s_or_b64 s[10:11], vcc, s[10:11]
	s_waitcnt vmcnt(0) lgkmcnt(0)
	v_fmac_f64_e32 v[116:117], v[124:125], v[126:127]
	s_andn2_b64 exec, exec, s[10:11]
	s_cbranch_execnz .LBB56_677
; %bb.678:
	s_or_b64 exec, exec, s[10:11]
.LBB56_679:
	s_or_b64 exec, exec, s[8:9]
	v_mov_b32_e32 v120, 0
	ds_read_b64 v[120:121], v120 offset:104
	s_waitcnt lgkmcnt(0)
	v_mul_f64 v[116:117], v[116:117], v[120:121]
	buffer_store_dword v117, off, s[0:3], 0 offset:108
	buffer_store_dword v116, off, s[0:3], 0 offset:104
.LBB56_680:
	s_or_b64 exec, exec, s[6:7]
	buffer_load_dword v116, off, s[0:3], 0 offset:112
	buffer_load_dword v117, off, s[0:3], 0 offset:116
	v_cmp_gt_u32_e32 vcc, 14, v0
	s_waitcnt vmcnt(0)
	ds_write_b64 v118, v[116:117]
	s_waitcnt lgkmcnt(0)
	; wave barrier
	s_waitcnt lgkmcnt(0)
	s_and_saveexec_b64 s[6:7], vcc
	s_cbranch_execz .LBB56_690
; %bb.681:
	s_and_b64 vcc, exec, s[4:5]
	s_cbranch_vccnz .LBB56_683
; %bb.682:
	buffer_load_dword v116, v119, s[0:3], 0 offen
	buffer_load_dword v117, v119, s[0:3], 0 offen offset:4
	ds_read_b64 v[120:121], v118
	s_waitcnt vmcnt(0) lgkmcnt(0)
	v_mul_f64 v[116:117], v[116:117], v[120:121]
	s_cbranch_execz .LBB56_684
	s_branch .LBB56_685
.LBB56_683:
                                        ; implicit-def: $vgpr116_vgpr117
.LBB56_684:
	ds_read_b64 v[116:117], v118
.LBB56_685:
	v_cmp_ne_u32_e32 vcc, 13, v0
	s_and_saveexec_b64 s[8:9], vcc
	s_cbranch_execz .LBB56_689
; %bb.686:
	v_mov_b32_e32 v121, 0
	v_add_u32_e32 v120, 0x1d8, v1
	v_add3_u32 v121, v1, v121, 8
	s_mov_b64 s[10:11], 0
	v_mov_b32_e32 v122, v0
.LBB56_687:                             ; =>This Inner Loop Header: Depth=1
	buffer_load_dword v124, v121, s[0:3], 0 offen
	buffer_load_dword v125, v121, s[0:3], 0 offen offset:4
	ds_read_b64 v[126:127], v120
	v_add_u32_e32 v122, 1, v122
	v_cmp_lt_u32_e32 vcc, 12, v122
	v_add_u32_e32 v120, 8, v120
	v_add_u32_e32 v121, 8, v121
	s_or_b64 s[10:11], vcc, s[10:11]
	s_waitcnt vmcnt(0) lgkmcnt(0)
	v_fmac_f64_e32 v[116:117], v[124:125], v[126:127]
	s_andn2_b64 exec, exec, s[10:11]
	s_cbranch_execnz .LBB56_687
; %bb.688:
	s_or_b64 exec, exec, s[10:11]
.LBB56_689:
	s_or_b64 exec, exec, s[8:9]
	v_mov_b32_e32 v120, 0
	ds_read_b64 v[120:121], v120 offset:112
	s_waitcnt lgkmcnt(0)
	v_mul_f64 v[116:117], v[116:117], v[120:121]
	buffer_store_dword v117, off, s[0:3], 0 offset:116
	buffer_store_dword v116, off, s[0:3], 0 offset:112
.LBB56_690:
	s_or_b64 exec, exec, s[6:7]
	buffer_load_dword v116, off, s[0:3], 0 offset:120
	buffer_load_dword v117, off, s[0:3], 0 offset:124
	v_cmp_gt_u32_e32 vcc, 15, v0
	s_waitcnt vmcnt(0)
	ds_write_b64 v118, v[116:117]
	s_waitcnt lgkmcnt(0)
	; wave barrier
	s_waitcnt lgkmcnt(0)
	s_and_saveexec_b64 s[6:7], vcc
	s_cbranch_execz .LBB56_700
; %bb.691:
	s_and_b64 vcc, exec, s[4:5]
	s_cbranch_vccnz .LBB56_693
; %bb.692:
	buffer_load_dword v116, v119, s[0:3], 0 offen
	buffer_load_dword v117, v119, s[0:3], 0 offen offset:4
	ds_read_b64 v[120:121], v118
	s_waitcnt vmcnt(0) lgkmcnt(0)
	v_mul_f64 v[116:117], v[116:117], v[120:121]
	s_cbranch_execz .LBB56_694
	s_branch .LBB56_695
.LBB56_693:
                                        ; implicit-def: $vgpr116_vgpr117
.LBB56_694:
	ds_read_b64 v[116:117], v118
.LBB56_695:
	v_cmp_ne_u32_e32 vcc, 14, v0
	s_and_saveexec_b64 s[8:9], vcc
	s_cbranch_execz .LBB56_699
; %bb.696:
	v_mov_b32_e32 v121, 0
	v_add_u32_e32 v120, 0x1d8, v1
	v_add3_u32 v121, v1, v121, 8
	s_mov_b64 s[10:11], 0
	v_mov_b32_e32 v122, v0
.LBB56_697:                             ; =>This Inner Loop Header: Depth=1
	buffer_load_dword v124, v121, s[0:3], 0 offen
	buffer_load_dword v125, v121, s[0:3], 0 offen offset:4
	ds_read_b64 v[126:127], v120
	v_add_u32_e32 v122, 1, v122
	v_cmp_lt_u32_e32 vcc, 13, v122
	v_add_u32_e32 v120, 8, v120
	v_add_u32_e32 v121, 8, v121
	s_or_b64 s[10:11], vcc, s[10:11]
	s_waitcnt vmcnt(0) lgkmcnt(0)
	v_fmac_f64_e32 v[116:117], v[124:125], v[126:127]
	s_andn2_b64 exec, exec, s[10:11]
	s_cbranch_execnz .LBB56_697
; %bb.698:
	s_or_b64 exec, exec, s[10:11]
.LBB56_699:
	s_or_b64 exec, exec, s[8:9]
	v_mov_b32_e32 v120, 0
	ds_read_b64 v[120:121], v120 offset:120
	s_waitcnt lgkmcnt(0)
	v_mul_f64 v[116:117], v[116:117], v[120:121]
	buffer_store_dword v117, off, s[0:3], 0 offset:124
	buffer_store_dword v116, off, s[0:3], 0 offset:120
.LBB56_700:
	s_or_b64 exec, exec, s[6:7]
	buffer_load_dword v116, off, s[0:3], 0 offset:128
	buffer_load_dword v117, off, s[0:3], 0 offset:132
	v_cmp_gt_u32_e32 vcc, 16, v0
	s_waitcnt vmcnt(0)
	ds_write_b64 v118, v[116:117]
	s_waitcnt lgkmcnt(0)
	; wave barrier
	s_waitcnt lgkmcnt(0)
	s_and_saveexec_b64 s[6:7], vcc
	s_cbranch_execz .LBB56_710
; %bb.701:
	s_and_b64 vcc, exec, s[4:5]
	s_cbranch_vccnz .LBB56_703
; %bb.702:
	buffer_load_dword v116, v119, s[0:3], 0 offen
	buffer_load_dword v117, v119, s[0:3], 0 offen offset:4
	ds_read_b64 v[120:121], v118
	s_waitcnt vmcnt(0) lgkmcnt(0)
	v_mul_f64 v[116:117], v[116:117], v[120:121]
	s_cbranch_execz .LBB56_704
	s_branch .LBB56_705
.LBB56_703:
                                        ; implicit-def: $vgpr116_vgpr117
.LBB56_704:
	ds_read_b64 v[116:117], v118
.LBB56_705:
	v_cmp_ne_u32_e32 vcc, 15, v0
	s_and_saveexec_b64 s[8:9], vcc
	s_cbranch_execz .LBB56_709
; %bb.706:
	v_mov_b32_e32 v121, 0
	v_add_u32_e32 v120, 0x1d8, v1
	v_add3_u32 v121, v1, v121, 8
	s_mov_b64 s[10:11], 0
	v_mov_b32_e32 v122, v0
.LBB56_707:                             ; =>This Inner Loop Header: Depth=1
	buffer_load_dword v124, v121, s[0:3], 0 offen
	buffer_load_dword v125, v121, s[0:3], 0 offen offset:4
	ds_read_b64 v[126:127], v120
	v_add_u32_e32 v122, 1, v122
	v_cmp_lt_u32_e32 vcc, 14, v122
	v_add_u32_e32 v120, 8, v120
	v_add_u32_e32 v121, 8, v121
	s_or_b64 s[10:11], vcc, s[10:11]
	s_waitcnt vmcnt(0) lgkmcnt(0)
	v_fmac_f64_e32 v[116:117], v[124:125], v[126:127]
	s_andn2_b64 exec, exec, s[10:11]
	s_cbranch_execnz .LBB56_707
; %bb.708:
	s_or_b64 exec, exec, s[10:11]
.LBB56_709:
	s_or_b64 exec, exec, s[8:9]
	v_mov_b32_e32 v120, 0
	ds_read_b64 v[120:121], v120 offset:128
	s_waitcnt lgkmcnt(0)
	v_mul_f64 v[116:117], v[116:117], v[120:121]
	buffer_store_dword v117, off, s[0:3], 0 offset:132
	buffer_store_dword v116, off, s[0:3], 0 offset:128
.LBB56_710:
	s_or_b64 exec, exec, s[6:7]
	buffer_load_dword v116, off, s[0:3], 0 offset:136
	buffer_load_dword v117, off, s[0:3], 0 offset:140
	v_cmp_gt_u32_e32 vcc, 17, v0
	s_waitcnt vmcnt(0)
	ds_write_b64 v118, v[116:117]
	s_waitcnt lgkmcnt(0)
	; wave barrier
	s_waitcnt lgkmcnt(0)
	s_and_saveexec_b64 s[6:7], vcc
	s_cbranch_execz .LBB56_720
; %bb.711:
	s_and_b64 vcc, exec, s[4:5]
	s_cbranch_vccnz .LBB56_713
; %bb.712:
	buffer_load_dword v116, v119, s[0:3], 0 offen
	buffer_load_dword v117, v119, s[0:3], 0 offen offset:4
	ds_read_b64 v[120:121], v118
	s_waitcnt vmcnt(0) lgkmcnt(0)
	v_mul_f64 v[116:117], v[116:117], v[120:121]
	s_cbranch_execz .LBB56_714
	s_branch .LBB56_715
.LBB56_713:
                                        ; implicit-def: $vgpr116_vgpr117
.LBB56_714:
	ds_read_b64 v[116:117], v118
.LBB56_715:
	v_cmp_ne_u32_e32 vcc, 16, v0
	s_and_saveexec_b64 s[8:9], vcc
	s_cbranch_execz .LBB56_719
; %bb.716:
	v_mov_b32_e32 v121, 0
	v_add_u32_e32 v120, 0x1d8, v1
	v_add3_u32 v121, v1, v121, 8
	s_mov_b64 s[10:11], 0
	v_mov_b32_e32 v122, v0
.LBB56_717:                             ; =>This Inner Loop Header: Depth=1
	buffer_load_dword v124, v121, s[0:3], 0 offen
	buffer_load_dword v125, v121, s[0:3], 0 offen offset:4
	ds_read_b64 v[126:127], v120
	v_add_u32_e32 v122, 1, v122
	v_cmp_lt_u32_e32 vcc, 15, v122
	v_add_u32_e32 v120, 8, v120
	v_add_u32_e32 v121, 8, v121
	s_or_b64 s[10:11], vcc, s[10:11]
	s_waitcnt vmcnt(0) lgkmcnt(0)
	v_fmac_f64_e32 v[116:117], v[124:125], v[126:127]
	s_andn2_b64 exec, exec, s[10:11]
	s_cbranch_execnz .LBB56_717
; %bb.718:
	s_or_b64 exec, exec, s[10:11]
.LBB56_719:
	s_or_b64 exec, exec, s[8:9]
	v_mov_b32_e32 v120, 0
	ds_read_b64 v[120:121], v120 offset:136
	s_waitcnt lgkmcnt(0)
	v_mul_f64 v[116:117], v[116:117], v[120:121]
	buffer_store_dword v117, off, s[0:3], 0 offset:140
	buffer_store_dword v116, off, s[0:3], 0 offset:136
.LBB56_720:
	s_or_b64 exec, exec, s[6:7]
	buffer_load_dword v116, off, s[0:3], 0 offset:144
	buffer_load_dword v117, off, s[0:3], 0 offset:148
	v_cmp_gt_u32_e32 vcc, 18, v0
	s_waitcnt vmcnt(0)
	ds_write_b64 v118, v[116:117]
	s_waitcnt lgkmcnt(0)
	; wave barrier
	s_waitcnt lgkmcnt(0)
	s_and_saveexec_b64 s[6:7], vcc
	s_cbranch_execz .LBB56_730
; %bb.721:
	s_and_b64 vcc, exec, s[4:5]
	s_cbranch_vccnz .LBB56_723
; %bb.722:
	buffer_load_dword v116, v119, s[0:3], 0 offen
	buffer_load_dword v117, v119, s[0:3], 0 offen offset:4
	ds_read_b64 v[120:121], v118
	s_waitcnt vmcnt(0) lgkmcnt(0)
	v_mul_f64 v[116:117], v[116:117], v[120:121]
	s_cbranch_execz .LBB56_724
	s_branch .LBB56_725
.LBB56_723:
                                        ; implicit-def: $vgpr116_vgpr117
.LBB56_724:
	ds_read_b64 v[116:117], v118
.LBB56_725:
	v_cmp_ne_u32_e32 vcc, 17, v0
	s_and_saveexec_b64 s[8:9], vcc
	s_cbranch_execz .LBB56_729
; %bb.726:
	v_mov_b32_e32 v121, 0
	v_add_u32_e32 v120, 0x1d8, v1
	v_add3_u32 v121, v1, v121, 8
	s_mov_b64 s[10:11], 0
	v_mov_b32_e32 v122, v0
.LBB56_727:                             ; =>This Inner Loop Header: Depth=1
	buffer_load_dword v124, v121, s[0:3], 0 offen
	buffer_load_dword v125, v121, s[0:3], 0 offen offset:4
	ds_read_b64 v[126:127], v120
	v_add_u32_e32 v122, 1, v122
	v_cmp_lt_u32_e32 vcc, 16, v122
	v_add_u32_e32 v120, 8, v120
	v_add_u32_e32 v121, 8, v121
	s_or_b64 s[10:11], vcc, s[10:11]
	s_waitcnt vmcnt(0) lgkmcnt(0)
	v_fmac_f64_e32 v[116:117], v[124:125], v[126:127]
	s_andn2_b64 exec, exec, s[10:11]
	s_cbranch_execnz .LBB56_727
; %bb.728:
	s_or_b64 exec, exec, s[10:11]
.LBB56_729:
	s_or_b64 exec, exec, s[8:9]
	v_mov_b32_e32 v120, 0
	ds_read_b64 v[120:121], v120 offset:144
	s_waitcnt lgkmcnt(0)
	v_mul_f64 v[116:117], v[116:117], v[120:121]
	buffer_store_dword v117, off, s[0:3], 0 offset:148
	buffer_store_dword v116, off, s[0:3], 0 offset:144
.LBB56_730:
	s_or_b64 exec, exec, s[6:7]
	buffer_load_dword v116, off, s[0:3], 0 offset:152
	buffer_load_dword v117, off, s[0:3], 0 offset:156
	v_cmp_gt_u32_e32 vcc, 19, v0
	s_waitcnt vmcnt(0)
	ds_write_b64 v118, v[116:117]
	s_waitcnt lgkmcnt(0)
	; wave barrier
	s_waitcnt lgkmcnt(0)
	s_and_saveexec_b64 s[6:7], vcc
	s_cbranch_execz .LBB56_740
; %bb.731:
	s_and_b64 vcc, exec, s[4:5]
	s_cbranch_vccnz .LBB56_733
; %bb.732:
	buffer_load_dword v116, v119, s[0:3], 0 offen
	buffer_load_dword v117, v119, s[0:3], 0 offen offset:4
	ds_read_b64 v[120:121], v118
	s_waitcnt vmcnt(0) lgkmcnt(0)
	v_mul_f64 v[116:117], v[116:117], v[120:121]
	s_cbranch_execz .LBB56_734
	s_branch .LBB56_735
.LBB56_733:
                                        ; implicit-def: $vgpr116_vgpr117
.LBB56_734:
	ds_read_b64 v[116:117], v118
.LBB56_735:
	v_cmp_ne_u32_e32 vcc, 18, v0
	s_and_saveexec_b64 s[8:9], vcc
	s_cbranch_execz .LBB56_739
; %bb.736:
	v_mov_b32_e32 v121, 0
	v_add_u32_e32 v120, 0x1d8, v1
	v_add3_u32 v121, v1, v121, 8
	s_mov_b64 s[10:11], 0
	v_mov_b32_e32 v122, v0
.LBB56_737:                             ; =>This Inner Loop Header: Depth=1
	buffer_load_dword v124, v121, s[0:3], 0 offen
	buffer_load_dword v125, v121, s[0:3], 0 offen offset:4
	ds_read_b64 v[126:127], v120
	v_add_u32_e32 v122, 1, v122
	v_cmp_lt_u32_e32 vcc, 17, v122
	v_add_u32_e32 v120, 8, v120
	v_add_u32_e32 v121, 8, v121
	s_or_b64 s[10:11], vcc, s[10:11]
	s_waitcnt vmcnt(0) lgkmcnt(0)
	v_fmac_f64_e32 v[116:117], v[124:125], v[126:127]
	s_andn2_b64 exec, exec, s[10:11]
	s_cbranch_execnz .LBB56_737
; %bb.738:
	s_or_b64 exec, exec, s[10:11]
.LBB56_739:
	s_or_b64 exec, exec, s[8:9]
	v_mov_b32_e32 v120, 0
	ds_read_b64 v[120:121], v120 offset:152
	s_waitcnt lgkmcnt(0)
	v_mul_f64 v[116:117], v[116:117], v[120:121]
	buffer_store_dword v117, off, s[0:3], 0 offset:156
	buffer_store_dword v116, off, s[0:3], 0 offset:152
.LBB56_740:
	s_or_b64 exec, exec, s[6:7]
	buffer_load_dword v116, off, s[0:3], 0 offset:160
	buffer_load_dword v117, off, s[0:3], 0 offset:164
	v_cmp_gt_u32_e32 vcc, 20, v0
	s_waitcnt vmcnt(0)
	ds_write_b64 v118, v[116:117]
	s_waitcnt lgkmcnt(0)
	; wave barrier
	s_waitcnt lgkmcnt(0)
	s_and_saveexec_b64 s[6:7], vcc
	s_cbranch_execz .LBB56_750
; %bb.741:
	s_and_b64 vcc, exec, s[4:5]
	s_cbranch_vccnz .LBB56_743
; %bb.742:
	buffer_load_dword v116, v119, s[0:3], 0 offen
	buffer_load_dword v117, v119, s[0:3], 0 offen offset:4
	ds_read_b64 v[120:121], v118
	s_waitcnt vmcnt(0) lgkmcnt(0)
	v_mul_f64 v[116:117], v[116:117], v[120:121]
	s_cbranch_execz .LBB56_744
	s_branch .LBB56_745
.LBB56_743:
                                        ; implicit-def: $vgpr116_vgpr117
.LBB56_744:
	ds_read_b64 v[116:117], v118
.LBB56_745:
	v_cmp_ne_u32_e32 vcc, 19, v0
	s_and_saveexec_b64 s[8:9], vcc
	s_cbranch_execz .LBB56_749
; %bb.746:
	v_mov_b32_e32 v121, 0
	v_add_u32_e32 v120, 0x1d8, v1
	v_add3_u32 v121, v1, v121, 8
	s_mov_b64 s[10:11], 0
	v_mov_b32_e32 v122, v0
.LBB56_747:                             ; =>This Inner Loop Header: Depth=1
	buffer_load_dword v124, v121, s[0:3], 0 offen
	buffer_load_dword v125, v121, s[0:3], 0 offen offset:4
	ds_read_b64 v[126:127], v120
	v_add_u32_e32 v122, 1, v122
	v_cmp_lt_u32_e32 vcc, 18, v122
	v_add_u32_e32 v120, 8, v120
	v_add_u32_e32 v121, 8, v121
	s_or_b64 s[10:11], vcc, s[10:11]
	s_waitcnt vmcnt(0) lgkmcnt(0)
	v_fmac_f64_e32 v[116:117], v[124:125], v[126:127]
	s_andn2_b64 exec, exec, s[10:11]
	s_cbranch_execnz .LBB56_747
; %bb.748:
	s_or_b64 exec, exec, s[10:11]
.LBB56_749:
	s_or_b64 exec, exec, s[8:9]
	v_mov_b32_e32 v120, 0
	ds_read_b64 v[120:121], v120 offset:160
	s_waitcnt lgkmcnt(0)
	v_mul_f64 v[116:117], v[116:117], v[120:121]
	buffer_store_dword v117, off, s[0:3], 0 offset:164
	buffer_store_dword v116, off, s[0:3], 0 offset:160
.LBB56_750:
	s_or_b64 exec, exec, s[6:7]
	buffer_load_dword v116, off, s[0:3], 0 offset:168
	buffer_load_dword v117, off, s[0:3], 0 offset:172
	v_cmp_gt_u32_e32 vcc, 21, v0
	s_waitcnt vmcnt(0)
	ds_write_b64 v118, v[116:117]
	s_waitcnt lgkmcnt(0)
	; wave barrier
	s_waitcnt lgkmcnt(0)
	s_and_saveexec_b64 s[6:7], vcc
	s_cbranch_execz .LBB56_760
; %bb.751:
	s_and_b64 vcc, exec, s[4:5]
	s_cbranch_vccnz .LBB56_753
; %bb.752:
	buffer_load_dword v116, v119, s[0:3], 0 offen
	buffer_load_dword v117, v119, s[0:3], 0 offen offset:4
	ds_read_b64 v[120:121], v118
	s_waitcnt vmcnt(0) lgkmcnt(0)
	v_mul_f64 v[116:117], v[116:117], v[120:121]
	s_cbranch_execz .LBB56_754
	s_branch .LBB56_755
.LBB56_753:
                                        ; implicit-def: $vgpr116_vgpr117
.LBB56_754:
	ds_read_b64 v[116:117], v118
.LBB56_755:
	v_cmp_ne_u32_e32 vcc, 20, v0
	s_and_saveexec_b64 s[8:9], vcc
	s_cbranch_execz .LBB56_759
; %bb.756:
	v_mov_b32_e32 v121, 0
	v_add_u32_e32 v120, 0x1d8, v1
	v_add3_u32 v121, v1, v121, 8
	s_mov_b64 s[10:11], 0
	v_mov_b32_e32 v122, v0
.LBB56_757:                             ; =>This Inner Loop Header: Depth=1
	buffer_load_dword v124, v121, s[0:3], 0 offen
	buffer_load_dword v125, v121, s[0:3], 0 offen offset:4
	ds_read_b64 v[126:127], v120
	v_add_u32_e32 v122, 1, v122
	v_cmp_lt_u32_e32 vcc, 19, v122
	v_add_u32_e32 v120, 8, v120
	v_add_u32_e32 v121, 8, v121
	s_or_b64 s[10:11], vcc, s[10:11]
	s_waitcnt vmcnt(0) lgkmcnt(0)
	v_fmac_f64_e32 v[116:117], v[124:125], v[126:127]
	s_andn2_b64 exec, exec, s[10:11]
	s_cbranch_execnz .LBB56_757
; %bb.758:
	s_or_b64 exec, exec, s[10:11]
.LBB56_759:
	s_or_b64 exec, exec, s[8:9]
	v_mov_b32_e32 v120, 0
	ds_read_b64 v[120:121], v120 offset:168
	s_waitcnt lgkmcnt(0)
	v_mul_f64 v[116:117], v[116:117], v[120:121]
	buffer_store_dword v117, off, s[0:3], 0 offset:172
	buffer_store_dword v116, off, s[0:3], 0 offset:168
.LBB56_760:
	s_or_b64 exec, exec, s[6:7]
	buffer_load_dword v116, off, s[0:3], 0 offset:176
	buffer_load_dword v117, off, s[0:3], 0 offset:180
	v_cmp_gt_u32_e32 vcc, 22, v0
	s_waitcnt vmcnt(0)
	ds_write_b64 v118, v[116:117]
	s_waitcnt lgkmcnt(0)
	; wave barrier
	s_waitcnt lgkmcnt(0)
	s_and_saveexec_b64 s[6:7], vcc
	s_cbranch_execz .LBB56_770
; %bb.761:
	s_and_b64 vcc, exec, s[4:5]
	s_cbranch_vccnz .LBB56_763
; %bb.762:
	buffer_load_dword v116, v119, s[0:3], 0 offen
	buffer_load_dword v117, v119, s[0:3], 0 offen offset:4
	ds_read_b64 v[120:121], v118
	s_waitcnt vmcnt(0) lgkmcnt(0)
	v_mul_f64 v[116:117], v[116:117], v[120:121]
	s_cbranch_execz .LBB56_764
	s_branch .LBB56_765
.LBB56_763:
                                        ; implicit-def: $vgpr116_vgpr117
.LBB56_764:
	ds_read_b64 v[116:117], v118
.LBB56_765:
	v_cmp_ne_u32_e32 vcc, 21, v0
	s_and_saveexec_b64 s[8:9], vcc
	s_cbranch_execz .LBB56_769
; %bb.766:
	v_mov_b32_e32 v121, 0
	v_add_u32_e32 v120, 0x1d8, v1
	v_add3_u32 v121, v1, v121, 8
	s_mov_b64 s[10:11], 0
	v_mov_b32_e32 v122, v0
.LBB56_767:                             ; =>This Inner Loop Header: Depth=1
	buffer_load_dword v124, v121, s[0:3], 0 offen
	buffer_load_dword v125, v121, s[0:3], 0 offen offset:4
	ds_read_b64 v[126:127], v120
	v_add_u32_e32 v122, 1, v122
	v_cmp_lt_u32_e32 vcc, 20, v122
	v_add_u32_e32 v120, 8, v120
	v_add_u32_e32 v121, 8, v121
	s_or_b64 s[10:11], vcc, s[10:11]
	s_waitcnt vmcnt(0) lgkmcnt(0)
	v_fmac_f64_e32 v[116:117], v[124:125], v[126:127]
	s_andn2_b64 exec, exec, s[10:11]
	s_cbranch_execnz .LBB56_767
; %bb.768:
	s_or_b64 exec, exec, s[10:11]
.LBB56_769:
	s_or_b64 exec, exec, s[8:9]
	v_mov_b32_e32 v120, 0
	ds_read_b64 v[120:121], v120 offset:176
	s_waitcnt lgkmcnt(0)
	v_mul_f64 v[116:117], v[116:117], v[120:121]
	buffer_store_dword v117, off, s[0:3], 0 offset:180
	buffer_store_dword v116, off, s[0:3], 0 offset:176
.LBB56_770:
	s_or_b64 exec, exec, s[6:7]
	buffer_load_dword v116, off, s[0:3], 0 offset:184
	buffer_load_dword v117, off, s[0:3], 0 offset:188
	v_cmp_gt_u32_e32 vcc, 23, v0
	s_waitcnt vmcnt(0)
	ds_write_b64 v118, v[116:117]
	s_waitcnt lgkmcnt(0)
	; wave barrier
	s_waitcnt lgkmcnt(0)
	s_and_saveexec_b64 s[6:7], vcc
	s_cbranch_execz .LBB56_780
; %bb.771:
	s_and_b64 vcc, exec, s[4:5]
	s_cbranch_vccnz .LBB56_773
; %bb.772:
	buffer_load_dword v116, v119, s[0:3], 0 offen
	buffer_load_dword v117, v119, s[0:3], 0 offen offset:4
	ds_read_b64 v[120:121], v118
	s_waitcnt vmcnt(0) lgkmcnt(0)
	v_mul_f64 v[116:117], v[116:117], v[120:121]
	s_cbranch_execz .LBB56_774
	s_branch .LBB56_775
.LBB56_773:
                                        ; implicit-def: $vgpr116_vgpr117
.LBB56_774:
	ds_read_b64 v[116:117], v118
.LBB56_775:
	v_cmp_ne_u32_e32 vcc, 22, v0
	s_and_saveexec_b64 s[8:9], vcc
	s_cbranch_execz .LBB56_779
; %bb.776:
	v_mov_b32_e32 v121, 0
	v_add_u32_e32 v120, 0x1d8, v1
	v_add3_u32 v121, v1, v121, 8
	s_mov_b64 s[10:11], 0
	v_mov_b32_e32 v122, v0
.LBB56_777:                             ; =>This Inner Loop Header: Depth=1
	buffer_load_dword v124, v121, s[0:3], 0 offen
	buffer_load_dword v125, v121, s[0:3], 0 offen offset:4
	ds_read_b64 v[126:127], v120
	v_add_u32_e32 v122, 1, v122
	v_cmp_lt_u32_e32 vcc, 21, v122
	v_add_u32_e32 v120, 8, v120
	v_add_u32_e32 v121, 8, v121
	s_or_b64 s[10:11], vcc, s[10:11]
	s_waitcnt vmcnt(0) lgkmcnt(0)
	v_fmac_f64_e32 v[116:117], v[124:125], v[126:127]
	s_andn2_b64 exec, exec, s[10:11]
	s_cbranch_execnz .LBB56_777
; %bb.778:
	s_or_b64 exec, exec, s[10:11]
.LBB56_779:
	s_or_b64 exec, exec, s[8:9]
	v_mov_b32_e32 v120, 0
	ds_read_b64 v[120:121], v120 offset:184
	s_waitcnt lgkmcnt(0)
	v_mul_f64 v[116:117], v[116:117], v[120:121]
	buffer_store_dword v117, off, s[0:3], 0 offset:188
	buffer_store_dword v116, off, s[0:3], 0 offset:184
.LBB56_780:
	s_or_b64 exec, exec, s[6:7]
	buffer_load_dword v116, off, s[0:3], 0 offset:192
	buffer_load_dword v117, off, s[0:3], 0 offset:196
	v_cmp_gt_u32_e32 vcc, 24, v0
	s_waitcnt vmcnt(0)
	ds_write_b64 v118, v[116:117]
	s_waitcnt lgkmcnt(0)
	; wave barrier
	s_waitcnt lgkmcnt(0)
	s_and_saveexec_b64 s[6:7], vcc
	s_cbranch_execz .LBB56_790
; %bb.781:
	s_and_b64 vcc, exec, s[4:5]
	s_cbranch_vccnz .LBB56_783
; %bb.782:
	buffer_load_dword v116, v119, s[0:3], 0 offen
	buffer_load_dword v117, v119, s[0:3], 0 offen offset:4
	ds_read_b64 v[120:121], v118
	s_waitcnt vmcnt(0) lgkmcnt(0)
	v_mul_f64 v[116:117], v[116:117], v[120:121]
	s_cbranch_execz .LBB56_784
	s_branch .LBB56_785
.LBB56_783:
                                        ; implicit-def: $vgpr116_vgpr117
.LBB56_784:
	ds_read_b64 v[116:117], v118
.LBB56_785:
	v_cmp_ne_u32_e32 vcc, 23, v0
	s_and_saveexec_b64 s[8:9], vcc
	s_cbranch_execz .LBB56_789
; %bb.786:
	v_mov_b32_e32 v121, 0
	v_add_u32_e32 v120, 0x1d8, v1
	v_add3_u32 v121, v1, v121, 8
	s_mov_b64 s[10:11], 0
	v_mov_b32_e32 v122, v0
.LBB56_787:                             ; =>This Inner Loop Header: Depth=1
	buffer_load_dword v124, v121, s[0:3], 0 offen
	buffer_load_dword v125, v121, s[0:3], 0 offen offset:4
	ds_read_b64 v[126:127], v120
	v_add_u32_e32 v122, 1, v122
	v_cmp_lt_u32_e32 vcc, 22, v122
	v_add_u32_e32 v120, 8, v120
	v_add_u32_e32 v121, 8, v121
	s_or_b64 s[10:11], vcc, s[10:11]
	s_waitcnt vmcnt(0) lgkmcnt(0)
	v_fmac_f64_e32 v[116:117], v[124:125], v[126:127]
	s_andn2_b64 exec, exec, s[10:11]
	s_cbranch_execnz .LBB56_787
; %bb.788:
	s_or_b64 exec, exec, s[10:11]
.LBB56_789:
	s_or_b64 exec, exec, s[8:9]
	v_mov_b32_e32 v120, 0
	ds_read_b64 v[120:121], v120 offset:192
	s_waitcnt lgkmcnt(0)
	v_mul_f64 v[116:117], v[116:117], v[120:121]
	buffer_store_dword v117, off, s[0:3], 0 offset:196
	buffer_store_dword v116, off, s[0:3], 0 offset:192
.LBB56_790:
	s_or_b64 exec, exec, s[6:7]
	buffer_load_dword v116, off, s[0:3], 0 offset:200
	buffer_load_dword v117, off, s[0:3], 0 offset:204
	v_cmp_gt_u32_e32 vcc, 25, v0
	s_waitcnt vmcnt(0)
	ds_write_b64 v118, v[116:117]
	s_waitcnt lgkmcnt(0)
	; wave barrier
	s_waitcnt lgkmcnt(0)
	s_and_saveexec_b64 s[6:7], vcc
	s_cbranch_execz .LBB56_800
; %bb.791:
	s_and_b64 vcc, exec, s[4:5]
	s_cbranch_vccnz .LBB56_793
; %bb.792:
	buffer_load_dword v116, v119, s[0:3], 0 offen
	buffer_load_dword v117, v119, s[0:3], 0 offen offset:4
	ds_read_b64 v[120:121], v118
	s_waitcnt vmcnt(0) lgkmcnt(0)
	v_mul_f64 v[116:117], v[116:117], v[120:121]
	s_cbranch_execz .LBB56_794
	s_branch .LBB56_795
.LBB56_793:
                                        ; implicit-def: $vgpr116_vgpr117
.LBB56_794:
	ds_read_b64 v[116:117], v118
.LBB56_795:
	v_cmp_ne_u32_e32 vcc, 24, v0
	s_and_saveexec_b64 s[8:9], vcc
	s_cbranch_execz .LBB56_799
; %bb.796:
	v_mov_b32_e32 v121, 0
	v_add_u32_e32 v120, 0x1d8, v1
	v_add3_u32 v121, v1, v121, 8
	s_mov_b64 s[10:11], 0
	v_mov_b32_e32 v122, v0
.LBB56_797:                             ; =>This Inner Loop Header: Depth=1
	buffer_load_dword v124, v121, s[0:3], 0 offen
	buffer_load_dword v125, v121, s[0:3], 0 offen offset:4
	ds_read_b64 v[126:127], v120
	v_add_u32_e32 v122, 1, v122
	v_cmp_lt_u32_e32 vcc, 23, v122
	v_add_u32_e32 v120, 8, v120
	v_add_u32_e32 v121, 8, v121
	s_or_b64 s[10:11], vcc, s[10:11]
	s_waitcnt vmcnt(0) lgkmcnt(0)
	v_fmac_f64_e32 v[116:117], v[124:125], v[126:127]
	s_andn2_b64 exec, exec, s[10:11]
	s_cbranch_execnz .LBB56_797
; %bb.798:
	s_or_b64 exec, exec, s[10:11]
.LBB56_799:
	s_or_b64 exec, exec, s[8:9]
	v_mov_b32_e32 v120, 0
	ds_read_b64 v[120:121], v120 offset:200
	s_waitcnt lgkmcnt(0)
	v_mul_f64 v[116:117], v[116:117], v[120:121]
	buffer_store_dword v117, off, s[0:3], 0 offset:204
	buffer_store_dword v116, off, s[0:3], 0 offset:200
.LBB56_800:
	s_or_b64 exec, exec, s[6:7]
	buffer_load_dword v116, off, s[0:3], 0 offset:208
	buffer_load_dword v117, off, s[0:3], 0 offset:212
	v_cmp_gt_u32_e32 vcc, 26, v0
	s_waitcnt vmcnt(0)
	ds_write_b64 v118, v[116:117]
	s_waitcnt lgkmcnt(0)
	; wave barrier
	s_waitcnt lgkmcnt(0)
	s_and_saveexec_b64 s[6:7], vcc
	s_cbranch_execz .LBB56_810
; %bb.801:
	s_and_b64 vcc, exec, s[4:5]
	s_cbranch_vccnz .LBB56_803
; %bb.802:
	buffer_load_dword v116, v119, s[0:3], 0 offen
	buffer_load_dword v117, v119, s[0:3], 0 offen offset:4
	ds_read_b64 v[120:121], v118
	s_waitcnt vmcnt(0) lgkmcnt(0)
	v_mul_f64 v[116:117], v[116:117], v[120:121]
	s_cbranch_execz .LBB56_804
	s_branch .LBB56_805
.LBB56_803:
                                        ; implicit-def: $vgpr116_vgpr117
.LBB56_804:
	ds_read_b64 v[116:117], v118
.LBB56_805:
	v_cmp_ne_u32_e32 vcc, 25, v0
	s_and_saveexec_b64 s[8:9], vcc
	s_cbranch_execz .LBB56_809
; %bb.806:
	v_mov_b32_e32 v121, 0
	v_add_u32_e32 v120, 0x1d8, v1
	v_add3_u32 v121, v1, v121, 8
	s_mov_b64 s[10:11], 0
	v_mov_b32_e32 v122, v0
.LBB56_807:                             ; =>This Inner Loop Header: Depth=1
	buffer_load_dword v124, v121, s[0:3], 0 offen
	buffer_load_dword v125, v121, s[0:3], 0 offen offset:4
	ds_read_b64 v[126:127], v120
	v_add_u32_e32 v122, 1, v122
	v_cmp_lt_u32_e32 vcc, 24, v122
	v_add_u32_e32 v120, 8, v120
	v_add_u32_e32 v121, 8, v121
	s_or_b64 s[10:11], vcc, s[10:11]
	s_waitcnt vmcnt(0) lgkmcnt(0)
	v_fmac_f64_e32 v[116:117], v[124:125], v[126:127]
	s_andn2_b64 exec, exec, s[10:11]
	s_cbranch_execnz .LBB56_807
; %bb.808:
	s_or_b64 exec, exec, s[10:11]
.LBB56_809:
	s_or_b64 exec, exec, s[8:9]
	v_mov_b32_e32 v120, 0
	ds_read_b64 v[120:121], v120 offset:208
	s_waitcnt lgkmcnt(0)
	v_mul_f64 v[116:117], v[116:117], v[120:121]
	buffer_store_dword v117, off, s[0:3], 0 offset:212
	buffer_store_dword v116, off, s[0:3], 0 offset:208
.LBB56_810:
	s_or_b64 exec, exec, s[6:7]
	buffer_load_dword v116, off, s[0:3], 0 offset:216
	buffer_load_dword v117, off, s[0:3], 0 offset:220
	v_cmp_gt_u32_e32 vcc, 27, v0
	s_waitcnt vmcnt(0)
	ds_write_b64 v118, v[116:117]
	s_waitcnt lgkmcnt(0)
	; wave barrier
	s_waitcnt lgkmcnt(0)
	s_and_saveexec_b64 s[6:7], vcc
	s_cbranch_execz .LBB56_820
; %bb.811:
	s_and_b64 vcc, exec, s[4:5]
	s_cbranch_vccnz .LBB56_813
; %bb.812:
	buffer_load_dword v116, v119, s[0:3], 0 offen
	buffer_load_dword v117, v119, s[0:3], 0 offen offset:4
	ds_read_b64 v[120:121], v118
	s_waitcnt vmcnt(0) lgkmcnt(0)
	v_mul_f64 v[116:117], v[116:117], v[120:121]
	s_cbranch_execz .LBB56_814
	s_branch .LBB56_815
.LBB56_813:
                                        ; implicit-def: $vgpr116_vgpr117
.LBB56_814:
	ds_read_b64 v[116:117], v118
.LBB56_815:
	v_cmp_ne_u32_e32 vcc, 26, v0
	s_and_saveexec_b64 s[8:9], vcc
	s_cbranch_execz .LBB56_819
; %bb.816:
	v_mov_b32_e32 v121, 0
	v_add_u32_e32 v120, 0x1d8, v1
	v_add3_u32 v121, v1, v121, 8
	s_mov_b64 s[10:11], 0
	v_mov_b32_e32 v122, v0
.LBB56_817:                             ; =>This Inner Loop Header: Depth=1
	buffer_load_dword v124, v121, s[0:3], 0 offen
	buffer_load_dword v125, v121, s[0:3], 0 offen offset:4
	ds_read_b64 v[126:127], v120
	v_add_u32_e32 v122, 1, v122
	v_cmp_lt_u32_e32 vcc, 25, v122
	v_add_u32_e32 v120, 8, v120
	v_add_u32_e32 v121, 8, v121
	s_or_b64 s[10:11], vcc, s[10:11]
	s_waitcnt vmcnt(0) lgkmcnt(0)
	v_fmac_f64_e32 v[116:117], v[124:125], v[126:127]
	s_andn2_b64 exec, exec, s[10:11]
	s_cbranch_execnz .LBB56_817
; %bb.818:
	s_or_b64 exec, exec, s[10:11]
.LBB56_819:
	s_or_b64 exec, exec, s[8:9]
	v_mov_b32_e32 v120, 0
	ds_read_b64 v[120:121], v120 offset:216
	s_waitcnt lgkmcnt(0)
	v_mul_f64 v[116:117], v[116:117], v[120:121]
	buffer_store_dword v117, off, s[0:3], 0 offset:220
	buffer_store_dword v116, off, s[0:3], 0 offset:216
.LBB56_820:
	s_or_b64 exec, exec, s[6:7]
	buffer_load_dword v116, off, s[0:3], 0 offset:224
	buffer_load_dword v117, off, s[0:3], 0 offset:228
	v_cmp_gt_u32_e32 vcc, 28, v0
	s_waitcnt vmcnt(0)
	ds_write_b64 v118, v[116:117]
	s_waitcnt lgkmcnt(0)
	; wave barrier
	s_waitcnt lgkmcnt(0)
	s_and_saveexec_b64 s[6:7], vcc
	s_cbranch_execz .LBB56_830
; %bb.821:
	s_and_b64 vcc, exec, s[4:5]
	s_cbranch_vccnz .LBB56_823
; %bb.822:
	buffer_load_dword v116, v119, s[0:3], 0 offen
	buffer_load_dword v117, v119, s[0:3], 0 offen offset:4
	ds_read_b64 v[120:121], v118
	s_waitcnt vmcnt(0) lgkmcnt(0)
	v_mul_f64 v[116:117], v[116:117], v[120:121]
	s_cbranch_execz .LBB56_824
	s_branch .LBB56_825
.LBB56_823:
                                        ; implicit-def: $vgpr116_vgpr117
.LBB56_824:
	ds_read_b64 v[116:117], v118
.LBB56_825:
	v_cmp_ne_u32_e32 vcc, 27, v0
	s_and_saveexec_b64 s[8:9], vcc
	s_cbranch_execz .LBB56_829
; %bb.826:
	v_mov_b32_e32 v121, 0
	v_add_u32_e32 v120, 0x1d8, v1
	v_add3_u32 v121, v1, v121, 8
	s_mov_b64 s[10:11], 0
	v_mov_b32_e32 v122, v0
.LBB56_827:                             ; =>This Inner Loop Header: Depth=1
	buffer_load_dword v124, v121, s[0:3], 0 offen
	buffer_load_dword v125, v121, s[0:3], 0 offen offset:4
	ds_read_b64 v[126:127], v120
	v_add_u32_e32 v122, 1, v122
	v_cmp_lt_u32_e32 vcc, 26, v122
	v_add_u32_e32 v120, 8, v120
	v_add_u32_e32 v121, 8, v121
	s_or_b64 s[10:11], vcc, s[10:11]
	s_waitcnt vmcnt(0) lgkmcnt(0)
	v_fmac_f64_e32 v[116:117], v[124:125], v[126:127]
	s_andn2_b64 exec, exec, s[10:11]
	s_cbranch_execnz .LBB56_827
; %bb.828:
	s_or_b64 exec, exec, s[10:11]
.LBB56_829:
	s_or_b64 exec, exec, s[8:9]
	v_mov_b32_e32 v120, 0
	ds_read_b64 v[120:121], v120 offset:224
	s_waitcnt lgkmcnt(0)
	v_mul_f64 v[116:117], v[116:117], v[120:121]
	buffer_store_dword v117, off, s[0:3], 0 offset:228
	buffer_store_dword v116, off, s[0:3], 0 offset:224
.LBB56_830:
	s_or_b64 exec, exec, s[6:7]
	buffer_load_dword v116, off, s[0:3], 0 offset:232
	buffer_load_dword v117, off, s[0:3], 0 offset:236
	v_cmp_gt_u32_e32 vcc, 29, v0
	s_waitcnt vmcnt(0)
	ds_write_b64 v118, v[116:117]
	s_waitcnt lgkmcnt(0)
	; wave barrier
	s_waitcnt lgkmcnt(0)
	s_and_saveexec_b64 s[6:7], vcc
	s_cbranch_execz .LBB56_840
; %bb.831:
	s_and_b64 vcc, exec, s[4:5]
	s_cbranch_vccnz .LBB56_833
; %bb.832:
	buffer_load_dword v116, v119, s[0:3], 0 offen
	buffer_load_dword v117, v119, s[0:3], 0 offen offset:4
	ds_read_b64 v[120:121], v118
	s_waitcnt vmcnt(0) lgkmcnt(0)
	v_mul_f64 v[116:117], v[116:117], v[120:121]
	s_cbranch_execz .LBB56_834
	s_branch .LBB56_835
.LBB56_833:
                                        ; implicit-def: $vgpr116_vgpr117
.LBB56_834:
	ds_read_b64 v[116:117], v118
.LBB56_835:
	v_cmp_ne_u32_e32 vcc, 28, v0
	s_and_saveexec_b64 s[8:9], vcc
	s_cbranch_execz .LBB56_839
; %bb.836:
	v_mov_b32_e32 v121, 0
	v_add_u32_e32 v120, 0x1d8, v1
	v_add3_u32 v121, v1, v121, 8
	s_mov_b64 s[10:11], 0
	v_mov_b32_e32 v122, v0
.LBB56_837:                             ; =>This Inner Loop Header: Depth=1
	buffer_load_dword v124, v121, s[0:3], 0 offen
	buffer_load_dword v125, v121, s[0:3], 0 offen offset:4
	ds_read_b64 v[126:127], v120
	v_add_u32_e32 v122, 1, v122
	v_cmp_lt_u32_e32 vcc, 27, v122
	v_add_u32_e32 v120, 8, v120
	v_add_u32_e32 v121, 8, v121
	s_or_b64 s[10:11], vcc, s[10:11]
	s_waitcnt vmcnt(0) lgkmcnt(0)
	v_fmac_f64_e32 v[116:117], v[124:125], v[126:127]
	s_andn2_b64 exec, exec, s[10:11]
	s_cbranch_execnz .LBB56_837
; %bb.838:
	s_or_b64 exec, exec, s[10:11]
.LBB56_839:
	s_or_b64 exec, exec, s[8:9]
	v_mov_b32_e32 v120, 0
	ds_read_b64 v[120:121], v120 offset:232
	s_waitcnt lgkmcnt(0)
	v_mul_f64 v[116:117], v[116:117], v[120:121]
	buffer_store_dword v117, off, s[0:3], 0 offset:236
	buffer_store_dword v116, off, s[0:3], 0 offset:232
.LBB56_840:
	s_or_b64 exec, exec, s[6:7]
	buffer_load_dword v116, off, s[0:3], 0 offset:240
	buffer_load_dword v117, off, s[0:3], 0 offset:244
	v_cmp_gt_u32_e32 vcc, 30, v0
	s_waitcnt vmcnt(0)
	ds_write_b64 v118, v[116:117]
	s_waitcnt lgkmcnt(0)
	; wave barrier
	s_waitcnt lgkmcnt(0)
	s_and_saveexec_b64 s[6:7], vcc
	s_cbranch_execz .LBB56_850
; %bb.841:
	s_and_b64 vcc, exec, s[4:5]
	s_cbranch_vccnz .LBB56_843
; %bb.842:
	buffer_load_dword v116, v119, s[0:3], 0 offen
	buffer_load_dword v117, v119, s[0:3], 0 offen offset:4
	ds_read_b64 v[120:121], v118
	s_waitcnt vmcnt(0) lgkmcnt(0)
	v_mul_f64 v[116:117], v[116:117], v[120:121]
	s_cbranch_execz .LBB56_844
	s_branch .LBB56_845
.LBB56_843:
                                        ; implicit-def: $vgpr116_vgpr117
.LBB56_844:
	ds_read_b64 v[116:117], v118
.LBB56_845:
	v_cmp_ne_u32_e32 vcc, 29, v0
	s_and_saveexec_b64 s[8:9], vcc
	s_cbranch_execz .LBB56_849
; %bb.846:
	v_mov_b32_e32 v121, 0
	v_add_u32_e32 v120, 0x1d8, v1
	v_add3_u32 v121, v1, v121, 8
	s_mov_b64 s[10:11], 0
	v_mov_b32_e32 v122, v0
.LBB56_847:                             ; =>This Inner Loop Header: Depth=1
	buffer_load_dword v124, v121, s[0:3], 0 offen
	buffer_load_dword v125, v121, s[0:3], 0 offen offset:4
	ds_read_b64 v[126:127], v120
	v_add_u32_e32 v122, 1, v122
	v_cmp_lt_u32_e32 vcc, 28, v122
	v_add_u32_e32 v120, 8, v120
	v_add_u32_e32 v121, 8, v121
	s_or_b64 s[10:11], vcc, s[10:11]
	s_waitcnt vmcnt(0) lgkmcnt(0)
	v_fmac_f64_e32 v[116:117], v[124:125], v[126:127]
	s_andn2_b64 exec, exec, s[10:11]
	s_cbranch_execnz .LBB56_847
; %bb.848:
	s_or_b64 exec, exec, s[10:11]
.LBB56_849:
	s_or_b64 exec, exec, s[8:9]
	v_mov_b32_e32 v120, 0
	ds_read_b64 v[120:121], v120 offset:240
	s_waitcnt lgkmcnt(0)
	v_mul_f64 v[116:117], v[116:117], v[120:121]
	buffer_store_dword v117, off, s[0:3], 0 offset:244
	buffer_store_dword v116, off, s[0:3], 0 offset:240
.LBB56_850:
	s_or_b64 exec, exec, s[6:7]
	buffer_load_dword v116, off, s[0:3], 0 offset:248
	buffer_load_dword v117, off, s[0:3], 0 offset:252
	v_cmp_gt_u32_e32 vcc, 31, v0
	s_waitcnt vmcnt(0)
	ds_write_b64 v118, v[116:117]
	s_waitcnt lgkmcnt(0)
	; wave barrier
	s_waitcnt lgkmcnt(0)
	s_and_saveexec_b64 s[6:7], vcc
	s_cbranch_execz .LBB56_860
; %bb.851:
	s_and_b64 vcc, exec, s[4:5]
	s_cbranch_vccnz .LBB56_853
; %bb.852:
	buffer_load_dword v116, v119, s[0:3], 0 offen
	buffer_load_dword v117, v119, s[0:3], 0 offen offset:4
	ds_read_b64 v[120:121], v118
	s_waitcnt vmcnt(0) lgkmcnt(0)
	v_mul_f64 v[116:117], v[116:117], v[120:121]
	s_cbranch_execz .LBB56_854
	s_branch .LBB56_855
.LBB56_853:
                                        ; implicit-def: $vgpr116_vgpr117
.LBB56_854:
	ds_read_b64 v[116:117], v118
.LBB56_855:
	v_cmp_ne_u32_e32 vcc, 30, v0
	s_and_saveexec_b64 s[8:9], vcc
	s_cbranch_execz .LBB56_859
; %bb.856:
	v_mov_b32_e32 v121, 0
	v_add_u32_e32 v120, 0x1d8, v1
	v_add3_u32 v121, v1, v121, 8
	s_mov_b64 s[10:11], 0
	v_mov_b32_e32 v122, v0
.LBB56_857:                             ; =>This Inner Loop Header: Depth=1
	buffer_load_dword v124, v121, s[0:3], 0 offen
	buffer_load_dword v125, v121, s[0:3], 0 offen offset:4
	ds_read_b64 v[126:127], v120
	v_add_u32_e32 v122, 1, v122
	v_cmp_lt_u32_e32 vcc, 29, v122
	v_add_u32_e32 v120, 8, v120
	v_add_u32_e32 v121, 8, v121
	s_or_b64 s[10:11], vcc, s[10:11]
	s_waitcnt vmcnt(0) lgkmcnt(0)
	v_fmac_f64_e32 v[116:117], v[124:125], v[126:127]
	s_andn2_b64 exec, exec, s[10:11]
	s_cbranch_execnz .LBB56_857
; %bb.858:
	s_or_b64 exec, exec, s[10:11]
.LBB56_859:
	s_or_b64 exec, exec, s[8:9]
	v_mov_b32_e32 v120, 0
	ds_read_b64 v[120:121], v120 offset:248
	s_waitcnt lgkmcnt(0)
	v_mul_f64 v[116:117], v[116:117], v[120:121]
	buffer_store_dword v117, off, s[0:3], 0 offset:252
	buffer_store_dword v116, off, s[0:3], 0 offset:248
.LBB56_860:
	s_or_b64 exec, exec, s[6:7]
	buffer_load_dword v116, off, s[0:3], 0 offset:256
	buffer_load_dword v117, off, s[0:3], 0 offset:260
	v_cmp_gt_u32_e32 vcc, 32, v0
	s_waitcnt vmcnt(0)
	ds_write_b64 v118, v[116:117]
	s_waitcnt lgkmcnt(0)
	; wave barrier
	s_waitcnt lgkmcnt(0)
	s_and_saveexec_b64 s[6:7], vcc
	s_cbranch_execz .LBB56_870
; %bb.861:
	s_and_b64 vcc, exec, s[4:5]
	s_cbranch_vccnz .LBB56_863
; %bb.862:
	buffer_load_dword v116, v119, s[0:3], 0 offen
	buffer_load_dword v117, v119, s[0:3], 0 offen offset:4
	ds_read_b64 v[120:121], v118
	s_waitcnt vmcnt(0) lgkmcnt(0)
	v_mul_f64 v[116:117], v[116:117], v[120:121]
	s_cbranch_execz .LBB56_864
	s_branch .LBB56_865
.LBB56_863:
                                        ; implicit-def: $vgpr116_vgpr117
.LBB56_864:
	ds_read_b64 v[116:117], v118
.LBB56_865:
	v_cmp_ne_u32_e32 vcc, 31, v0
	s_and_saveexec_b64 s[8:9], vcc
	s_cbranch_execz .LBB56_869
; %bb.866:
	v_mov_b32_e32 v121, 0
	v_add_u32_e32 v120, 0x1d8, v1
	v_add3_u32 v121, v1, v121, 8
	s_mov_b64 s[10:11], 0
	v_mov_b32_e32 v122, v0
.LBB56_867:                             ; =>This Inner Loop Header: Depth=1
	buffer_load_dword v124, v121, s[0:3], 0 offen
	buffer_load_dword v125, v121, s[0:3], 0 offen offset:4
	ds_read_b64 v[126:127], v120
	v_add_u32_e32 v122, 1, v122
	v_cmp_lt_u32_e32 vcc, 30, v122
	v_add_u32_e32 v120, 8, v120
	v_add_u32_e32 v121, 8, v121
	s_or_b64 s[10:11], vcc, s[10:11]
	s_waitcnt vmcnt(0) lgkmcnt(0)
	v_fmac_f64_e32 v[116:117], v[124:125], v[126:127]
	s_andn2_b64 exec, exec, s[10:11]
	s_cbranch_execnz .LBB56_867
; %bb.868:
	s_or_b64 exec, exec, s[10:11]
.LBB56_869:
	s_or_b64 exec, exec, s[8:9]
	v_mov_b32_e32 v120, 0
	ds_read_b64 v[120:121], v120 offset:256
	s_waitcnt lgkmcnt(0)
	v_mul_f64 v[116:117], v[116:117], v[120:121]
	buffer_store_dword v117, off, s[0:3], 0 offset:260
	buffer_store_dword v116, off, s[0:3], 0 offset:256
.LBB56_870:
	s_or_b64 exec, exec, s[6:7]
	buffer_load_dword v116, off, s[0:3], 0 offset:264
	buffer_load_dword v117, off, s[0:3], 0 offset:268
	v_cmp_gt_u32_e32 vcc, 33, v0
	s_waitcnt vmcnt(0)
	ds_write_b64 v118, v[116:117]
	s_waitcnt lgkmcnt(0)
	; wave barrier
	s_waitcnt lgkmcnt(0)
	s_and_saveexec_b64 s[6:7], vcc
	s_cbranch_execz .LBB56_880
; %bb.871:
	s_and_b64 vcc, exec, s[4:5]
	s_cbranch_vccnz .LBB56_873
; %bb.872:
	buffer_load_dword v116, v119, s[0:3], 0 offen
	buffer_load_dword v117, v119, s[0:3], 0 offen offset:4
	ds_read_b64 v[120:121], v118
	s_waitcnt vmcnt(0) lgkmcnt(0)
	v_mul_f64 v[116:117], v[116:117], v[120:121]
	s_cbranch_execz .LBB56_874
	s_branch .LBB56_875
.LBB56_873:
                                        ; implicit-def: $vgpr116_vgpr117
.LBB56_874:
	ds_read_b64 v[116:117], v118
.LBB56_875:
	v_cmp_ne_u32_e32 vcc, 32, v0
	s_and_saveexec_b64 s[8:9], vcc
	s_cbranch_execz .LBB56_879
; %bb.876:
	v_mov_b32_e32 v121, 0
	v_add_u32_e32 v120, 0x1d8, v1
	v_add3_u32 v121, v1, v121, 8
	s_mov_b64 s[10:11], 0
	v_mov_b32_e32 v122, v0
.LBB56_877:                             ; =>This Inner Loop Header: Depth=1
	buffer_load_dword v124, v121, s[0:3], 0 offen
	buffer_load_dword v125, v121, s[0:3], 0 offen offset:4
	ds_read_b64 v[126:127], v120
	v_add_u32_e32 v122, 1, v122
	v_cmp_lt_u32_e32 vcc, 31, v122
	v_add_u32_e32 v120, 8, v120
	v_add_u32_e32 v121, 8, v121
	s_or_b64 s[10:11], vcc, s[10:11]
	s_waitcnt vmcnt(0) lgkmcnt(0)
	v_fmac_f64_e32 v[116:117], v[124:125], v[126:127]
	s_andn2_b64 exec, exec, s[10:11]
	s_cbranch_execnz .LBB56_877
; %bb.878:
	s_or_b64 exec, exec, s[10:11]
.LBB56_879:
	s_or_b64 exec, exec, s[8:9]
	v_mov_b32_e32 v120, 0
	ds_read_b64 v[120:121], v120 offset:264
	s_waitcnt lgkmcnt(0)
	v_mul_f64 v[116:117], v[116:117], v[120:121]
	buffer_store_dword v117, off, s[0:3], 0 offset:268
	buffer_store_dword v116, off, s[0:3], 0 offset:264
.LBB56_880:
	s_or_b64 exec, exec, s[6:7]
	buffer_load_dword v116, off, s[0:3], 0 offset:272
	buffer_load_dword v117, off, s[0:3], 0 offset:276
	v_cmp_gt_u32_e32 vcc, 34, v0
	s_waitcnt vmcnt(0)
	ds_write_b64 v118, v[116:117]
	s_waitcnt lgkmcnt(0)
	; wave barrier
	s_waitcnt lgkmcnt(0)
	s_and_saveexec_b64 s[6:7], vcc
	s_cbranch_execz .LBB56_890
; %bb.881:
	s_and_b64 vcc, exec, s[4:5]
	s_cbranch_vccnz .LBB56_883
; %bb.882:
	buffer_load_dword v116, v119, s[0:3], 0 offen
	buffer_load_dword v117, v119, s[0:3], 0 offen offset:4
	ds_read_b64 v[120:121], v118
	s_waitcnt vmcnt(0) lgkmcnt(0)
	v_mul_f64 v[116:117], v[116:117], v[120:121]
	s_cbranch_execz .LBB56_884
	s_branch .LBB56_885
.LBB56_883:
                                        ; implicit-def: $vgpr116_vgpr117
.LBB56_884:
	ds_read_b64 v[116:117], v118
.LBB56_885:
	v_cmp_ne_u32_e32 vcc, 33, v0
	s_and_saveexec_b64 s[8:9], vcc
	s_cbranch_execz .LBB56_889
; %bb.886:
	v_mov_b32_e32 v121, 0
	v_add_u32_e32 v120, 0x1d8, v1
	v_add3_u32 v121, v1, v121, 8
	s_mov_b64 s[10:11], 0
	v_mov_b32_e32 v122, v0
.LBB56_887:                             ; =>This Inner Loop Header: Depth=1
	buffer_load_dword v124, v121, s[0:3], 0 offen
	buffer_load_dword v125, v121, s[0:3], 0 offen offset:4
	ds_read_b64 v[126:127], v120
	v_add_u32_e32 v122, 1, v122
	v_cmp_lt_u32_e32 vcc, 32, v122
	v_add_u32_e32 v120, 8, v120
	v_add_u32_e32 v121, 8, v121
	s_or_b64 s[10:11], vcc, s[10:11]
	s_waitcnt vmcnt(0) lgkmcnt(0)
	v_fmac_f64_e32 v[116:117], v[124:125], v[126:127]
	s_andn2_b64 exec, exec, s[10:11]
	s_cbranch_execnz .LBB56_887
; %bb.888:
	s_or_b64 exec, exec, s[10:11]
.LBB56_889:
	s_or_b64 exec, exec, s[8:9]
	v_mov_b32_e32 v120, 0
	ds_read_b64 v[120:121], v120 offset:272
	s_waitcnt lgkmcnt(0)
	v_mul_f64 v[116:117], v[116:117], v[120:121]
	buffer_store_dword v117, off, s[0:3], 0 offset:276
	buffer_store_dword v116, off, s[0:3], 0 offset:272
.LBB56_890:
	s_or_b64 exec, exec, s[6:7]
	buffer_load_dword v116, off, s[0:3], 0 offset:280
	buffer_load_dword v117, off, s[0:3], 0 offset:284
	v_cmp_gt_u32_e32 vcc, 35, v0
	s_waitcnt vmcnt(0)
	ds_write_b64 v118, v[116:117]
	s_waitcnt lgkmcnt(0)
	; wave barrier
	s_waitcnt lgkmcnt(0)
	s_and_saveexec_b64 s[6:7], vcc
	s_cbranch_execz .LBB56_900
; %bb.891:
	s_and_b64 vcc, exec, s[4:5]
	s_cbranch_vccnz .LBB56_893
; %bb.892:
	buffer_load_dword v116, v119, s[0:3], 0 offen
	buffer_load_dword v117, v119, s[0:3], 0 offen offset:4
	ds_read_b64 v[120:121], v118
	s_waitcnt vmcnt(0) lgkmcnt(0)
	v_mul_f64 v[116:117], v[116:117], v[120:121]
	s_cbranch_execz .LBB56_894
	s_branch .LBB56_895
.LBB56_893:
                                        ; implicit-def: $vgpr116_vgpr117
.LBB56_894:
	ds_read_b64 v[116:117], v118
.LBB56_895:
	v_cmp_ne_u32_e32 vcc, 34, v0
	s_and_saveexec_b64 s[8:9], vcc
	s_cbranch_execz .LBB56_899
; %bb.896:
	v_mov_b32_e32 v121, 0
	v_add_u32_e32 v120, 0x1d8, v1
	v_add3_u32 v121, v1, v121, 8
	s_mov_b64 s[10:11], 0
	v_mov_b32_e32 v122, v0
.LBB56_897:                             ; =>This Inner Loop Header: Depth=1
	buffer_load_dword v124, v121, s[0:3], 0 offen
	buffer_load_dword v125, v121, s[0:3], 0 offen offset:4
	ds_read_b64 v[126:127], v120
	v_add_u32_e32 v122, 1, v122
	v_cmp_lt_u32_e32 vcc, 33, v122
	v_add_u32_e32 v120, 8, v120
	v_add_u32_e32 v121, 8, v121
	s_or_b64 s[10:11], vcc, s[10:11]
	s_waitcnt vmcnt(0) lgkmcnt(0)
	v_fmac_f64_e32 v[116:117], v[124:125], v[126:127]
	s_andn2_b64 exec, exec, s[10:11]
	s_cbranch_execnz .LBB56_897
; %bb.898:
	s_or_b64 exec, exec, s[10:11]
.LBB56_899:
	s_or_b64 exec, exec, s[8:9]
	v_mov_b32_e32 v120, 0
	ds_read_b64 v[120:121], v120 offset:280
	s_waitcnt lgkmcnt(0)
	v_mul_f64 v[116:117], v[116:117], v[120:121]
	buffer_store_dword v117, off, s[0:3], 0 offset:284
	buffer_store_dword v116, off, s[0:3], 0 offset:280
.LBB56_900:
	s_or_b64 exec, exec, s[6:7]
	buffer_load_dword v116, off, s[0:3], 0 offset:288
	buffer_load_dword v117, off, s[0:3], 0 offset:292
	v_cmp_gt_u32_e32 vcc, 36, v0
	s_waitcnt vmcnt(0)
	ds_write_b64 v118, v[116:117]
	s_waitcnt lgkmcnt(0)
	; wave barrier
	s_waitcnt lgkmcnt(0)
	s_and_saveexec_b64 s[6:7], vcc
	s_cbranch_execz .LBB56_910
; %bb.901:
	s_and_b64 vcc, exec, s[4:5]
	s_cbranch_vccnz .LBB56_903
; %bb.902:
	buffer_load_dword v116, v119, s[0:3], 0 offen
	buffer_load_dword v117, v119, s[0:3], 0 offen offset:4
	ds_read_b64 v[120:121], v118
	s_waitcnt vmcnt(0) lgkmcnt(0)
	v_mul_f64 v[116:117], v[116:117], v[120:121]
	s_cbranch_execz .LBB56_904
	s_branch .LBB56_905
.LBB56_903:
                                        ; implicit-def: $vgpr116_vgpr117
.LBB56_904:
	ds_read_b64 v[116:117], v118
.LBB56_905:
	v_cmp_ne_u32_e32 vcc, 35, v0
	s_and_saveexec_b64 s[8:9], vcc
	s_cbranch_execz .LBB56_909
; %bb.906:
	v_mov_b32_e32 v121, 0
	v_add_u32_e32 v120, 0x1d8, v1
	v_add3_u32 v121, v1, v121, 8
	s_mov_b64 s[10:11], 0
	v_mov_b32_e32 v122, v0
.LBB56_907:                             ; =>This Inner Loop Header: Depth=1
	buffer_load_dword v124, v121, s[0:3], 0 offen
	buffer_load_dword v125, v121, s[0:3], 0 offen offset:4
	ds_read_b64 v[126:127], v120
	v_add_u32_e32 v122, 1, v122
	v_cmp_lt_u32_e32 vcc, 34, v122
	v_add_u32_e32 v120, 8, v120
	v_add_u32_e32 v121, 8, v121
	s_or_b64 s[10:11], vcc, s[10:11]
	s_waitcnt vmcnt(0) lgkmcnt(0)
	v_fmac_f64_e32 v[116:117], v[124:125], v[126:127]
	s_andn2_b64 exec, exec, s[10:11]
	s_cbranch_execnz .LBB56_907
; %bb.908:
	s_or_b64 exec, exec, s[10:11]
.LBB56_909:
	s_or_b64 exec, exec, s[8:9]
	v_mov_b32_e32 v120, 0
	ds_read_b64 v[120:121], v120 offset:288
	s_waitcnt lgkmcnt(0)
	v_mul_f64 v[116:117], v[116:117], v[120:121]
	buffer_store_dword v117, off, s[0:3], 0 offset:292
	buffer_store_dword v116, off, s[0:3], 0 offset:288
.LBB56_910:
	s_or_b64 exec, exec, s[6:7]
	buffer_load_dword v116, off, s[0:3], 0 offset:296
	buffer_load_dword v117, off, s[0:3], 0 offset:300
	v_cmp_gt_u32_e32 vcc, 37, v0
	s_waitcnt vmcnt(0)
	ds_write_b64 v118, v[116:117]
	s_waitcnt lgkmcnt(0)
	; wave barrier
	s_waitcnt lgkmcnt(0)
	s_and_saveexec_b64 s[6:7], vcc
	s_cbranch_execz .LBB56_920
; %bb.911:
	s_and_b64 vcc, exec, s[4:5]
	s_cbranch_vccnz .LBB56_913
; %bb.912:
	buffer_load_dword v116, v119, s[0:3], 0 offen
	buffer_load_dword v117, v119, s[0:3], 0 offen offset:4
	ds_read_b64 v[120:121], v118
	s_waitcnt vmcnt(0) lgkmcnt(0)
	v_mul_f64 v[116:117], v[116:117], v[120:121]
	s_cbranch_execz .LBB56_914
	s_branch .LBB56_915
.LBB56_913:
                                        ; implicit-def: $vgpr116_vgpr117
.LBB56_914:
	ds_read_b64 v[116:117], v118
.LBB56_915:
	v_cmp_ne_u32_e32 vcc, 36, v0
	s_and_saveexec_b64 s[8:9], vcc
	s_cbranch_execz .LBB56_919
; %bb.916:
	v_mov_b32_e32 v121, 0
	v_add_u32_e32 v120, 0x1d8, v1
	v_add3_u32 v121, v1, v121, 8
	s_mov_b64 s[10:11], 0
	v_mov_b32_e32 v122, v0
.LBB56_917:                             ; =>This Inner Loop Header: Depth=1
	buffer_load_dword v124, v121, s[0:3], 0 offen
	buffer_load_dword v125, v121, s[0:3], 0 offen offset:4
	ds_read_b64 v[126:127], v120
	v_add_u32_e32 v122, 1, v122
	v_cmp_lt_u32_e32 vcc, 35, v122
	v_add_u32_e32 v120, 8, v120
	v_add_u32_e32 v121, 8, v121
	s_or_b64 s[10:11], vcc, s[10:11]
	s_waitcnt vmcnt(0) lgkmcnt(0)
	v_fmac_f64_e32 v[116:117], v[124:125], v[126:127]
	s_andn2_b64 exec, exec, s[10:11]
	s_cbranch_execnz .LBB56_917
; %bb.918:
	s_or_b64 exec, exec, s[10:11]
.LBB56_919:
	s_or_b64 exec, exec, s[8:9]
	v_mov_b32_e32 v120, 0
	ds_read_b64 v[120:121], v120 offset:296
	s_waitcnt lgkmcnt(0)
	v_mul_f64 v[116:117], v[116:117], v[120:121]
	buffer_store_dword v117, off, s[0:3], 0 offset:300
	buffer_store_dword v116, off, s[0:3], 0 offset:296
.LBB56_920:
	s_or_b64 exec, exec, s[6:7]
	buffer_load_dword v116, off, s[0:3], 0 offset:304
	buffer_load_dword v117, off, s[0:3], 0 offset:308
	v_cmp_gt_u32_e32 vcc, 38, v0
	s_waitcnt vmcnt(0)
	ds_write_b64 v118, v[116:117]
	s_waitcnt lgkmcnt(0)
	; wave barrier
	s_waitcnt lgkmcnt(0)
	s_and_saveexec_b64 s[6:7], vcc
	s_cbranch_execz .LBB56_930
; %bb.921:
	s_and_b64 vcc, exec, s[4:5]
	s_cbranch_vccnz .LBB56_923
; %bb.922:
	buffer_load_dword v116, v119, s[0:3], 0 offen
	buffer_load_dword v117, v119, s[0:3], 0 offen offset:4
	ds_read_b64 v[120:121], v118
	s_waitcnt vmcnt(0) lgkmcnt(0)
	v_mul_f64 v[116:117], v[116:117], v[120:121]
	s_cbranch_execz .LBB56_924
	s_branch .LBB56_925
.LBB56_923:
                                        ; implicit-def: $vgpr116_vgpr117
.LBB56_924:
	ds_read_b64 v[116:117], v118
.LBB56_925:
	v_cmp_ne_u32_e32 vcc, 37, v0
	s_and_saveexec_b64 s[8:9], vcc
	s_cbranch_execz .LBB56_929
; %bb.926:
	v_mov_b32_e32 v121, 0
	v_add_u32_e32 v120, 0x1d8, v1
	v_add3_u32 v121, v1, v121, 8
	s_mov_b64 s[10:11], 0
	v_mov_b32_e32 v122, v0
.LBB56_927:                             ; =>This Inner Loop Header: Depth=1
	buffer_load_dword v124, v121, s[0:3], 0 offen
	buffer_load_dword v125, v121, s[0:3], 0 offen offset:4
	ds_read_b64 v[126:127], v120
	v_add_u32_e32 v122, 1, v122
	v_cmp_lt_u32_e32 vcc, 36, v122
	v_add_u32_e32 v120, 8, v120
	v_add_u32_e32 v121, 8, v121
	s_or_b64 s[10:11], vcc, s[10:11]
	s_waitcnt vmcnt(0) lgkmcnt(0)
	v_fmac_f64_e32 v[116:117], v[124:125], v[126:127]
	s_andn2_b64 exec, exec, s[10:11]
	s_cbranch_execnz .LBB56_927
; %bb.928:
	s_or_b64 exec, exec, s[10:11]
.LBB56_929:
	s_or_b64 exec, exec, s[8:9]
	v_mov_b32_e32 v120, 0
	ds_read_b64 v[120:121], v120 offset:304
	s_waitcnt lgkmcnt(0)
	v_mul_f64 v[116:117], v[116:117], v[120:121]
	buffer_store_dword v117, off, s[0:3], 0 offset:308
	buffer_store_dword v116, off, s[0:3], 0 offset:304
.LBB56_930:
	s_or_b64 exec, exec, s[6:7]
	buffer_load_dword v116, off, s[0:3], 0 offset:312
	buffer_load_dword v117, off, s[0:3], 0 offset:316
	v_cmp_gt_u32_e32 vcc, 39, v0
	s_waitcnt vmcnt(0)
	ds_write_b64 v118, v[116:117]
	s_waitcnt lgkmcnt(0)
	; wave barrier
	s_waitcnt lgkmcnt(0)
	s_and_saveexec_b64 s[6:7], vcc
	s_cbranch_execz .LBB56_940
; %bb.931:
	s_and_b64 vcc, exec, s[4:5]
	s_cbranch_vccnz .LBB56_933
; %bb.932:
	buffer_load_dword v116, v119, s[0:3], 0 offen
	buffer_load_dword v117, v119, s[0:3], 0 offen offset:4
	ds_read_b64 v[120:121], v118
	s_waitcnt vmcnt(0) lgkmcnt(0)
	v_mul_f64 v[116:117], v[116:117], v[120:121]
	s_cbranch_execz .LBB56_934
	s_branch .LBB56_935
.LBB56_933:
                                        ; implicit-def: $vgpr116_vgpr117
.LBB56_934:
	ds_read_b64 v[116:117], v118
.LBB56_935:
	v_cmp_ne_u32_e32 vcc, 38, v0
	s_and_saveexec_b64 s[8:9], vcc
	s_cbranch_execz .LBB56_939
; %bb.936:
	v_mov_b32_e32 v121, 0
	v_add_u32_e32 v120, 0x1d8, v1
	v_add3_u32 v121, v1, v121, 8
	s_mov_b64 s[10:11], 0
	v_mov_b32_e32 v122, v0
.LBB56_937:                             ; =>This Inner Loop Header: Depth=1
	buffer_load_dword v124, v121, s[0:3], 0 offen
	buffer_load_dword v125, v121, s[0:3], 0 offen offset:4
	ds_read_b64 v[126:127], v120
	v_add_u32_e32 v122, 1, v122
	v_cmp_lt_u32_e32 vcc, 37, v122
	v_add_u32_e32 v120, 8, v120
	v_add_u32_e32 v121, 8, v121
	s_or_b64 s[10:11], vcc, s[10:11]
	s_waitcnt vmcnt(0) lgkmcnt(0)
	v_fmac_f64_e32 v[116:117], v[124:125], v[126:127]
	s_andn2_b64 exec, exec, s[10:11]
	s_cbranch_execnz .LBB56_937
; %bb.938:
	s_or_b64 exec, exec, s[10:11]
.LBB56_939:
	s_or_b64 exec, exec, s[8:9]
	v_mov_b32_e32 v120, 0
	ds_read_b64 v[120:121], v120 offset:312
	s_waitcnt lgkmcnt(0)
	v_mul_f64 v[116:117], v[116:117], v[120:121]
	buffer_store_dword v117, off, s[0:3], 0 offset:316
	buffer_store_dword v116, off, s[0:3], 0 offset:312
.LBB56_940:
	s_or_b64 exec, exec, s[6:7]
	buffer_load_dword v116, off, s[0:3], 0 offset:320
	buffer_load_dword v117, off, s[0:3], 0 offset:324
	v_cmp_gt_u32_e32 vcc, 40, v0
	s_waitcnt vmcnt(0)
	ds_write_b64 v118, v[116:117]
	s_waitcnt lgkmcnt(0)
	; wave barrier
	s_waitcnt lgkmcnt(0)
	s_and_saveexec_b64 s[6:7], vcc
	s_cbranch_execz .LBB56_950
; %bb.941:
	s_and_b64 vcc, exec, s[4:5]
	s_cbranch_vccnz .LBB56_943
; %bb.942:
	buffer_load_dword v116, v119, s[0:3], 0 offen
	buffer_load_dword v117, v119, s[0:3], 0 offen offset:4
	ds_read_b64 v[120:121], v118
	s_waitcnt vmcnt(0) lgkmcnt(0)
	v_mul_f64 v[116:117], v[116:117], v[120:121]
	s_cbranch_execz .LBB56_944
	s_branch .LBB56_945
.LBB56_943:
                                        ; implicit-def: $vgpr116_vgpr117
.LBB56_944:
	ds_read_b64 v[116:117], v118
.LBB56_945:
	v_cmp_ne_u32_e32 vcc, 39, v0
	s_and_saveexec_b64 s[8:9], vcc
	s_cbranch_execz .LBB56_949
; %bb.946:
	v_mov_b32_e32 v121, 0
	v_add_u32_e32 v120, 0x1d8, v1
	v_add3_u32 v121, v1, v121, 8
	s_mov_b64 s[10:11], 0
	v_mov_b32_e32 v122, v0
.LBB56_947:                             ; =>This Inner Loop Header: Depth=1
	buffer_load_dword v124, v121, s[0:3], 0 offen
	buffer_load_dword v125, v121, s[0:3], 0 offen offset:4
	ds_read_b64 v[126:127], v120
	v_add_u32_e32 v122, 1, v122
	v_cmp_lt_u32_e32 vcc, 38, v122
	v_add_u32_e32 v120, 8, v120
	v_add_u32_e32 v121, 8, v121
	s_or_b64 s[10:11], vcc, s[10:11]
	s_waitcnt vmcnt(0) lgkmcnt(0)
	v_fmac_f64_e32 v[116:117], v[124:125], v[126:127]
	s_andn2_b64 exec, exec, s[10:11]
	s_cbranch_execnz .LBB56_947
; %bb.948:
	s_or_b64 exec, exec, s[10:11]
.LBB56_949:
	s_or_b64 exec, exec, s[8:9]
	v_mov_b32_e32 v120, 0
	ds_read_b64 v[120:121], v120 offset:320
	s_waitcnt lgkmcnt(0)
	v_mul_f64 v[116:117], v[116:117], v[120:121]
	buffer_store_dword v117, off, s[0:3], 0 offset:324
	buffer_store_dword v116, off, s[0:3], 0 offset:320
.LBB56_950:
	s_or_b64 exec, exec, s[6:7]
	buffer_load_dword v116, off, s[0:3], 0 offset:328
	buffer_load_dword v117, off, s[0:3], 0 offset:332
	v_cmp_gt_u32_e32 vcc, 41, v0
	s_waitcnt vmcnt(0)
	ds_write_b64 v118, v[116:117]
	s_waitcnt lgkmcnt(0)
	; wave barrier
	s_waitcnt lgkmcnt(0)
	s_and_saveexec_b64 s[6:7], vcc
	s_cbranch_execz .LBB56_960
; %bb.951:
	s_and_b64 vcc, exec, s[4:5]
	s_cbranch_vccnz .LBB56_953
; %bb.952:
	buffer_load_dword v116, v119, s[0:3], 0 offen
	buffer_load_dword v117, v119, s[0:3], 0 offen offset:4
	ds_read_b64 v[120:121], v118
	s_waitcnt vmcnt(0) lgkmcnt(0)
	v_mul_f64 v[116:117], v[116:117], v[120:121]
	s_cbranch_execz .LBB56_954
	s_branch .LBB56_955
.LBB56_953:
                                        ; implicit-def: $vgpr116_vgpr117
.LBB56_954:
	ds_read_b64 v[116:117], v118
.LBB56_955:
	v_cmp_ne_u32_e32 vcc, 40, v0
	s_and_saveexec_b64 s[8:9], vcc
	s_cbranch_execz .LBB56_959
; %bb.956:
	v_mov_b32_e32 v121, 0
	v_add_u32_e32 v120, 0x1d8, v1
	v_add3_u32 v121, v1, v121, 8
	s_mov_b64 s[10:11], 0
	v_mov_b32_e32 v122, v0
.LBB56_957:                             ; =>This Inner Loop Header: Depth=1
	buffer_load_dword v124, v121, s[0:3], 0 offen
	buffer_load_dword v125, v121, s[0:3], 0 offen offset:4
	ds_read_b64 v[126:127], v120
	v_add_u32_e32 v122, 1, v122
	v_cmp_lt_u32_e32 vcc, 39, v122
	v_add_u32_e32 v120, 8, v120
	v_add_u32_e32 v121, 8, v121
	s_or_b64 s[10:11], vcc, s[10:11]
	s_waitcnt vmcnt(0) lgkmcnt(0)
	v_fmac_f64_e32 v[116:117], v[124:125], v[126:127]
	s_andn2_b64 exec, exec, s[10:11]
	s_cbranch_execnz .LBB56_957
; %bb.958:
	s_or_b64 exec, exec, s[10:11]
.LBB56_959:
	s_or_b64 exec, exec, s[8:9]
	v_mov_b32_e32 v120, 0
	ds_read_b64 v[120:121], v120 offset:328
	s_waitcnt lgkmcnt(0)
	v_mul_f64 v[116:117], v[116:117], v[120:121]
	buffer_store_dword v117, off, s[0:3], 0 offset:332
	buffer_store_dword v116, off, s[0:3], 0 offset:328
.LBB56_960:
	s_or_b64 exec, exec, s[6:7]
	buffer_load_dword v116, off, s[0:3], 0 offset:336
	buffer_load_dword v117, off, s[0:3], 0 offset:340
	v_cmp_gt_u32_e32 vcc, 42, v0
	s_waitcnt vmcnt(0)
	ds_write_b64 v118, v[116:117]
	s_waitcnt lgkmcnt(0)
	; wave barrier
	s_waitcnt lgkmcnt(0)
	s_and_saveexec_b64 s[6:7], vcc
	s_cbranch_execz .LBB56_970
; %bb.961:
	s_and_b64 vcc, exec, s[4:5]
	s_cbranch_vccnz .LBB56_963
; %bb.962:
	buffer_load_dword v116, v119, s[0:3], 0 offen
	buffer_load_dword v117, v119, s[0:3], 0 offen offset:4
	ds_read_b64 v[120:121], v118
	s_waitcnt vmcnt(0) lgkmcnt(0)
	v_mul_f64 v[116:117], v[116:117], v[120:121]
	s_cbranch_execz .LBB56_964
	s_branch .LBB56_965
.LBB56_963:
                                        ; implicit-def: $vgpr116_vgpr117
.LBB56_964:
	ds_read_b64 v[116:117], v118
.LBB56_965:
	v_cmp_ne_u32_e32 vcc, 41, v0
	s_and_saveexec_b64 s[8:9], vcc
	s_cbranch_execz .LBB56_969
; %bb.966:
	v_mov_b32_e32 v121, 0
	v_add_u32_e32 v120, 0x1d8, v1
	v_add3_u32 v121, v1, v121, 8
	s_mov_b64 s[10:11], 0
	v_mov_b32_e32 v122, v0
.LBB56_967:                             ; =>This Inner Loop Header: Depth=1
	buffer_load_dword v124, v121, s[0:3], 0 offen
	buffer_load_dword v125, v121, s[0:3], 0 offen offset:4
	ds_read_b64 v[126:127], v120
	v_add_u32_e32 v122, 1, v122
	v_cmp_lt_u32_e32 vcc, 40, v122
	v_add_u32_e32 v120, 8, v120
	v_add_u32_e32 v121, 8, v121
	s_or_b64 s[10:11], vcc, s[10:11]
	s_waitcnt vmcnt(0) lgkmcnt(0)
	v_fmac_f64_e32 v[116:117], v[124:125], v[126:127]
	s_andn2_b64 exec, exec, s[10:11]
	s_cbranch_execnz .LBB56_967
; %bb.968:
	s_or_b64 exec, exec, s[10:11]
.LBB56_969:
	s_or_b64 exec, exec, s[8:9]
	v_mov_b32_e32 v120, 0
	ds_read_b64 v[120:121], v120 offset:336
	s_waitcnt lgkmcnt(0)
	v_mul_f64 v[116:117], v[116:117], v[120:121]
	buffer_store_dword v117, off, s[0:3], 0 offset:340
	buffer_store_dword v116, off, s[0:3], 0 offset:336
.LBB56_970:
	s_or_b64 exec, exec, s[6:7]
	buffer_load_dword v116, off, s[0:3], 0 offset:344
	buffer_load_dword v117, off, s[0:3], 0 offset:348
	v_cmp_gt_u32_e32 vcc, 43, v0
	s_waitcnt vmcnt(0)
	ds_write_b64 v118, v[116:117]
	s_waitcnt lgkmcnt(0)
	; wave barrier
	s_waitcnt lgkmcnt(0)
	s_and_saveexec_b64 s[6:7], vcc
	s_cbranch_execz .LBB56_980
; %bb.971:
	s_and_b64 vcc, exec, s[4:5]
	s_cbranch_vccnz .LBB56_973
; %bb.972:
	buffer_load_dword v116, v119, s[0:3], 0 offen
	buffer_load_dword v117, v119, s[0:3], 0 offen offset:4
	ds_read_b64 v[120:121], v118
	s_waitcnt vmcnt(0) lgkmcnt(0)
	v_mul_f64 v[116:117], v[116:117], v[120:121]
	s_cbranch_execz .LBB56_974
	s_branch .LBB56_975
.LBB56_973:
                                        ; implicit-def: $vgpr116_vgpr117
.LBB56_974:
	ds_read_b64 v[116:117], v118
.LBB56_975:
	v_cmp_ne_u32_e32 vcc, 42, v0
	s_and_saveexec_b64 s[8:9], vcc
	s_cbranch_execz .LBB56_979
; %bb.976:
	v_mov_b32_e32 v121, 0
	v_add_u32_e32 v120, 0x1d8, v1
	v_add3_u32 v121, v1, v121, 8
	s_mov_b64 s[10:11], 0
	v_mov_b32_e32 v122, v0
.LBB56_977:                             ; =>This Inner Loop Header: Depth=1
	buffer_load_dword v124, v121, s[0:3], 0 offen
	buffer_load_dword v125, v121, s[0:3], 0 offen offset:4
	ds_read_b64 v[126:127], v120
	v_add_u32_e32 v122, 1, v122
	v_cmp_lt_u32_e32 vcc, 41, v122
	v_add_u32_e32 v120, 8, v120
	v_add_u32_e32 v121, 8, v121
	s_or_b64 s[10:11], vcc, s[10:11]
	s_waitcnt vmcnt(0) lgkmcnt(0)
	v_fmac_f64_e32 v[116:117], v[124:125], v[126:127]
	s_andn2_b64 exec, exec, s[10:11]
	s_cbranch_execnz .LBB56_977
; %bb.978:
	s_or_b64 exec, exec, s[10:11]
.LBB56_979:
	s_or_b64 exec, exec, s[8:9]
	v_mov_b32_e32 v120, 0
	ds_read_b64 v[120:121], v120 offset:344
	s_waitcnt lgkmcnt(0)
	v_mul_f64 v[116:117], v[116:117], v[120:121]
	buffer_store_dword v117, off, s[0:3], 0 offset:348
	buffer_store_dword v116, off, s[0:3], 0 offset:344
.LBB56_980:
	s_or_b64 exec, exec, s[6:7]
	buffer_load_dword v116, off, s[0:3], 0 offset:352
	buffer_load_dword v117, off, s[0:3], 0 offset:356
	v_cmp_gt_u32_e32 vcc, 44, v0
	s_waitcnt vmcnt(0)
	ds_write_b64 v118, v[116:117]
	s_waitcnt lgkmcnt(0)
	; wave barrier
	s_waitcnt lgkmcnt(0)
	s_and_saveexec_b64 s[6:7], vcc
	s_cbranch_execz .LBB56_990
; %bb.981:
	s_and_b64 vcc, exec, s[4:5]
	s_cbranch_vccnz .LBB56_983
; %bb.982:
	buffer_load_dword v116, v119, s[0:3], 0 offen
	buffer_load_dword v117, v119, s[0:3], 0 offen offset:4
	ds_read_b64 v[120:121], v118
	s_waitcnt vmcnt(0) lgkmcnt(0)
	v_mul_f64 v[116:117], v[116:117], v[120:121]
	s_cbranch_execz .LBB56_984
	s_branch .LBB56_985
.LBB56_983:
                                        ; implicit-def: $vgpr116_vgpr117
.LBB56_984:
	ds_read_b64 v[116:117], v118
.LBB56_985:
	v_cmp_ne_u32_e32 vcc, 43, v0
	s_and_saveexec_b64 s[8:9], vcc
	s_cbranch_execz .LBB56_989
; %bb.986:
	v_mov_b32_e32 v121, 0
	v_add_u32_e32 v120, 0x1d8, v1
	v_add3_u32 v121, v1, v121, 8
	s_mov_b64 s[10:11], 0
	v_mov_b32_e32 v122, v0
.LBB56_987:                             ; =>This Inner Loop Header: Depth=1
	buffer_load_dword v124, v121, s[0:3], 0 offen
	buffer_load_dword v125, v121, s[0:3], 0 offen offset:4
	ds_read_b64 v[126:127], v120
	v_add_u32_e32 v122, 1, v122
	v_cmp_lt_u32_e32 vcc, 42, v122
	v_add_u32_e32 v120, 8, v120
	v_add_u32_e32 v121, 8, v121
	s_or_b64 s[10:11], vcc, s[10:11]
	s_waitcnt vmcnt(0) lgkmcnt(0)
	v_fmac_f64_e32 v[116:117], v[124:125], v[126:127]
	s_andn2_b64 exec, exec, s[10:11]
	s_cbranch_execnz .LBB56_987
; %bb.988:
	s_or_b64 exec, exec, s[10:11]
.LBB56_989:
	s_or_b64 exec, exec, s[8:9]
	v_mov_b32_e32 v120, 0
	ds_read_b64 v[120:121], v120 offset:352
	s_waitcnt lgkmcnt(0)
	v_mul_f64 v[116:117], v[116:117], v[120:121]
	buffer_store_dword v117, off, s[0:3], 0 offset:356
	buffer_store_dword v116, off, s[0:3], 0 offset:352
.LBB56_990:
	s_or_b64 exec, exec, s[6:7]
	buffer_load_dword v116, off, s[0:3], 0 offset:360
	buffer_load_dword v117, off, s[0:3], 0 offset:364
	v_cmp_gt_u32_e32 vcc, 45, v0
	s_waitcnt vmcnt(0)
	ds_write_b64 v118, v[116:117]
	s_waitcnt lgkmcnt(0)
	; wave barrier
	s_waitcnt lgkmcnt(0)
	s_and_saveexec_b64 s[6:7], vcc
	s_cbranch_execz .LBB56_1000
; %bb.991:
	s_and_b64 vcc, exec, s[4:5]
	s_cbranch_vccnz .LBB56_993
; %bb.992:
	buffer_load_dword v116, v119, s[0:3], 0 offen
	buffer_load_dword v117, v119, s[0:3], 0 offen offset:4
	ds_read_b64 v[120:121], v118
	s_waitcnt vmcnt(0) lgkmcnt(0)
	v_mul_f64 v[116:117], v[116:117], v[120:121]
	s_cbranch_execz .LBB56_994
	s_branch .LBB56_995
.LBB56_993:
                                        ; implicit-def: $vgpr116_vgpr117
.LBB56_994:
	ds_read_b64 v[116:117], v118
.LBB56_995:
	v_cmp_ne_u32_e32 vcc, 44, v0
	s_and_saveexec_b64 s[8:9], vcc
	s_cbranch_execz .LBB56_999
; %bb.996:
	v_mov_b32_e32 v121, 0
	v_add_u32_e32 v120, 0x1d8, v1
	v_add3_u32 v121, v1, v121, 8
	s_mov_b64 s[10:11], 0
	v_mov_b32_e32 v122, v0
.LBB56_997:                             ; =>This Inner Loop Header: Depth=1
	buffer_load_dword v124, v121, s[0:3], 0 offen
	buffer_load_dword v125, v121, s[0:3], 0 offen offset:4
	ds_read_b64 v[126:127], v120
	v_add_u32_e32 v122, 1, v122
	v_cmp_lt_u32_e32 vcc, 43, v122
	v_add_u32_e32 v120, 8, v120
	v_add_u32_e32 v121, 8, v121
	s_or_b64 s[10:11], vcc, s[10:11]
	s_waitcnt vmcnt(0) lgkmcnt(0)
	v_fmac_f64_e32 v[116:117], v[124:125], v[126:127]
	s_andn2_b64 exec, exec, s[10:11]
	s_cbranch_execnz .LBB56_997
; %bb.998:
	s_or_b64 exec, exec, s[10:11]
.LBB56_999:
	s_or_b64 exec, exec, s[8:9]
	v_mov_b32_e32 v120, 0
	ds_read_b64 v[120:121], v120 offset:360
	s_waitcnt lgkmcnt(0)
	v_mul_f64 v[116:117], v[116:117], v[120:121]
	buffer_store_dword v117, off, s[0:3], 0 offset:364
	buffer_store_dword v116, off, s[0:3], 0 offset:360
.LBB56_1000:
	s_or_b64 exec, exec, s[6:7]
	buffer_load_dword v116, off, s[0:3], 0 offset:368
	buffer_load_dword v117, off, s[0:3], 0 offset:372
	v_cmp_gt_u32_e32 vcc, 46, v0
	s_waitcnt vmcnt(0)
	ds_write_b64 v118, v[116:117]
	s_waitcnt lgkmcnt(0)
	; wave barrier
	s_waitcnt lgkmcnt(0)
	s_and_saveexec_b64 s[6:7], vcc
	s_cbranch_execz .LBB56_1010
; %bb.1001:
	s_and_b64 vcc, exec, s[4:5]
	s_cbranch_vccnz .LBB56_1003
; %bb.1002:
	buffer_load_dword v116, v119, s[0:3], 0 offen
	buffer_load_dword v117, v119, s[0:3], 0 offen offset:4
	ds_read_b64 v[120:121], v118
	s_waitcnt vmcnt(0) lgkmcnt(0)
	v_mul_f64 v[116:117], v[116:117], v[120:121]
	s_cbranch_execz .LBB56_1004
	s_branch .LBB56_1005
.LBB56_1003:
                                        ; implicit-def: $vgpr116_vgpr117
.LBB56_1004:
	ds_read_b64 v[116:117], v118
.LBB56_1005:
	v_cmp_ne_u32_e32 vcc, 45, v0
	s_and_saveexec_b64 s[8:9], vcc
	s_cbranch_execz .LBB56_1009
; %bb.1006:
	v_mov_b32_e32 v121, 0
	v_add_u32_e32 v120, 0x1d8, v1
	v_add3_u32 v121, v1, v121, 8
	s_mov_b64 s[10:11], 0
	v_mov_b32_e32 v122, v0
.LBB56_1007:                            ; =>This Inner Loop Header: Depth=1
	buffer_load_dword v124, v121, s[0:3], 0 offen
	buffer_load_dword v125, v121, s[0:3], 0 offen offset:4
	ds_read_b64 v[126:127], v120
	v_add_u32_e32 v122, 1, v122
	v_cmp_lt_u32_e32 vcc, 44, v122
	v_add_u32_e32 v120, 8, v120
	v_add_u32_e32 v121, 8, v121
	s_or_b64 s[10:11], vcc, s[10:11]
	s_waitcnt vmcnt(0) lgkmcnt(0)
	v_fmac_f64_e32 v[116:117], v[124:125], v[126:127]
	s_andn2_b64 exec, exec, s[10:11]
	s_cbranch_execnz .LBB56_1007
; %bb.1008:
	s_or_b64 exec, exec, s[10:11]
.LBB56_1009:
	s_or_b64 exec, exec, s[8:9]
	v_mov_b32_e32 v120, 0
	ds_read_b64 v[120:121], v120 offset:368
	s_waitcnt lgkmcnt(0)
	v_mul_f64 v[116:117], v[116:117], v[120:121]
	buffer_store_dword v117, off, s[0:3], 0 offset:372
	buffer_store_dword v116, off, s[0:3], 0 offset:368
.LBB56_1010:
	s_or_b64 exec, exec, s[6:7]
	buffer_load_dword v116, off, s[0:3], 0 offset:376
	buffer_load_dword v117, off, s[0:3], 0 offset:380
	v_cmp_gt_u32_e32 vcc, 47, v0
	s_waitcnt vmcnt(0)
	ds_write_b64 v118, v[116:117]
	s_waitcnt lgkmcnt(0)
	; wave barrier
	s_waitcnt lgkmcnt(0)
	s_and_saveexec_b64 s[6:7], vcc
	s_cbranch_execz .LBB56_1020
; %bb.1011:
	s_and_b64 vcc, exec, s[4:5]
	s_cbranch_vccnz .LBB56_1013
; %bb.1012:
	buffer_load_dword v116, v119, s[0:3], 0 offen
	buffer_load_dword v117, v119, s[0:3], 0 offen offset:4
	ds_read_b64 v[120:121], v118
	s_waitcnt vmcnt(0) lgkmcnt(0)
	v_mul_f64 v[116:117], v[116:117], v[120:121]
	s_cbranch_execz .LBB56_1014
	s_branch .LBB56_1015
.LBB56_1013:
                                        ; implicit-def: $vgpr116_vgpr117
.LBB56_1014:
	ds_read_b64 v[116:117], v118
.LBB56_1015:
	v_cmp_ne_u32_e32 vcc, 46, v0
	s_and_saveexec_b64 s[8:9], vcc
	s_cbranch_execz .LBB56_1019
; %bb.1016:
	v_mov_b32_e32 v121, 0
	v_add_u32_e32 v120, 0x1d8, v1
	v_add3_u32 v121, v1, v121, 8
	s_mov_b64 s[10:11], 0
	v_mov_b32_e32 v122, v0
.LBB56_1017:                            ; =>This Inner Loop Header: Depth=1
	buffer_load_dword v124, v121, s[0:3], 0 offen
	buffer_load_dword v125, v121, s[0:3], 0 offen offset:4
	ds_read_b64 v[126:127], v120
	v_add_u32_e32 v122, 1, v122
	v_cmp_lt_u32_e32 vcc, 45, v122
	v_add_u32_e32 v120, 8, v120
	v_add_u32_e32 v121, 8, v121
	s_or_b64 s[10:11], vcc, s[10:11]
	s_waitcnt vmcnt(0) lgkmcnt(0)
	v_fmac_f64_e32 v[116:117], v[124:125], v[126:127]
	s_andn2_b64 exec, exec, s[10:11]
	s_cbranch_execnz .LBB56_1017
; %bb.1018:
	s_or_b64 exec, exec, s[10:11]
.LBB56_1019:
	s_or_b64 exec, exec, s[8:9]
	v_mov_b32_e32 v120, 0
	ds_read_b64 v[120:121], v120 offset:376
	s_waitcnt lgkmcnt(0)
	v_mul_f64 v[116:117], v[116:117], v[120:121]
	buffer_store_dword v117, off, s[0:3], 0 offset:380
	buffer_store_dword v116, off, s[0:3], 0 offset:376
.LBB56_1020:
	;; [unrolled: 60-line block ×9, first 2 shown]
	s_or_b64 exec, exec, s[6:7]
	buffer_load_dword v116, off, s[0:3], 0 offset:440
	buffer_load_dword v117, off, s[0:3], 0 offset:444
	v_cmp_gt_u32_e64 s[6:7], 55, v0
	s_waitcnt vmcnt(0)
	ds_write_b64 v118, v[116:117]
	s_waitcnt lgkmcnt(0)
	; wave barrier
	s_waitcnt lgkmcnt(0)
	s_and_saveexec_b64 s[8:9], s[6:7]
	s_cbranch_execz .LBB56_1100
; %bb.1091:
	s_and_b64 vcc, exec, s[4:5]
	s_cbranch_vccnz .LBB56_1093
; %bb.1092:
	buffer_load_dword v116, v119, s[0:3], 0 offen
	buffer_load_dword v117, v119, s[0:3], 0 offen offset:4
	ds_read_b64 v[120:121], v118
	s_waitcnt vmcnt(0) lgkmcnt(0)
	v_mul_f64 v[116:117], v[116:117], v[120:121]
	s_cbranch_execz .LBB56_1094
	s_branch .LBB56_1095
.LBB56_1093:
                                        ; implicit-def: $vgpr116_vgpr117
.LBB56_1094:
	ds_read_b64 v[116:117], v118
.LBB56_1095:
	v_cmp_ne_u32_e32 vcc, 54, v0
	s_and_saveexec_b64 s[10:11], vcc
	s_cbranch_execz .LBB56_1099
; %bb.1096:
	v_mov_b32_e32 v121, 0
	v_add_u32_e32 v120, 0x1d8, v1
	v_add3_u32 v121, v1, v121, 8
	s_mov_b64 s[12:13], 0
	v_mov_b32_e32 v122, v0
.LBB56_1097:                            ; =>This Inner Loop Header: Depth=1
	buffer_load_dword v124, v121, s[0:3], 0 offen
	buffer_load_dword v125, v121, s[0:3], 0 offen offset:4
	ds_read_b64 v[126:127], v120
	v_add_u32_e32 v122, 1, v122
	v_cmp_lt_u32_e32 vcc, 53, v122
	v_add_u32_e32 v120, 8, v120
	v_add_u32_e32 v121, 8, v121
	s_or_b64 s[12:13], vcc, s[12:13]
	s_waitcnt vmcnt(0) lgkmcnt(0)
	v_fmac_f64_e32 v[116:117], v[124:125], v[126:127]
	s_andn2_b64 exec, exec, s[12:13]
	s_cbranch_execnz .LBB56_1097
; %bb.1098:
	s_or_b64 exec, exec, s[12:13]
.LBB56_1099:
	s_or_b64 exec, exec, s[10:11]
	v_mov_b32_e32 v120, 0
	ds_read_b64 v[120:121], v120 offset:440
	s_waitcnt lgkmcnt(0)
	v_mul_f64 v[116:117], v[116:117], v[120:121]
	buffer_store_dword v117, off, s[0:3], 0 offset:444
	buffer_store_dword v116, off, s[0:3], 0 offset:440
.LBB56_1100:
	s_or_b64 exec, exec, s[8:9]
	buffer_load_dword v116, off, s[0:3], 0 offset:448
	buffer_load_dword v117, off, s[0:3], 0 offset:452
	v_cmp_ne_u32_e32 vcc, 56, v0
	s_waitcnt vmcnt(0)
	ds_write_b64 v118, v[116:117]
	s_waitcnt lgkmcnt(0)
	; wave barrier
	s_waitcnt lgkmcnt(0)
	s_and_saveexec_b64 s[8:9], vcc
	s_cbranch_execz .LBB56_1110
; %bb.1101:
	s_and_b64 vcc, exec, s[4:5]
	s_cbranch_vccnz .LBB56_1103
; %bb.1102:
	buffer_load_dword v116, v119, s[0:3], 0 offen
	buffer_load_dword v117, v119, s[0:3], 0 offen offset:4
	ds_read_b64 v[120:121], v118
	s_waitcnt vmcnt(0) lgkmcnt(0)
	v_mul_f64 v[116:117], v[116:117], v[120:121]
	s_cbranch_execz .LBB56_1104
	s_branch .LBB56_1105
.LBB56_1103:
                                        ; implicit-def: $vgpr116_vgpr117
.LBB56_1104:
	ds_read_b64 v[116:117], v118
.LBB56_1105:
	s_and_saveexec_b64 s[4:5], s[6:7]
	s_cbranch_execz .LBB56_1109
; %bb.1106:
	v_mov_b32_e32 v119, 0
	v_add_u32_e32 v118, 0x1d8, v1
	v_add3_u32 v1, v1, v119, 8
	s_mov_b64 s[6:7], 0
.LBB56_1107:                            ; =>This Inner Loop Header: Depth=1
	buffer_load_dword v120, v1, s[0:3], 0 offen
	buffer_load_dword v121, v1, s[0:3], 0 offen offset:4
	ds_read_b64 v[122:123], v118
	v_add_u32_e32 v0, 1, v0
	v_cmp_lt_u32_e32 vcc, 54, v0
	v_add_u32_e32 v118, 8, v118
	v_add_u32_e32 v1, 8, v1
	s_or_b64 s[6:7], vcc, s[6:7]
	s_waitcnt vmcnt(0) lgkmcnt(0)
	v_fmac_f64_e32 v[116:117], v[120:121], v[122:123]
	s_andn2_b64 exec, exec, s[6:7]
	s_cbranch_execnz .LBB56_1107
; %bb.1108:
	s_or_b64 exec, exec, s[6:7]
.LBB56_1109:
	s_or_b64 exec, exec, s[4:5]
	v_mov_b32_e32 v0, 0
	ds_read_b64 v[0:1], v0 offset:448
	s_waitcnt lgkmcnt(0)
	v_mul_f64 v[0:1], v[116:117], v[0:1]
	buffer_store_dword v1, off, s[0:3], 0 offset:452
	buffer_store_dword v0, off, s[0:3], 0 offset:448
.LBB56_1110:
	s_or_b64 exec, exec, s[8:9]
.LBB56_1111:
	buffer_load_dword v0, off, s[0:3], 0
	buffer_load_dword v1, off, s[0:3], 0 offset:4
	buffer_load_dword v116, off, s[0:3], 0 offset:8
	;; [unrolled: 1-line block ×113, first 2 shown]
	s_waitcnt vmcnt(62)
	global_store_dwordx2 v[104:105], v[0:1], off
	global_store_dwordx2 v[108:109], v[116:117], off
	;; [unrolled: 1-line block ×26, first 2 shown]
	s_waitcnt vmcnt(62)
	global_store_dwordx2 v[50:51], v[166:167], off
	global_store_dwordx2 v[52:53], v[168:169], off
	;; [unrolled: 1-line block ×13, first 2 shown]
	s_waitcnt vmcnt(62)
	global_store_dwordx2 v[76:77], v[192:193], off
	global_store_dwordx2 v[78:79], v[194:195], off
	;; [unrolled: 1-line block ×6, first 2 shown]
	s_waitcnt vmcnt(62)
	global_store_dwordx2 v[88:89], v[204:205], off
	global_store_dwordx2 v[90:91], v[206:207], off
	;; [unrolled: 1-line block ×3, first 2 shown]
	s_waitcnt vmcnt(62)
	global_store_dwordx2 v[94:95], v[210:211], off
	global_store_dwordx2 v[96:97], v[212:213], off
	s_waitcnt vmcnt(62)
	global_store_dwordx2 v[98:99], v[214:215], off
	s_waitcnt vmcnt(61)
	;; [unrolled: 2-line block ×7, first 2 shown]
	global_store_dwordx2 v[114:115], v[226:227], off
.LBB56_1112:
	s_endpgm
	.section	.rodata,"a",@progbits
	.p2align	6, 0x0
	.amdhsa_kernel _ZN9rocsolver6v33100L18trti2_kernel_smallILi57EdPdEEv13rocblas_fill_17rocblas_diagonal_T1_iil
		.amdhsa_group_segment_fixed_size 920
		.amdhsa_private_segment_fixed_size 464
		.amdhsa_kernarg_size 32
		.amdhsa_user_sgpr_count 8
		.amdhsa_user_sgpr_private_segment_buffer 1
		.amdhsa_user_sgpr_dispatch_ptr 0
		.amdhsa_user_sgpr_queue_ptr 0
		.amdhsa_user_sgpr_kernarg_segment_ptr 1
		.amdhsa_user_sgpr_dispatch_id 0
		.amdhsa_user_sgpr_flat_scratch_init 1
		.amdhsa_user_sgpr_kernarg_preload_length 0
		.amdhsa_user_sgpr_kernarg_preload_offset 0
		.amdhsa_user_sgpr_private_segment_size 0
		.amdhsa_uses_dynamic_stack 0
		.amdhsa_system_sgpr_private_segment_wavefront_offset 1
		.amdhsa_system_sgpr_workgroup_id_x 1
		.amdhsa_system_sgpr_workgroup_id_y 0
		.amdhsa_system_sgpr_workgroup_id_z 0
		.amdhsa_system_sgpr_workgroup_info 0
		.amdhsa_system_vgpr_workitem_id 0
		.amdhsa_next_free_vgpr 228
		.amdhsa_next_free_sgpr 20
		.amdhsa_accum_offset 228
		.amdhsa_reserve_vcc 1
		.amdhsa_reserve_flat_scratch 0
		.amdhsa_float_round_mode_32 0
		.amdhsa_float_round_mode_16_64 0
		.amdhsa_float_denorm_mode_32 3
		.amdhsa_float_denorm_mode_16_64 3
		.amdhsa_dx10_clamp 1
		.amdhsa_ieee_mode 1
		.amdhsa_fp16_overflow 0
		.amdhsa_tg_split 0
		.amdhsa_exception_fp_ieee_invalid_op 0
		.amdhsa_exception_fp_denorm_src 0
		.amdhsa_exception_fp_ieee_div_zero 0
		.amdhsa_exception_fp_ieee_overflow 0
		.amdhsa_exception_fp_ieee_underflow 0
		.amdhsa_exception_fp_ieee_inexact 0
		.amdhsa_exception_int_div_zero 0
	.end_amdhsa_kernel
	.section	.text._ZN9rocsolver6v33100L18trti2_kernel_smallILi57EdPdEEv13rocblas_fill_17rocblas_diagonal_T1_iil,"axG",@progbits,_ZN9rocsolver6v33100L18trti2_kernel_smallILi57EdPdEEv13rocblas_fill_17rocblas_diagonal_T1_iil,comdat
.Lfunc_end56:
	.size	_ZN9rocsolver6v33100L18trti2_kernel_smallILi57EdPdEEv13rocblas_fill_17rocblas_diagonal_T1_iil, .Lfunc_end56-_ZN9rocsolver6v33100L18trti2_kernel_smallILi57EdPdEEv13rocblas_fill_17rocblas_diagonal_T1_iil
                                        ; -- End function
	.section	.AMDGPU.csdata,"",@progbits
; Kernel info:
; codeLenInByte = 33116
; NumSgprs: 24
; NumVgprs: 228
; NumAgprs: 0
; TotalNumVgprs: 228
; ScratchSize: 464
; MemoryBound: 0
; FloatMode: 240
; IeeeMode: 1
; LDSByteSize: 920 bytes/workgroup (compile time only)
; SGPRBlocks: 2
; VGPRBlocks: 28
; NumSGPRsForWavesPerEU: 24
; NumVGPRsForWavesPerEU: 228
; AccumOffset: 228
; Occupancy: 2
; WaveLimiterHint : 0
; COMPUTE_PGM_RSRC2:SCRATCH_EN: 1
; COMPUTE_PGM_RSRC2:USER_SGPR: 8
; COMPUTE_PGM_RSRC2:TRAP_HANDLER: 0
; COMPUTE_PGM_RSRC2:TGID_X_EN: 1
; COMPUTE_PGM_RSRC2:TGID_Y_EN: 0
; COMPUTE_PGM_RSRC2:TGID_Z_EN: 0
; COMPUTE_PGM_RSRC2:TIDIG_COMP_CNT: 0
; COMPUTE_PGM_RSRC3_GFX90A:ACCUM_OFFSET: 56
; COMPUTE_PGM_RSRC3_GFX90A:TG_SPLIT: 0
	.section	.text._ZN9rocsolver6v33100L18trti2_kernel_smallILi58EdPdEEv13rocblas_fill_17rocblas_diagonal_T1_iil,"axG",@progbits,_ZN9rocsolver6v33100L18trti2_kernel_smallILi58EdPdEEv13rocblas_fill_17rocblas_diagonal_T1_iil,comdat
	.globl	_ZN9rocsolver6v33100L18trti2_kernel_smallILi58EdPdEEv13rocblas_fill_17rocblas_diagonal_T1_iil ; -- Begin function _ZN9rocsolver6v33100L18trti2_kernel_smallILi58EdPdEEv13rocblas_fill_17rocblas_diagonal_T1_iil
	.p2align	8
	.type	_ZN9rocsolver6v33100L18trti2_kernel_smallILi58EdPdEEv13rocblas_fill_17rocblas_diagonal_T1_iil,@function
_ZN9rocsolver6v33100L18trti2_kernel_smallILi58EdPdEEv13rocblas_fill_17rocblas_diagonal_T1_iil: ; @_ZN9rocsolver6v33100L18trti2_kernel_smallILi58EdPdEEv13rocblas_fill_17rocblas_diagonal_T1_iil
; %bb.0:
	s_add_u32 s0, s0, s9
	s_addc_u32 s1, s1, 0
	v_cmp_gt_u32_e32 vcc, 58, v0
	s_and_saveexec_b64 s[6:7], vcc
	s_cbranch_execz .LBB57_1132
; %bb.1:
	s_load_dwordx8 s[12:19], s[4:5], 0x0
	s_ashr_i32 s6, s8, 31
	s_waitcnt lgkmcnt(0)
	s_mul_i32 s7, s8, s19
	s_mul_hi_u32 s9, s8, s18
	s_add_i32 s7, s9, s7
	s_mul_i32 s6, s6, s18
	s_add_i32 s7, s7, s6
	s_mul_i32 s6, s8, s18
	s_ashr_i32 s5, s16, 31
	s_lshl_b64 s[6:7], s[6:7], 3
	s_mov_b32 s4, s16
	s_add_u32 s6, s14, s6
	s_addc_u32 s7, s15, s7
	s_lshl_b64 s[4:5], s[4:5], 3
	s_add_u32 s4, s6, s4
	s_addc_u32 s5, s7, s5
	s_add_i32 s6, s17, s17
	v_add_u32_e32 v4, s6, v0
	v_ashrrev_i32_e32 v5, 31, v4
	v_lshlrev_b64 v[2:3], 3, v[4:5]
	v_add_u32_e32 v6, s17, v4
	v_mov_b32_e32 v1, s5
	v_add_co_u32_e32 v2, vcc, s4, v2
	v_ashrrev_i32_e32 v7, 31, v6
	v_addc_co_u32_e32 v3, vcc, v1, v3, vcc
	v_lshlrev_b64 v[4:5], 3, v[6:7]
	v_add_u32_e32 v8, s17, v6
	v_add_co_u32_e32 v4, vcc, s4, v4
	v_ashrrev_i32_e32 v9, 31, v8
	v_addc_co_u32_e32 v5, vcc, v1, v5, vcc
	v_lshlrev_b64 v[6:7], 3, v[8:9]
	v_add_u32_e32 v10, s17, v8
	;; [unrolled: 5-line block ×47, first 2 shown]
	v_add_co_u32_e32 v96, vcc, s4, v96
	v_ashrrev_i32_e32 v101, 31, v100
	v_addc_co_u32_e32 v97, vcc, v1, v97, vcc
	v_lshlrev_b64 v[98:99], 3, v[100:101]
	v_add_co_u32_e32 v98, vcc, s4, v98
	v_addc_co_u32_e32 v99, vcc, v1, v99, vcc
	v_add_u32_e32 v102, s17, v100
	v_lshlrev_b32_e32 v1, 3, v0
	v_ashrrev_i32_e32 v103, 31, v102
	global_load_dwordx2 v[118:119], v1, s[4:5]
	v_lshlrev_b64 v[100:101], 3, v[102:103]
	v_mov_b32_e32 v103, s5
	v_add_co_u32_e32 v108, vcc, s4, v1
	s_ashr_i32 s7, s17, 31
	s_mov_b32 s6, s17
	v_addc_co_u32_e32 v109, vcc, 0, v103, vcc
	s_lshl_b64 s[6:7], s[6:7], 3
	v_mov_b32_e32 v103, s7
	v_add_co_u32_e32 v110, vcc, s6, v108
	v_addc_co_u32_e32 v111, vcc, v109, v103, vcc
	global_load_dwordx2 v[120:121], v[110:111], off
	global_load_dwordx2 v[122:123], v[2:3], off
	;; [unrolled: 1-line block ×10, first 2 shown]
	v_mov_b32_e32 v104, s5
	v_add_co_u32_e32 v100, vcc, s4, v100
	v_addc_co_u32_e32 v101, vcc, v104, v101, vcc
	v_add_u32_e32 v104, s17, v102
	v_ashrrev_i32_e32 v105, 31, v104
	v_lshlrev_b64 v[102:103], 3, v[104:105]
	v_mov_b32_e32 v106, s5
	v_add_co_u32_e32 v102, vcc, s4, v102
	global_load_dwordx2 v[140:141], v[20:21], off
	global_load_dwordx2 v[142:143], v[22:23], off
	global_load_dwordx2 v[144:145], v[24:25], off
	global_load_dwordx2 v[146:147], v[26:27], off
	v_addc_co_u32_e32 v103, vcc, v106, v103, vcc
	v_add_u32_e32 v106, s17, v104
	v_ashrrev_i32_e32 v107, 31, v106
	v_lshlrev_b64 v[104:105], 3, v[106:107]
	v_mov_b32_e32 v112, s5
	v_add_co_u32_e32 v104, vcc, s4, v104
	v_addc_co_u32_e32 v105, vcc, v112, v105, vcc
	v_add_u32_e32 v112, s17, v106
	v_ashrrev_i32_e32 v113, 31, v112
	v_lshlrev_b64 v[106:107], 3, v[112:113]
	v_mov_b32_e32 v114, s5
	v_add_co_u32_e32 v106, vcc, s4, v106
	;; [unrolled: 6-line block ×3, first 2 shown]
	v_addc_co_u32_e32 v113, vcc, v116, v113, vcc
	v_add_u32_e32 v116, s17, v114
	v_ashrrev_i32_e32 v117, 31, v116
	v_lshlrev_b64 v[114:115], 3, v[116:117]
	v_add_u32_e32 v116, s17, v116
	v_mov_b32_e32 v150, s5
	global_load_dwordx2 v[148:149], v[28:29], off
	v_add_co_u32_e32 v114, vcc, s4, v114
	v_ashrrev_i32_e32 v117, 31, v116
	v_addc_co_u32_e32 v115, vcc, v150, v115, vcc
	global_load_dwordx2 v[150:151], v[30:31], off
	global_load_dwordx2 v[152:153], v[32:33], off
	v_lshlrev_b64 v[116:117], 3, v[116:117]
	v_mov_b32_e32 v162, s5
	v_add_co_u32_e32 v116, vcc, s4, v116
	global_load_dwordx2 v[154:155], v[34:35], off
	global_load_dwordx2 v[156:157], v[36:37], off
	;; [unrolled: 1-line block ×4, first 2 shown]
	v_addc_co_u32_e32 v117, vcc, v162, v117, vcc
	global_load_dwordx2 v[162:163], v[42:43], off
	global_load_dwordx2 v[164:165], v[116:117], off
	;; [unrolled: 1-line block ×20, first 2 shown]
	s_cmpk_lg_i32 s13, 0x84
	s_waitcnt vmcnt(41)
	buffer_store_dword v119, off, s[0:3], 0 offset:4
	buffer_store_dword v118, off, s[0:3], 0
	global_load_dwordx2 v[118:119], v[48:49], off
	s_cselect_b64 s[8:9], -1, 0
	s_waitcnt vmcnt(43)
	buffer_store_dword v121, off, s[0:3], 0 offset:12
	buffer_store_dword v120, off, s[0:3], 0 offset:8
	global_load_dwordx2 v[120:121], v[52:53], off
	s_cmpk_eq_i32 s13, 0x84
	s_waitcnt vmcnt(45)
	buffer_store_dword v123, off, s[0:3], 0 offset:20
	buffer_store_dword v122, off, s[0:3], 0 offset:16
	global_load_dwordx2 v[122:123], v[56:57], off
	s_waitcnt vmcnt(47)
	buffer_store_dword v125, off, s[0:3], 0 offset:28
	buffer_store_dword v124, off, s[0:3], 0 offset:24
	global_load_dwordx2 v[124:125], v[60:61], off
	;; [unrolled: 4-line block ×10, first 2 shown]
	s_nop 0
	buffer_store_dword v142, off, s[0:3], 0 offset:96
	buffer_store_dword v143, off, s[0:3], 0 offset:100
	global_load_dwordx2 v[142:143], v[96:97], off
	s_waitcnt vmcnt(62)
	buffer_store_dword v144, off, s[0:3], 0 offset:104
	buffer_store_dword v145, off, s[0:3], 0 offset:108
	global_load_dwordx2 v[144:145], v[100:101], off
	s_nop 0
	buffer_store_dword v147, off, s[0:3], 0 offset:116
	buffer_store_dword v146, off, s[0:3], 0 offset:112
	global_load_dwordx2 v[146:147], v[104:105], off
	s_nop 0
	;; [unrolled: 4-line block ×3, first 2 shown]
	buffer_store_dword v150, off, s[0:3], 0 offset:128
	buffer_store_dword v151, off, s[0:3], 0 offset:132
	;; [unrolled: 1-line block ×6, first 2 shown]
	s_waitcnt vmcnt(62)
	buffer_store_dword v157, off, s[0:3], 0 offset:156
	buffer_store_dword v156, off, s[0:3], 0 offset:152
	;; [unrolled: 1-line block ×12, first 2 shown]
	s_waitcnt vmcnt(62)
	buffer_store_dword v119, off, s[0:3], 0 offset:204
	buffer_store_dword v118, off, s[0:3], 0 offset:200
	buffer_store_dword v171, off, s[0:3], 0 offset:212
	buffer_store_dword v170, off, s[0:3], 0 offset:208
	s_waitcnt vmcnt(62)
	buffer_store_dword v120, off, s[0:3], 0 offset:216
	buffer_store_dword v121, off, s[0:3], 0 offset:220
	buffer_store_dword v172, off, s[0:3], 0 offset:224
	buffer_store_dword v173, off, s[0:3], 0 offset:228
	s_waitcnt vmcnt(62)
	buffer_store_dword v122, off, s[0:3], 0 offset:232
	buffer_store_dword v123, off, s[0:3], 0 offset:236
	buffer_store_dword v174, off, s[0:3], 0 offset:240
	buffer_store_dword v175, off, s[0:3], 0 offset:244
	buffer_store_dword v125, off, s[0:3], 0 offset:252
	buffer_store_dword v124, off, s[0:3], 0 offset:248
	buffer_store_dword v177, off, s[0:3], 0 offset:260
	buffer_store_dword v176, off, s[0:3], 0 offset:256
	s_waitcnt vmcnt(62)
	buffer_store_dword v126, off, s[0:3], 0 offset:264
	buffer_store_dword v127, off, s[0:3], 0 offset:268
	;; [unrolled: 1-line block ×8, first 2 shown]
	s_waitcnt vmcnt(62)
	buffer_store_dword v131, off, s[0:3], 0 offset:300
	buffer_store_dword v130, off, s[0:3], 0 offset:296
	;; [unrolled: 1-line block ×12, first 2 shown]
	s_waitcnt vmcnt(62)
	buffer_store_dword v137, off, s[0:3], 0 offset:348
	buffer_store_dword v136, off, s[0:3], 0 offset:344
	;; [unrolled: 1-line block ×16, first 2 shown]
	s_waitcnt vmcnt(62)
	buffer_store_dword v144, off, s[0:3], 0 offset:408
	buffer_store_dword v145, off, s[0:3], 0 offset:412
	;; [unrolled: 1-line block ×14, first 2 shown]
	v_mov_b32_e32 v118, 0
	v_mov_b32_e32 v176, 0
	;; [unrolled: 1-line block ×3, first 2 shown]
	s_cbranch_scc1 .LBB57_3
; %bb.2:
	v_lshl_add_u32 v128, v0, 3, v176
	buffer_load_dword v118, v128, s[0:3], 0 offen
	buffer_load_dword v119, v128, s[0:3], 0 offen offset:4
	s_waitcnt vmcnt(0)
	v_div_scale_f64 v[120:121], s[4:5], v[118:119], v[118:119], 1.0
	v_rcp_f64_e32 v[122:123], v[120:121]
	v_div_scale_f64 v[124:125], vcc, 1.0, v[118:119], 1.0
	v_fma_f64 v[126:127], -v[120:121], v[122:123], 1.0
	v_fmac_f64_e32 v[122:123], v[122:123], v[126:127]
	v_fma_f64 v[126:127], -v[120:121], v[122:123], 1.0
	v_fmac_f64_e32 v[122:123], v[122:123], v[126:127]
	v_mul_f64 v[126:127], v[124:125], v[122:123]
	v_fma_f64 v[120:121], -v[120:121], v[126:127], v[124:125]
	v_div_fmas_f64 v[120:121], v[120:121], v[122:123], v[126:127]
	v_div_fixup_f64 v[118:119], v[120:121], v[118:119], 1.0
	buffer_store_dword v118, v128, s[0:3], 0 offen
	buffer_store_dword v119, v128, s[0:3], 0 offen offset:4
	v_xor_b32_e32 v119, 0x80000000, v119
.LBB57_3:
	s_cmpk_eq_i32 s12, 0x79
	v_add_u32_e32 v120, 0x1d0, v1
	v_add_u32_e32 v121, 0, v1
	s_mov_b64 s[4:5], -1
	ds_write_b64 v1, v[118:119]
	s_cbranch_scc1 .LBB57_567
; %bb.4:
	buffer_load_dword v118, off, s[0:3], 0 offset:448
	buffer_load_dword v119, off, s[0:3], 0 offset:452
	v_cmp_eq_u32_e64 s[4:5], 57, v0
	s_waitcnt vmcnt(0)
	ds_write_b64 v120, v[118:119]
	s_waitcnt lgkmcnt(0)
	; wave barrier
	s_waitcnt lgkmcnt(0)
	s_and_saveexec_b64 s[6:7], s[4:5]
	s_cbranch_execz .LBB57_10
; %bb.5:
	s_and_b64 vcc, exec, s[8:9]
	s_cbranch_vccz .LBB57_7
; %bb.6:
	buffer_load_dword v118, v121, s[0:3], 0 offen
	buffer_load_dword v119, v121, s[0:3], 0 offen offset:4
	ds_read_b64 v[122:123], v120
	s_waitcnt vmcnt(0) lgkmcnt(0)
	v_mul_f64 v[118:119], v[118:119], v[122:123]
	s_cbranch_execz .LBB57_8
	s_branch .LBB57_9
.LBB57_7:
                                        ; implicit-def: $vgpr118_vgpr119
.LBB57_8:
	ds_read_b64 v[118:119], v120
.LBB57_9:
	v_mov_b32_e32 v122, 0
	ds_read_b64 v[122:123], v122 offset:448
	s_waitcnt lgkmcnt(0)
	v_mul_f64 v[118:119], v[118:119], v[122:123]
	buffer_store_dword v119, off, s[0:3], 0 offset:452
	buffer_store_dword v118, off, s[0:3], 0 offset:448
.LBB57_10:
	s_or_b64 exec, exec, s[6:7]
	buffer_load_dword v118, off, s[0:3], 0 offset:440
	buffer_load_dword v119, off, s[0:3], 0 offset:444
	v_or_b32_e32 v122, 8, v176
	v_add_u32_e32 v123, 16, v176
	v_add_u32_e32 v124, 24, v176
	;; [unrolled: 1-line block ×54, first 2 shown]
	v_cmp_lt_u32_e64 s[6:7], 55, v0
	s_waitcnt vmcnt(0)
	ds_write_b64 v120, v[118:119]
	s_waitcnt lgkmcnt(0)
	; wave barrier
	s_waitcnt lgkmcnt(0)
	s_and_saveexec_b64 s[10:11], s[6:7]
	s_cbranch_execz .LBB57_16
; %bb.11:
	s_andn2_b64 vcc, exec, s[8:9]
	s_cbranch_vccnz .LBB57_13
; %bb.12:
	buffer_load_dword v118, v121, s[0:3], 0 offen
	buffer_load_dword v119, v121, s[0:3], 0 offen offset:4
	ds_read_b64 v[178:179], v120
	s_waitcnt vmcnt(0) lgkmcnt(0)
	v_mul_f64 v[118:119], v[118:119], v[178:179]
	s_cbranch_execz .LBB57_14
	s_branch .LBB57_15
.LBB57_13:
                                        ; implicit-def: $vgpr118_vgpr119
.LBB57_14:
	ds_read_b64 v[118:119], v120
.LBB57_15:
	buffer_load_dword v182, off, s[0:3], 0 offset:448
	buffer_load_dword v183, off, s[0:3], 0 offset:452
	v_mov_b32_e32 v177, 0
	ds_read2_b64 v[178:181], v177 offset0:55 offset1:114
	s_waitcnt vmcnt(0) lgkmcnt(0)
	v_fma_f64 v[180:181], v[182:183], v[180:181], v[118:119]
	v_cndmask_b32_e64 v119, v119, v181, s[4:5]
	v_cndmask_b32_e64 v118, v118, v180, s[4:5]
	v_mul_f64 v[118:119], v[118:119], v[178:179]
	buffer_store_dword v119, off, s[0:3], 0 offset:444
	buffer_store_dword v118, off, s[0:3], 0 offset:440
.LBB57_16:
	s_or_b64 exec, exec, s[10:11]
	buffer_load_dword v118, off, s[0:3], 0 offset:432
	buffer_load_dword v119, off, s[0:3], 0 offset:436
	v_cmp_lt_u32_e64 s[4:5], 54, v0
	s_waitcnt vmcnt(0)
	ds_write_b64 v120, v[118:119]
	s_waitcnt lgkmcnt(0)
	; wave barrier
	s_waitcnt lgkmcnt(0)
	s_and_saveexec_b64 s[10:11], s[4:5]
	s_cbranch_execz .LBB57_26
; %bb.17:
	s_andn2_b64 vcc, exec, s[8:9]
	s_cbranch_vccnz .LBB57_19
; %bb.18:
	buffer_load_dword v118, v121, s[0:3], 0 offen
	buffer_load_dword v119, v121, s[0:3], 0 offen offset:4
	ds_read_b64 v[178:179], v120
	s_waitcnt vmcnt(0) lgkmcnt(0)
	v_mul_f64 v[118:119], v[118:119], v[178:179]
	s_cbranch_execz .LBB57_20
	s_branch .LBB57_21
.LBB57_19:
                                        ; implicit-def: $vgpr118_vgpr119
.LBB57_20:
	ds_read_b64 v[118:119], v120
.LBB57_21:
	s_and_saveexec_b64 s[12:13], s[6:7]
	s_cbranch_execz .LBB57_25
; %bb.22:
	v_subrev_u32_e32 v177, 55, v0
	s_movk_i32 s14, 0x388
	s_mov_b64 s[6:7], 0
.LBB57_23:                              ; =>This Inner Loop Header: Depth=1
	buffer_load_dword v178, v176, s[0:3], 0 offen
	buffer_load_dword v179, v176, s[0:3], 0 offen offset:4
	v_mov_b32_e32 v180, s14
	ds_read_b64 v[180:181], v180
	v_add_u32_e32 v177, -1, v177
	s_add_i32 s14, s14, 8
	v_cmp_eq_u32_e32 vcc, 0, v177
	v_add_u32_e32 v176, 8, v176
	s_or_b64 s[6:7], vcc, s[6:7]
	s_waitcnt vmcnt(0) lgkmcnt(0)
	v_fmac_f64_e32 v[118:119], v[178:179], v[180:181]
	s_andn2_b64 exec, exec, s[6:7]
	s_cbranch_execnz .LBB57_23
; %bb.24:
	s_or_b64 exec, exec, s[6:7]
.LBB57_25:
	s_or_b64 exec, exec, s[12:13]
	v_mov_b32_e32 v176, 0
	ds_read_b64 v[176:177], v176 offset:432
	s_waitcnt lgkmcnt(0)
	v_mul_f64 v[118:119], v[118:119], v[176:177]
	buffer_store_dword v119, off, s[0:3], 0 offset:436
	buffer_store_dword v118, off, s[0:3], 0 offset:432
.LBB57_26:
	s_or_b64 exec, exec, s[10:11]
	buffer_load_dword v118, off, s[0:3], 0 offset:424
	buffer_load_dword v119, off, s[0:3], 0 offset:428
	v_cmp_lt_u32_e64 s[6:7], 53, v0
	s_waitcnt vmcnt(0)
	ds_write_b64 v120, v[118:119]
	s_waitcnt lgkmcnt(0)
	; wave barrier
	s_waitcnt lgkmcnt(0)
	s_and_saveexec_b64 s[10:11], s[6:7]
	s_cbranch_execz .LBB57_36
; %bb.27:
	s_andn2_b64 vcc, exec, s[8:9]
	s_cbranch_vccnz .LBB57_29
; %bb.28:
	buffer_load_dword v118, v121, s[0:3], 0 offen
	buffer_load_dword v119, v121, s[0:3], 0 offen offset:4
	ds_read_b64 v[176:177], v120
	s_waitcnt vmcnt(0) lgkmcnt(0)
	v_mul_f64 v[118:119], v[118:119], v[176:177]
	s_cbranch_execz .LBB57_30
	s_branch .LBB57_31
.LBB57_29:
                                        ; implicit-def: $vgpr118_vgpr119
.LBB57_30:
	ds_read_b64 v[118:119], v120
.LBB57_31:
	s_and_saveexec_b64 s[12:13], s[4:5]
	s_cbranch_execz .LBB57_35
; %bb.32:
	v_subrev_u32_e32 v176, 54, v0
	s_movk_i32 s14, 0x380
	s_mov_b64 s[4:5], 0
.LBB57_33:                              ; =>This Inner Loop Header: Depth=1
	buffer_load_dword v178, v175, s[0:3], 0 offen
	buffer_load_dword v179, v175, s[0:3], 0 offen offset:4
	v_mov_b32_e32 v177, s14
	ds_read_b64 v[180:181], v177
	v_add_u32_e32 v176, -1, v176
	s_add_i32 s14, s14, 8
	v_cmp_eq_u32_e32 vcc, 0, v176
	v_add_u32_e32 v175, 8, v175
	s_or_b64 s[4:5], vcc, s[4:5]
	s_waitcnt vmcnt(0) lgkmcnt(0)
	v_fmac_f64_e32 v[118:119], v[178:179], v[180:181]
	s_andn2_b64 exec, exec, s[4:5]
	s_cbranch_execnz .LBB57_33
; %bb.34:
	s_or_b64 exec, exec, s[4:5]
.LBB57_35:
	s_or_b64 exec, exec, s[12:13]
	v_mov_b32_e32 v175, 0
	ds_read_b64 v[176:177], v175 offset:424
	s_waitcnt lgkmcnt(0)
	v_mul_f64 v[118:119], v[118:119], v[176:177]
	buffer_store_dword v119, off, s[0:3], 0 offset:428
	buffer_store_dword v118, off, s[0:3], 0 offset:424
.LBB57_36:
	;; [unrolled: 58-line block ×8, first 2 shown]
	s_or_b64 exec, exec, s[10:11]
	buffer_load_dword v118, off, s[0:3], 0 offset:368
	buffer_load_dword v119, off, s[0:3], 0 offset:372
	v_cmp_lt_u32_e64 s[4:5], 46, v0
	s_waitcnt vmcnt(0)
	ds_write_b64 v120, v[118:119]
	s_waitcnt lgkmcnt(0)
	; wave barrier
	s_waitcnt lgkmcnt(0)
	s_and_saveexec_b64 s[10:11], s[4:5]
	s_cbranch_execz .LBB57_106
; %bb.97:
	s_andn2_b64 vcc, exec, s[8:9]
	s_cbranch_vccnz .LBB57_99
; %bb.98:
	buffer_load_dword v118, v121, s[0:3], 0 offen
	buffer_load_dword v119, v121, s[0:3], 0 offen offset:4
	ds_read_b64 v[170:171], v120
	s_waitcnt vmcnt(0) lgkmcnt(0)
	v_mul_f64 v[118:119], v[118:119], v[170:171]
	s_cbranch_execz .LBB57_100
	s_branch .LBB57_101
.LBB57_99:
                                        ; implicit-def: $vgpr118_vgpr119
.LBB57_100:
	ds_read_b64 v[118:119], v120
.LBB57_101:
	s_and_saveexec_b64 s[12:13], s[6:7]
	s_cbranch_execz .LBB57_105
; %bb.102:
	v_subrev_u32_e32 v169, 47, v0
	s_movk_i32 s14, 0x348
	s_mov_b64 s[6:7], 0
.LBB57_103:                             ; =>This Inner Loop Header: Depth=1
	buffer_load_dword v170, v168, s[0:3], 0 offen
	buffer_load_dword v171, v168, s[0:3], 0 offen offset:4
	v_mov_b32_e32 v172, s14
	ds_read_b64 v[172:173], v172
	v_add_u32_e32 v169, -1, v169
	s_add_i32 s14, s14, 8
	v_cmp_eq_u32_e32 vcc, 0, v169
	v_add_u32_e32 v168, 8, v168
	s_or_b64 s[6:7], vcc, s[6:7]
	s_waitcnt vmcnt(0) lgkmcnt(0)
	v_fmac_f64_e32 v[118:119], v[170:171], v[172:173]
	s_andn2_b64 exec, exec, s[6:7]
	s_cbranch_execnz .LBB57_103
; %bb.104:
	s_or_b64 exec, exec, s[6:7]
.LBB57_105:
	s_or_b64 exec, exec, s[12:13]
	v_mov_b32_e32 v168, 0
	ds_read_b64 v[168:169], v168 offset:368
	s_waitcnt lgkmcnt(0)
	v_mul_f64 v[118:119], v[118:119], v[168:169]
	buffer_store_dword v119, off, s[0:3], 0 offset:372
	buffer_store_dword v118, off, s[0:3], 0 offset:368
.LBB57_106:
	s_or_b64 exec, exec, s[10:11]
	buffer_load_dword v118, off, s[0:3], 0 offset:360
	buffer_load_dword v119, off, s[0:3], 0 offset:364
	v_cmp_lt_u32_e64 s[6:7], 45, v0
	s_waitcnt vmcnt(0)
	ds_write_b64 v120, v[118:119]
	s_waitcnt lgkmcnt(0)
	; wave barrier
	s_waitcnt lgkmcnt(0)
	s_and_saveexec_b64 s[10:11], s[6:7]
	s_cbranch_execz .LBB57_116
; %bb.107:
	s_andn2_b64 vcc, exec, s[8:9]
	s_cbranch_vccnz .LBB57_109
; %bb.108:
	buffer_load_dword v118, v121, s[0:3], 0 offen
	buffer_load_dword v119, v121, s[0:3], 0 offen offset:4
	ds_read_b64 v[168:169], v120
	s_waitcnt vmcnt(0) lgkmcnt(0)
	v_mul_f64 v[118:119], v[118:119], v[168:169]
	s_cbranch_execz .LBB57_110
	s_branch .LBB57_111
.LBB57_109:
                                        ; implicit-def: $vgpr118_vgpr119
.LBB57_110:
	ds_read_b64 v[118:119], v120
.LBB57_111:
	s_and_saveexec_b64 s[12:13], s[4:5]
	s_cbranch_execz .LBB57_115
; %bb.112:
	v_subrev_u32_e32 v168, 46, v0
	s_movk_i32 s14, 0x340
	s_mov_b64 s[4:5], 0
.LBB57_113:                             ; =>This Inner Loop Header: Depth=1
	buffer_load_dword v170, v167, s[0:3], 0 offen
	buffer_load_dword v171, v167, s[0:3], 0 offen offset:4
	v_mov_b32_e32 v169, s14
	ds_read_b64 v[172:173], v169
	v_add_u32_e32 v168, -1, v168
	s_add_i32 s14, s14, 8
	v_cmp_eq_u32_e32 vcc, 0, v168
	v_add_u32_e32 v167, 8, v167
	s_or_b64 s[4:5], vcc, s[4:5]
	s_waitcnt vmcnt(0) lgkmcnt(0)
	v_fmac_f64_e32 v[118:119], v[170:171], v[172:173]
	s_andn2_b64 exec, exec, s[4:5]
	s_cbranch_execnz .LBB57_113
; %bb.114:
	s_or_b64 exec, exec, s[4:5]
.LBB57_115:
	s_or_b64 exec, exec, s[12:13]
	v_mov_b32_e32 v167, 0
	ds_read_b64 v[168:169], v167 offset:360
	s_waitcnt lgkmcnt(0)
	v_mul_f64 v[118:119], v[118:119], v[168:169]
	buffer_store_dword v119, off, s[0:3], 0 offset:364
	buffer_store_dword v118, off, s[0:3], 0 offset:360
.LBB57_116:
	;; [unrolled: 58-line block ×31, first 2 shown]
	s_or_b64 exec, exec, s[10:11]
	buffer_load_dword v118, off, s[0:3], 0 offset:120
	buffer_load_dword v119, off, s[0:3], 0 offset:124
	v_cmp_lt_u32_e64 s[6:7], 15, v0
	s_waitcnt vmcnt(0)
	ds_write_b64 v120, v[118:119]
	s_waitcnt lgkmcnt(0)
	; wave barrier
	s_waitcnt lgkmcnt(0)
	s_and_saveexec_b64 s[10:11], s[6:7]
	s_cbranch_execz .LBB57_416
; %bb.407:
	s_andn2_b64 vcc, exec, s[8:9]
	s_cbranch_vccnz .LBB57_409
; %bb.408:
	buffer_load_dword v118, v121, s[0:3], 0 offen
	buffer_load_dword v119, v121, s[0:3], 0 offen offset:4
	ds_read_b64 v[138:139], v120
	s_waitcnt vmcnt(0) lgkmcnt(0)
	v_mul_f64 v[118:119], v[118:119], v[138:139]
	s_cbranch_execz .LBB57_410
	s_branch .LBB57_411
.LBB57_409:
                                        ; implicit-def: $vgpr118_vgpr119
.LBB57_410:
	ds_read_b64 v[118:119], v120
.LBB57_411:
	s_and_saveexec_b64 s[12:13], s[4:5]
	s_cbranch_execz .LBB57_415
; %bb.412:
	v_add_u32_e32 v138, -16, v0
	s_movk_i32 s14, 0x250
	s_mov_b64 s[4:5], 0
.LBB57_413:                             ; =>This Inner Loop Header: Depth=1
	buffer_load_dword v140, v137, s[0:3], 0 offen
	buffer_load_dword v141, v137, s[0:3], 0 offen offset:4
	v_mov_b32_e32 v139, s14
	ds_read_b64 v[142:143], v139
	v_add_u32_e32 v138, -1, v138
	s_add_i32 s14, s14, 8
	v_cmp_eq_u32_e32 vcc, 0, v138
	v_add_u32_e32 v137, 8, v137
	s_or_b64 s[4:5], vcc, s[4:5]
	s_waitcnt vmcnt(0) lgkmcnt(0)
	v_fmac_f64_e32 v[118:119], v[140:141], v[142:143]
	s_andn2_b64 exec, exec, s[4:5]
	s_cbranch_execnz .LBB57_413
; %bb.414:
	s_or_b64 exec, exec, s[4:5]
.LBB57_415:
	s_or_b64 exec, exec, s[12:13]
	v_mov_b32_e32 v137, 0
	ds_read_b64 v[138:139], v137 offset:120
	s_waitcnt lgkmcnt(0)
	v_mul_f64 v[118:119], v[118:119], v[138:139]
	buffer_store_dword v119, off, s[0:3], 0 offset:124
	buffer_store_dword v118, off, s[0:3], 0 offset:120
.LBB57_416:
	s_or_b64 exec, exec, s[10:11]
	buffer_load_dword v118, off, s[0:3], 0 offset:112
	buffer_load_dword v119, off, s[0:3], 0 offset:116
	v_cmp_lt_u32_e64 s[4:5], 14, v0
	s_waitcnt vmcnt(0)
	ds_write_b64 v120, v[118:119]
	s_waitcnt lgkmcnt(0)
	; wave barrier
	s_waitcnt lgkmcnt(0)
	s_and_saveexec_b64 s[10:11], s[4:5]
	s_cbranch_execz .LBB57_426
; %bb.417:
	s_andn2_b64 vcc, exec, s[8:9]
	s_cbranch_vccnz .LBB57_419
; %bb.418:
	buffer_load_dword v118, v121, s[0:3], 0 offen
	buffer_load_dword v119, v121, s[0:3], 0 offen offset:4
	ds_read_b64 v[138:139], v120
	s_waitcnt vmcnt(0) lgkmcnt(0)
	v_mul_f64 v[118:119], v[118:119], v[138:139]
	s_cbranch_execz .LBB57_420
	s_branch .LBB57_421
.LBB57_419:
                                        ; implicit-def: $vgpr118_vgpr119
.LBB57_420:
	ds_read_b64 v[118:119], v120
.LBB57_421:
	s_and_saveexec_b64 s[12:13], s[6:7]
	s_cbranch_execz .LBB57_425
; %bb.422:
	v_add_u32_e32 v137, -15, v0
	s_movk_i32 s14, 0x248
	s_mov_b64 s[6:7], 0
.LBB57_423:                             ; =>This Inner Loop Header: Depth=1
	buffer_load_dword v138, v136, s[0:3], 0 offen
	buffer_load_dword v139, v136, s[0:3], 0 offen offset:4
	v_mov_b32_e32 v140, s14
	ds_read_b64 v[140:141], v140
	v_add_u32_e32 v137, -1, v137
	s_add_i32 s14, s14, 8
	v_cmp_eq_u32_e32 vcc, 0, v137
	v_add_u32_e32 v136, 8, v136
	s_or_b64 s[6:7], vcc, s[6:7]
	s_waitcnt vmcnt(0) lgkmcnt(0)
	v_fmac_f64_e32 v[118:119], v[138:139], v[140:141]
	s_andn2_b64 exec, exec, s[6:7]
	s_cbranch_execnz .LBB57_423
; %bb.424:
	s_or_b64 exec, exec, s[6:7]
.LBB57_425:
	s_or_b64 exec, exec, s[12:13]
	v_mov_b32_e32 v136, 0
	ds_read_b64 v[136:137], v136 offset:112
	s_waitcnt lgkmcnt(0)
	v_mul_f64 v[118:119], v[118:119], v[136:137]
	buffer_store_dword v119, off, s[0:3], 0 offset:116
	buffer_store_dword v118, off, s[0:3], 0 offset:112
.LBB57_426:
	;; [unrolled: 58-line block ×15, first 2 shown]
	s_or_b64 exec, exec, s[10:11]
	buffer_load_dword v118, off, s[0:3], 0
	buffer_load_dword v119, off, s[0:3], 0 offset:4
	v_cmp_ne_u32_e32 vcc, 0, v0
	s_waitcnt vmcnt(0)
	ds_write_b64 v120, v[118:119]
	s_waitcnt lgkmcnt(0)
	; wave barrier
	s_waitcnt lgkmcnt(0)
	s_and_saveexec_b64 s[4:5], vcc
	s_cbranch_execz .LBB57_566
; %bb.557:
	s_andn2_b64 vcc, exec, s[8:9]
	s_cbranch_vccnz .LBB57_559
; %bb.558:
	buffer_load_dword v118, v121, s[0:3], 0 offen
	buffer_load_dword v119, v121, s[0:3], 0 offen offset:4
	ds_read_b64 v[124:125], v120
	s_waitcnt vmcnt(0) lgkmcnt(0)
	v_mul_f64 v[118:119], v[118:119], v[124:125]
	s_cbranch_execz .LBB57_560
	s_branch .LBB57_561
.LBB57_559:
                                        ; implicit-def: $vgpr118_vgpr119
.LBB57_560:
	ds_read_b64 v[118:119], v120
.LBB57_561:
	s_and_saveexec_b64 s[10:11], s[6:7]
	s_cbranch_execz .LBB57_565
; %bb.562:
	v_add_u32_e32 v123, -1, v0
	s_movk_i32 s12, 0x1d8
	s_mov_b64 s[6:7], 0
.LBB57_563:                             ; =>This Inner Loop Header: Depth=1
	buffer_load_dword v124, v122, s[0:3], 0 offen
	buffer_load_dword v125, v122, s[0:3], 0 offen offset:4
	v_mov_b32_e32 v126, s12
	ds_read_b64 v[126:127], v126
	v_add_u32_e32 v123, -1, v123
	s_add_i32 s12, s12, 8
	v_cmp_eq_u32_e32 vcc, 0, v123
	v_add_u32_e32 v122, 8, v122
	s_or_b64 s[6:7], vcc, s[6:7]
	s_waitcnt vmcnt(0) lgkmcnt(0)
	v_fmac_f64_e32 v[118:119], v[124:125], v[126:127]
	s_andn2_b64 exec, exec, s[6:7]
	s_cbranch_execnz .LBB57_563
; %bb.564:
	s_or_b64 exec, exec, s[6:7]
.LBB57_565:
	s_or_b64 exec, exec, s[10:11]
	v_mov_b32_e32 v122, 0
	ds_read_b64 v[122:123], v122
	s_waitcnt lgkmcnt(0)
	v_mul_f64 v[118:119], v[118:119], v[122:123]
	buffer_store_dword v119, off, s[0:3], 0 offset:4
	buffer_store_dword v118, off, s[0:3], 0
.LBB57_566:
	s_or_b64 exec, exec, s[4:5]
	s_mov_b64 s[4:5], 0
.LBB57_567:
	s_and_b64 vcc, exec, s[4:5]
	s_cbranch_vccz .LBB57_1131
; %bb.568:
	buffer_load_dword v118, off, s[0:3], 0 offset:8
	buffer_load_dword v119, off, s[0:3], 0 offset:12
	v_cmp_eq_u32_e64 s[6:7], 0, v0
	s_waitcnt vmcnt(0)
	ds_write_b64 v120, v[118:119]
	s_waitcnt lgkmcnt(0)
	; wave barrier
	s_waitcnt lgkmcnt(0)
	s_and_saveexec_b64 s[4:5], s[6:7]
	s_cbranch_execz .LBB57_574
; %bb.569:
	s_and_b64 vcc, exec, s[8:9]
	s_cbranch_vccz .LBB57_571
; %bb.570:
	buffer_load_dword v118, v121, s[0:3], 0 offen
	buffer_load_dword v119, v121, s[0:3], 0 offen offset:4
	ds_read_b64 v[122:123], v120
	s_waitcnt vmcnt(0) lgkmcnt(0)
	v_mul_f64 v[118:119], v[118:119], v[122:123]
	s_cbranch_execz .LBB57_572
	s_branch .LBB57_573
.LBB57_571:
                                        ; implicit-def: $vgpr118_vgpr119
.LBB57_572:
	ds_read_b64 v[118:119], v120
.LBB57_573:
	v_mov_b32_e32 v122, 0
	ds_read_b64 v[122:123], v122 offset:8
	s_waitcnt lgkmcnt(0)
	v_mul_f64 v[118:119], v[118:119], v[122:123]
	buffer_store_dword v119, off, s[0:3], 0 offset:12
	buffer_store_dword v118, off, s[0:3], 0 offset:8
.LBB57_574:
	s_or_b64 exec, exec, s[4:5]
	buffer_load_dword v118, off, s[0:3], 0 offset:16
	buffer_load_dword v119, off, s[0:3], 0 offset:20
	v_cndmask_b32_e64 v122, 0, 1, s[8:9]
	v_cmp_gt_u32_e32 vcc, 2, v0
	v_cmp_ne_u32_e64 s[4:5], 1, v122
	s_waitcnt vmcnt(0)
	ds_write_b64 v120, v[118:119]
	s_waitcnt lgkmcnt(0)
	; wave barrier
	s_waitcnt lgkmcnt(0)
	s_and_saveexec_b64 s[8:9], vcc
	s_cbranch_execz .LBB57_582
; %bb.575:
	s_and_b64 vcc, exec, s[4:5]
	s_cbranch_vccnz .LBB57_577
; %bb.576:
	buffer_load_dword v118, v121, s[0:3], 0 offen
	buffer_load_dword v119, v121, s[0:3], 0 offen offset:4
	ds_read_b64 v[122:123], v120
	s_waitcnt vmcnt(0) lgkmcnt(0)
	v_mul_f64 v[118:119], v[118:119], v[122:123]
	s_cbranch_execz .LBB57_578
	s_branch .LBB57_579
.LBB57_577:
                                        ; implicit-def: $vgpr118_vgpr119
.LBB57_578:
	ds_read_b64 v[118:119], v120
.LBB57_579:
	s_and_saveexec_b64 s[10:11], s[6:7]
	s_cbranch_execz .LBB57_581
; %bb.580:
	buffer_load_dword v122, v121, s[0:3], 0 offen offset:8
	buffer_load_dword v123, v121, s[0:3], 0 offen offset:12
	ds_read_b64 v[124:125], v120 offset:8
	s_waitcnt vmcnt(0) lgkmcnt(0)
	v_fmac_f64_e32 v[118:119], v[122:123], v[124:125]
.LBB57_581:
	s_or_b64 exec, exec, s[10:11]
	v_mov_b32_e32 v122, 0
	ds_read_b64 v[122:123], v122 offset:16
	s_waitcnt lgkmcnt(0)
	v_mul_f64 v[118:119], v[118:119], v[122:123]
	buffer_store_dword v119, off, s[0:3], 0 offset:20
	buffer_store_dword v118, off, s[0:3], 0 offset:16
.LBB57_582:
	s_or_b64 exec, exec, s[8:9]
	buffer_load_dword v118, off, s[0:3], 0 offset:24
	buffer_load_dword v119, off, s[0:3], 0 offset:28
	v_cmp_gt_u32_e32 vcc, 3, v0
	s_waitcnt vmcnt(0)
	ds_write_b64 v120, v[118:119]
	s_waitcnt lgkmcnt(0)
	; wave barrier
	s_waitcnt lgkmcnt(0)
	s_and_saveexec_b64 s[8:9], vcc
	s_cbranch_execz .LBB57_590
; %bb.583:
	s_and_b64 vcc, exec, s[4:5]
	s_cbranch_vccnz .LBB57_585
; %bb.584:
	buffer_load_dword v118, v121, s[0:3], 0 offen
	buffer_load_dword v119, v121, s[0:3], 0 offen offset:4
	ds_read_b64 v[122:123], v120
	s_waitcnt vmcnt(0) lgkmcnt(0)
	v_mul_f64 v[118:119], v[118:119], v[122:123]
	s_cbranch_execz .LBB57_586
	s_branch .LBB57_587
.LBB57_585:
                                        ; implicit-def: $vgpr118_vgpr119
.LBB57_586:
	ds_read_b64 v[118:119], v120
.LBB57_587:
	v_cmp_ne_u32_e32 vcc, 2, v0
	s_and_saveexec_b64 s[10:11], vcc
	s_cbranch_execz .LBB57_589
; %bb.588:
	buffer_load_dword v123, v121, s[0:3], 0 offen offset:12
	buffer_load_dword v124, off, s[0:3], 0 offset:16
	buffer_load_dword v122, v121, s[0:3], 0 offen offset:8
	buffer_load_dword v125, off, s[0:3], 0 offset:20
	v_mov_b32_e32 v128, 0
	ds_read_b64 v[126:127], v120 offset:8
	ds_read_b64 v[128:129], v128 offset:480
	s_waitcnt vmcnt(1) lgkmcnt(1)
	v_fmac_f64_e32 v[118:119], v[122:123], v[126:127]
	s_waitcnt vmcnt(0) lgkmcnt(0)
	v_fma_f64 v[122:123], v[124:125], v[128:129], v[118:119]
	v_cndmask_b32_e64 v119, v119, v123, s[6:7]
	v_cndmask_b32_e64 v118, v118, v122, s[6:7]
.LBB57_589:
	s_or_b64 exec, exec, s[10:11]
	v_mov_b32_e32 v122, 0
	ds_read_b64 v[122:123], v122 offset:24
	s_waitcnt lgkmcnt(0)
	v_mul_f64 v[118:119], v[118:119], v[122:123]
	buffer_store_dword v119, off, s[0:3], 0 offset:28
	buffer_store_dword v118, off, s[0:3], 0 offset:24
.LBB57_590:
	s_or_b64 exec, exec, s[8:9]
	buffer_load_dword v118, off, s[0:3], 0 offset:32
	buffer_load_dword v119, off, s[0:3], 0 offset:36
	v_cmp_gt_u32_e32 vcc, 4, v0
	s_waitcnt vmcnt(0)
	ds_write_b64 v120, v[118:119]
	s_waitcnt lgkmcnt(0)
	; wave barrier
	s_waitcnt lgkmcnt(0)
	s_and_saveexec_b64 s[6:7], vcc
	s_cbranch_execz .LBB57_600
; %bb.591:
	s_and_b64 vcc, exec, s[4:5]
	s_cbranch_vccnz .LBB57_593
; %bb.592:
	buffer_load_dword v118, v121, s[0:3], 0 offen
	buffer_load_dword v119, v121, s[0:3], 0 offen offset:4
	ds_read_b64 v[122:123], v120
	s_waitcnt vmcnt(0) lgkmcnt(0)
	v_mul_f64 v[118:119], v[118:119], v[122:123]
	s_cbranch_execz .LBB57_594
	s_branch .LBB57_595
.LBB57_593:
                                        ; implicit-def: $vgpr118_vgpr119
.LBB57_594:
	ds_read_b64 v[118:119], v120
.LBB57_595:
	v_cmp_ne_u32_e32 vcc, 3, v0
	s_and_saveexec_b64 s[8:9], vcc
	s_cbranch_execz .LBB57_599
; %bb.596:
	v_mov_b32_e32 v123, 0
	v_add_u32_e32 v122, 0x1d8, v1
	v_add3_u32 v123, v1, v123, 8
	s_mov_b64 s[10:11], 0
	v_mov_b32_e32 v124, v0
.LBB57_597:                             ; =>This Inner Loop Header: Depth=1
	buffer_load_dword v126, v123, s[0:3], 0 offen
	buffer_load_dword v127, v123, s[0:3], 0 offen offset:4
	ds_read_b64 v[128:129], v122
	v_add_u32_e32 v124, 1, v124
	v_cmp_lt_u32_e32 vcc, 2, v124
	v_add_u32_e32 v122, 8, v122
	v_add_u32_e32 v123, 8, v123
	s_or_b64 s[10:11], vcc, s[10:11]
	s_waitcnt vmcnt(0) lgkmcnt(0)
	v_fmac_f64_e32 v[118:119], v[126:127], v[128:129]
	s_andn2_b64 exec, exec, s[10:11]
	s_cbranch_execnz .LBB57_597
; %bb.598:
	s_or_b64 exec, exec, s[10:11]
.LBB57_599:
	s_or_b64 exec, exec, s[8:9]
	v_mov_b32_e32 v122, 0
	ds_read_b64 v[122:123], v122 offset:32
	s_waitcnt lgkmcnt(0)
	v_mul_f64 v[118:119], v[118:119], v[122:123]
	buffer_store_dword v119, off, s[0:3], 0 offset:36
	buffer_store_dword v118, off, s[0:3], 0 offset:32
.LBB57_600:
	s_or_b64 exec, exec, s[6:7]
	buffer_load_dword v118, off, s[0:3], 0 offset:40
	buffer_load_dword v119, off, s[0:3], 0 offset:44
	v_cmp_gt_u32_e32 vcc, 5, v0
	s_waitcnt vmcnt(0)
	ds_write_b64 v120, v[118:119]
	s_waitcnt lgkmcnt(0)
	; wave barrier
	s_waitcnt lgkmcnt(0)
	s_and_saveexec_b64 s[6:7], vcc
	s_cbranch_execz .LBB57_610
; %bb.601:
	s_and_b64 vcc, exec, s[4:5]
	s_cbranch_vccnz .LBB57_603
; %bb.602:
	buffer_load_dword v118, v121, s[0:3], 0 offen
	buffer_load_dword v119, v121, s[0:3], 0 offen offset:4
	ds_read_b64 v[122:123], v120
	s_waitcnt vmcnt(0) lgkmcnt(0)
	v_mul_f64 v[118:119], v[118:119], v[122:123]
	s_cbranch_execz .LBB57_604
	s_branch .LBB57_605
.LBB57_603:
                                        ; implicit-def: $vgpr118_vgpr119
.LBB57_604:
	ds_read_b64 v[118:119], v120
.LBB57_605:
	v_cmp_ne_u32_e32 vcc, 4, v0
	s_and_saveexec_b64 s[8:9], vcc
	s_cbranch_execz .LBB57_609
; %bb.606:
	v_mov_b32_e32 v123, 0
	v_add_u32_e32 v122, 0x1d8, v1
	v_add3_u32 v123, v1, v123, 8
	s_mov_b64 s[10:11], 0
	v_mov_b32_e32 v124, v0
.LBB57_607:                             ; =>This Inner Loop Header: Depth=1
	buffer_load_dword v126, v123, s[0:3], 0 offen
	buffer_load_dword v127, v123, s[0:3], 0 offen offset:4
	ds_read_b64 v[128:129], v122
	v_add_u32_e32 v124, 1, v124
	v_cmp_lt_u32_e32 vcc, 3, v124
	v_add_u32_e32 v122, 8, v122
	v_add_u32_e32 v123, 8, v123
	s_or_b64 s[10:11], vcc, s[10:11]
	s_waitcnt vmcnt(0) lgkmcnt(0)
	v_fmac_f64_e32 v[118:119], v[126:127], v[128:129]
	s_andn2_b64 exec, exec, s[10:11]
	s_cbranch_execnz .LBB57_607
; %bb.608:
	s_or_b64 exec, exec, s[10:11]
.LBB57_609:
	s_or_b64 exec, exec, s[8:9]
	v_mov_b32_e32 v122, 0
	ds_read_b64 v[122:123], v122 offset:40
	s_waitcnt lgkmcnt(0)
	v_mul_f64 v[118:119], v[118:119], v[122:123]
	buffer_store_dword v119, off, s[0:3], 0 offset:44
	buffer_store_dword v118, off, s[0:3], 0 offset:40
.LBB57_610:
	;; [unrolled: 60-line block ×41, first 2 shown]
	s_or_b64 exec, exec, s[6:7]
	buffer_load_dword v118, off, s[0:3], 0 offset:360
	buffer_load_dword v119, off, s[0:3], 0 offset:364
	v_cmp_gt_u32_e32 vcc, 45, v0
	s_waitcnt vmcnt(0)
	ds_write_b64 v120, v[118:119]
	s_waitcnt lgkmcnt(0)
	; wave barrier
	s_waitcnt lgkmcnt(0)
	s_and_saveexec_b64 s[6:7], vcc
	s_cbranch_execz .LBB57_1010
; %bb.1001:
	s_and_b64 vcc, exec, s[4:5]
	s_cbranch_vccnz .LBB57_1003
; %bb.1002:
	buffer_load_dword v118, v121, s[0:3], 0 offen
	buffer_load_dword v119, v121, s[0:3], 0 offen offset:4
	ds_read_b64 v[122:123], v120
	s_waitcnt vmcnt(0) lgkmcnt(0)
	v_mul_f64 v[118:119], v[118:119], v[122:123]
	s_cbranch_execz .LBB57_1004
	s_branch .LBB57_1005
.LBB57_1003:
                                        ; implicit-def: $vgpr118_vgpr119
.LBB57_1004:
	ds_read_b64 v[118:119], v120
.LBB57_1005:
	v_cmp_ne_u32_e32 vcc, 44, v0
	s_and_saveexec_b64 s[8:9], vcc
	s_cbranch_execz .LBB57_1009
; %bb.1006:
	v_mov_b32_e32 v123, 0
	v_add_u32_e32 v122, 0x1d8, v1
	v_add3_u32 v123, v1, v123, 8
	s_mov_b64 s[10:11], 0
	v_mov_b32_e32 v124, v0
.LBB57_1007:                            ; =>This Inner Loop Header: Depth=1
	buffer_load_dword v126, v123, s[0:3], 0 offen
	buffer_load_dword v127, v123, s[0:3], 0 offen offset:4
	ds_read_b64 v[128:129], v122
	v_add_u32_e32 v124, 1, v124
	v_cmp_lt_u32_e32 vcc, 43, v124
	v_add_u32_e32 v122, 8, v122
	v_add_u32_e32 v123, 8, v123
	s_or_b64 s[10:11], vcc, s[10:11]
	s_waitcnt vmcnt(0) lgkmcnt(0)
	v_fmac_f64_e32 v[118:119], v[126:127], v[128:129]
	s_andn2_b64 exec, exec, s[10:11]
	s_cbranch_execnz .LBB57_1007
; %bb.1008:
	s_or_b64 exec, exec, s[10:11]
.LBB57_1009:
	s_or_b64 exec, exec, s[8:9]
	v_mov_b32_e32 v122, 0
	ds_read_b64 v[122:123], v122 offset:360
	s_waitcnt lgkmcnt(0)
	v_mul_f64 v[118:119], v[118:119], v[122:123]
	buffer_store_dword v119, off, s[0:3], 0 offset:364
	buffer_store_dword v118, off, s[0:3], 0 offset:360
.LBB57_1010:
	s_or_b64 exec, exec, s[6:7]
	buffer_load_dword v118, off, s[0:3], 0 offset:368
	buffer_load_dword v119, off, s[0:3], 0 offset:372
	v_cmp_gt_u32_e32 vcc, 46, v0
	s_waitcnt vmcnt(0)
	ds_write_b64 v120, v[118:119]
	s_waitcnt lgkmcnt(0)
	; wave barrier
	s_waitcnt lgkmcnt(0)
	s_and_saveexec_b64 s[6:7], vcc
	s_cbranch_execz .LBB57_1020
; %bb.1011:
	s_and_b64 vcc, exec, s[4:5]
	s_cbranch_vccnz .LBB57_1013
; %bb.1012:
	buffer_load_dword v118, v121, s[0:3], 0 offen
	buffer_load_dword v119, v121, s[0:3], 0 offen offset:4
	ds_read_b64 v[122:123], v120
	s_waitcnt vmcnt(0) lgkmcnt(0)
	v_mul_f64 v[118:119], v[118:119], v[122:123]
	s_cbranch_execz .LBB57_1014
	s_branch .LBB57_1015
.LBB57_1013:
                                        ; implicit-def: $vgpr118_vgpr119
.LBB57_1014:
	ds_read_b64 v[118:119], v120
.LBB57_1015:
	v_cmp_ne_u32_e32 vcc, 45, v0
	s_and_saveexec_b64 s[8:9], vcc
	s_cbranch_execz .LBB57_1019
; %bb.1016:
	v_mov_b32_e32 v123, 0
	v_add_u32_e32 v122, 0x1d8, v1
	v_add3_u32 v123, v1, v123, 8
	s_mov_b64 s[10:11], 0
	v_mov_b32_e32 v124, v0
.LBB57_1017:                            ; =>This Inner Loop Header: Depth=1
	buffer_load_dword v126, v123, s[0:3], 0 offen
	buffer_load_dword v127, v123, s[0:3], 0 offen offset:4
	ds_read_b64 v[128:129], v122
	v_add_u32_e32 v124, 1, v124
	v_cmp_lt_u32_e32 vcc, 44, v124
	v_add_u32_e32 v122, 8, v122
	v_add_u32_e32 v123, 8, v123
	s_or_b64 s[10:11], vcc, s[10:11]
	s_waitcnt vmcnt(0) lgkmcnt(0)
	v_fmac_f64_e32 v[118:119], v[126:127], v[128:129]
	s_andn2_b64 exec, exec, s[10:11]
	s_cbranch_execnz .LBB57_1017
; %bb.1018:
	s_or_b64 exec, exec, s[10:11]
.LBB57_1019:
	s_or_b64 exec, exec, s[8:9]
	v_mov_b32_e32 v122, 0
	ds_read_b64 v[122:123], v122 offset:368
	s_waitcnt lgkmcnt(0)
	v_mul_f64 v[118:119], v[118:119], v[122:123]
	buffer_store_dword v119, off, s[0:3], 0 offset:372
	buffer_store_dword v118, off, s[0:3], 0 offset:368
.LBB57_1020:
	;; [unrolled: 60-line block ×11, first 2 shown]
	s_or_b64 exec, exec, s[6:7]
	buffer_load_dword v118, off, s[0:3], 0 offset:448
	buffer_load_dword v119, off, s[0:3], 0 offset:452
	v_cmp_gt_u32_e64 s[6:7], 56, v0
	s_waitcnt vmcnt(0)
	ds_write_b64 v120, v[118:119]
	s_waitcnt lgkmcnt(0)
	; wave barrier
	s_waitcnt lgkmcnt(0)
	s_and_saveexec_b64 s[8:9], s[6:7]
	s_cbranch_execz .LBB57_1120
; %bb.1111:
	s_and_b64 vcc, exec, s[4:5]
	s_cbranch_vccnz .LBB57_1113
; %bb.1112:
	buffer_load_dword v118, v121, s[0:3], 0 offen
	buffer_load_dword v119, v121, s[0:3], 0 offen offset:4
	ds_read_b64 v[122:123], v120
	s_waitcnt vmcnt(0) lgkmcnt(0)
	v_mul_f64 v[118:119], v[118:119], v[122:123]
	s_cbranch_execz .LBB57_1114
	s_branch .LBB57_1115
.LBB57_1113:
                                        ; implicit-def: $vgpr118_vgpr119
.LBB57_1114:
	ds_read_b64 v[118:119], v120
.LBB57_1115:
	v_cmp_ne_u32_e32 vcc, 55, v0
	s_and_saveexec_b64 s[10:11], vcc
	s_cbranch_execz .LBB57_1119
; %bb.1116:
	v_mov_b32_e32 v123, 0
	v_add_u32_e32 v122, 0x1d8, v1
	v_add3_u32 v123, v1, v123, 8
	s_mov_b64 s[12:13], 0
	v_mov_b32_e32 v124, v0
.LBB57_1117:                            ; =>This Inner Loop Header: Depth=1
	buffer_load_dword v126, v123, s[0:3], 0 offen
	buffer_load_dword v127, v123, s[0:3], 0 offen offset:4
	ds_read_b64 v[128:129], v122
	v_add_u32_e32 v124, 1, v124
	v_cmp_lt_u32_e32 vcc, 54, v124
	v_add_u32_e32 v122, 8, v122
	v_add_u32_e32 v123, 8, v123
	s_or_b64 s[12:13], vcc, s[12:13]
	s_waitcnt vmcnt(0) lgkmcnt(0)
	v_fmac_f64_e32 v[118:119], v[126:127], v[128:129]
	s_andn2_b64 exec, exec, s[12:13]
	s_cbranch_execnz .LBB57_1117
; %bb.1118:
	s_or_b64 exec, exec, s[12:13]
.LBB57_1119:
	s_or_b64 exec, exec, s[10:11]
	v_mov_b32_e32 v122, 0
	ds_read_b64 v[122:123], v122 offset:448
	s_waitcnt lgkmcnt(0)
	v_mul_f64 v[118:119], v[118:119], v[122:123]
	buffer_store_dword v119, off, s[0:3], 0 offset:452
	buffer_store_dword v118, off, s[0:3], 0 offset:448
.LBB57_1120:
	s_or_b64 exec, exec, s[8:9]
	buffer_load_dword v118, off, s[0:3], 0 offset:456
	buffer_load_dword v119, off, s[0:3], 0 offset:460
	v_cmp_ne_u32_e32 vcc, 57, v0
	s_waitcnt vmcnt(0)
	ds_write_b64 v120, v[118:119]
	s_waitcnt lgkmcnt(0)
	; wave barrier
	s_waitcnt lgkmcnt(0)
	s_and_saveexec_b64 s[8:9], vcc
	s_cbranch_execz .LBB57_1130
; %bb.1121:
	s_and_b64 vcc, exec, s[4:5]
	s_cbranch_vccnz .LBB57_1123
; %bb.1122:
	buffer_load_dword v118, v121, s[0:3], 0 offen
	buffer_load_dword v119, v121, s[0:3], 0 offen offset:4
	ds_read_b64 v[122:123], v120
	s_waitcnt vmcnt(0) lgkmcnt(0)
	v_mul_f64 v[118:119], v[118:119], v[122:123]
	s_cbranch_execz .LBB57_1124
	s_branch .LBB57_1125
.LBB57_1123:
                                        ; implicit-def: $vgpr118_vgpr119
.LBB57_1124:
	ds_read_b64 v[118:119], v120
.LBB57_1125:
	s_and_saveexec_b64 s[4:5], s[6:7]
	s_cbranch_execz .LBB57_1129
; %bb.1126:
	v_mov_b32_e32 v121, 0
	v_add_u32_e32 v120, 0x1d8, v1
	v_add3_u32 v1, v1, v121, 8
	s_mov_b64 s[6:7], 0
.LBB57_1127:                            ; =>This Inner Loop Header: Depth=1
	buffer_load_dword v122, v1, s[0:3], 0 offen
	buffer_load_dword v123, v1, s[0:3], 0 offen offset:4
	ds_read_b64 v[124:125], v120
	v_add_u32_e32 v0, 1, v0
	v_cmp_lt_u32_e32 vcc, 55, v0
	v_add_u32_e32 v120, 8, v120
	v_add_u32_e32 v1, 8, v1
	s_or_b64 s[6:7], vcc, s[6:7]
	s_waitcnt vmcnt(0) lgkmcnt(0)
	v_fmac_f64_e32 v[118:119], v[122:123], v[124:125]
	s_andn2_b64 exec, exec, s[6:7]
	s_cbranch_execnz .LBB57_1127
; %bb.1128:
	s_or_b64 exec, exec, s[6:7]
.LBB57_1129:
	s_or_b64 exec, exec, s[4:5]
	v_mov_b32_e32 v0, 0
	ds_read_b64 v[0:1], v0 offset:456
	s_waitcnt lgkmcnt(0)
	v_mul_f64 v[0:1], v[118:119], v[0:1]
	buffer_store_dword v1, off, s[0:3], 0 offset:460
	buffer_store_dword v0, off, s[0:3], 0 offset:456
.LBB57_1130:
	s_or_b64 exec, exec, s[8:9]
.LBB57_1131:
	buffer_load_dword v0, off, s[0:3], 0
	buffer_load_dword v1, off, s[0:3], 0 offset:4
	buffer_load_dword v118, off, s[0:3], 0 offset:8
	;; [unrolled: 1-line block ×115, first 2 shown]
	s_waitcnt vmcnt(62)
	global_store_dwordx2 v[108:109], v[0:1], off
	global_store_dwordx2 v[110:111], v[118:119], off
	;; [unrolled: 1-line block ×27, first 2 shown]
	s_waitcnt vmcnt(62)
	global_store_dwordx2 v[52:53], v[170:171], off
	global_store_dwordx2 v[54:55], v[172:173], off
	;; [unrolled: 1-line block ×13, first 2 shown]
	s_waitcnt vmcnt(62)
	global_store_dwordx2 v[78:79], v[196:197], off
	global_store_dwordx2 v[80:81], v[198:199], off
	;; [unrolled: 1-line block ×7, first 2 shown]
	s_waitcnt vmcnt(62)
	global_store_dwordx2 v[92:93], v[210:211], off
	global_store_dwordx2 v[94:95], v[212:213], off
	;; [unrolled: 1-line block ×3, first 2 shown]
	s_waitcnt vmcnt(62)
	global_store_dwordx2 v[98:99], v[216:217], off
	global_store_dwordx2 v[100:101], v[218:219], off
	s_waitcnt vmcnt(62)
	global_store_dwordx2 v[102:103], v[220:221], off
	s_waitcnt vmcnt(61)
	;; [unrolled: 2-line block ×6, first 2 shown]
	global_store_dwordx2 v[116:117], v[230:231], off
.LBB57_1132:
	s_endpgm
	.section	.rodata,"a",@progbits
	.p2align	6, 0x0
	.amdhsa_kernel _ZN9rocsolver6v33100L18trti2_kernel_smallILi58EdPdEEv13rocblas_fill_17rocblas_diagonal_T1_iil
		.amdhsa_group_segment_fixed_size 928
		.amdhsa_private_segment_fixed_size 480
		.amdhsa_kernarg_size 32
		.amdhsa_user_sgpr_count 8
		.amdhsa_user_sgpr_private_segment_buffer 1
		.amdhsa_user_sgpr_dispatch_ptr 0
		.amdhsa_user_sgpr_queue_ptr 0
		.amdhsa_user_sgpr_kernarg_segment_ptr 1
		.amdhsa_user_sgpr_dispatch_id 0
		.amdhsa_user_sgpr_flat_scratch_init 1
		.amdhsa_user_sgpr_kernarg_preload_length 0
		.amdhsa_user_sgpr_kernarg_preload_offset 0
		.amdhsa_user_sgpr_private_segment_size 0
		.amdhsa_uses_dynamic_stack 0
		.amdhsa_system_sgpr_private_segment_wavefront_offset 1
		.amdhsa_system_sgpr_workgroup_id_x 1
		.amdhsa_system_sgpr_workgroup_id_y 0
		.amdhsa_system_sgpr_workgroup_id_z 0
		.amdhsa_system_sgpr_workgroup_info 0
		.amdhsa_system_vgpr_workitem_id 0
		.amdhsa_next_free_vgpr 232
		.amdhsa_next_free_sgpr 20
		.amdhsa_accum_offset 232
		.amdhsa_reserve_vcc 1
		.amdhsa_reserve_flat_scratch 0
		.amdhsa_float_round_mode_32 0
		.amdhsa_float_round_mode_16_64 0
		.amdhsa_float_denorm_mode_32 3
		.amdhsa_float_denorm_mode_16_64 3
		.amdhsa_dx10_clamp 1
		.amdhsa_ieee_mode 1
		.amdhsa_fp16_overflow 0
		.amdhsa_tg_split 0
		.amdhsa_exception_fp_ieee_invalid_op 0
		.amdhsa_exception_fp_denorm_src 0
		.amdhsa_exception_fp_ieee_div_zero 0
		.amdhsa_exception_fp_ieee_overflow 0
		.amdhsa_exception_fp_ieee_underflow 0
		.amdhsa_exception_fp_ieee_inexact 0
		.amdhsa_exception_int_div_zero 0
	.end_amdhsa_kernel
	.section	.text._ZN9rocsolver6v33100L18trti2_kernel_smallILi58EdPdEEv13rocblas_fill_17rocblas_diagonal_T1_iil,"axG",@progbits,_ZN9rocsolver6v33100L18trti2_kernel_smallILi58EdPdEEv13rocblas_fill_17rocblas_diagonal_T1_iil,comdat
.Lfunc_end57:
	.size	_ZN9rocsolver6v33100L18trti2_kernel_smallILi58EdPdEEv13rocblas_fill_17rocblas_diagonal_T1_iil, .Lfunc_end57-_ZN9rocsolver6v33100L18trti2_kernel_smallILi58EdPdEEv13rocblas_fill_17rocblas_diagonal_T1_iil
                                        ; -- End function
	.section	.AMDGPU.csdata,"",@progbits
; Kernel info:
; codeLenInByte = 33704
; NumSgprs: 24
; NumVgprs: 232
; NumAgprs: 0
; TotalNumVgprs: 232
; ScratchSize: 480
; MemoryBound: 0
; FloatMode: 240
; IeeeMode: 1
; LDSByteSize: 928 bytes/workgroup (compile time only)
; SGPRBlocks: 2
; VGPRBlocks: 28
; NumSGPRsForWavesPerEU: 24
; NumVGPRsForWavesPerEU: 232
; AccumOffset: 232
; Occupancy: 2
; WaveLimiterHint : 0
; COMPUTE_PGM_RSRC2:SCRATCH_EN: 1
; COMPUTE_PGM_RSRC2:USER_SGPR: 8
; COMPUTE_PGM_RSRC2:TRAP_HANDLER: 0
; COMPUTE_PGM_RSRC2:TGID_X_EN: 1
; COMPUTE_PGM_RSRC2:TGID_Y_EN: 0
; COMPUTE_PGM_RSRC2:TGID_Z_EN: 0
; COMPUTE_PGM_RSRC2:TIDIG_COMP_CNT: 0
; COMPUTE_PGM_RSRC3_GFX90A:ACCUM_OFFSET: 57
; COMPUTE_PGM_RSRC3_GFX90A:TG_SPLIT: 0
	.section	.text._ZN9rocsolver6v33100L18trti2_kernel_smallILi59EdPdEEv13rocblas_fill_17rocblas_diagonal_T1_iil,"axG",@progbits,_ZN9rocsolver6v33100L18trti2_kernel_smallILi59EdPdEEv13rocblas_fill_17rocblas_diagonal_T1_iil,comdat
	.globl	_ZN9rocsolver6v33100L18trti2_kernel_smallILi59EdPdEEv13rocblas_fill_17rocblas_diagonal_T1_iil ; -- Begin function _ZN9rocsolver6v33100L18trti2_kernel_smallILi59EdPdEEv13rocblas_fill_17rocblas_diagonal_T1_iil
	.p2align	8
	.type	_ZN9rocsolver6v33100L18trti2_kernel_smallILi59EdPdEEv13rocblas_fill_17rocblas_diagonal_T1_iil,@function
_ZN9rocsolver6v33100L18trti2_kernel_smallILi59EdPdEEv13rocblas_fill_17rocblas_diagonal_T1_iil: ; @_ZN9rocsolver6v33100L18trti2_kernel_smallILi59EdPdEEv13rocblas_fill_17rocblas_diagonal_T1_iil
; %bb.0:
	s_add_u32 s0, s0, s9
	s_addc_u32 s1, s1, 0
	v_cmp_gt_u32_e32 vcc, 59, v0
	s_and_saveexec_b64 s[6:7], vcc
	s_cbranch_execz .LBB58_1152
; %bb.1:
	s_load_dwordx8 s[12:19], s[4:5], 0x0
	s_ashr_i32 s6, s8, 31
	v_lshlrev_b32_e32 v1, 3, v0
	v_mov_b32_e32 v175, 0
	s_waitcnt lgkmcnt(0)
	s_mul_i32 s7, s8, s19
	s_mul_hi_u32 s9, s8, s18
	s_add_i32 s7, s9, s7
	s_mul_i32 s6, s6, s18
	s_add_i32 s7, s7, s6
	s_mul_i32 s6, s8, s18
	s_ashr_i32 s5, s16, 31
	s_lshl_b64 s[6:7], s[6:7], 3
	s_mov_b32 s4, s16
	s_add_u32 s6, s14, s6
	s_addc_u32 s7, s15, s7
	s_lshl_b64 s[4:5], s[4:5], 3
	s_add_u32 s4, s6, s4
	s_addc_u32 s5, s7, s5
	v_mov_b32_e32 v3, s5
	v_add_co_u32_e32 v2, vcc, s4, v1
	s_ashr_i32 s7, s17, 31
	s_mov_b32 s6, s17
	v_addc_co_u32_e32 v3, vcc, 0, v3, vcc
	s_lshl_b64 s[6:7], s[6:7], 3
	v_add_co_u32_e32 v4, vcc, s6, v2
	s_add_i32 s6, s17, s17
	v_add_u32_e32 v8, s6, v0
	v_mov_b32_e32 v5, s7
	v_ashrrev_i32_e32 v9, 31, v8
	v_addc_co_u32_e32 v5, vcc, v3, v5, vcc
	v_lshlrev_b64 v[6:7], 3, v[8:9]
	v_add_u32_e32 v10, s17, v8
	v_mov_b32_e32 v9, s5
	v_add_co_u32_e32 v6, vcc, s4, v6
	v_ashrrev_i32_e32 v11, 31, v10
	v_addc_co_u32_e32 v7, vcc, v9, v7, vcc
	v_lshlrev_b64 v[8:9], 3, v[10:11]
	v_add_u32_e32 v12, s17, v10
	v_mov_b32_e32 v11, s5
	v_add_co_u32_e32 v8, vcc, s4, v8
	;; [unrolled: 6-line block ×14, first 2 shown]
	v_ashrrev_i32_e32 v37, 31, v36
	v_addc_co_u32_e32 v33, vcc, v35, v33, vcc
	v_lshlrev_b64 v[34:35], 3, v[36:37]
	global_load_dwordx2 v[40:41], v1, s[4:5]
	v_mov_b32_e32 v37, s5
	v_add_co_u32_e32 v34, vcc, s4, v34
	global_load_dwordx2 v[48:49], v[4:5], off
	global_load_dwordx2 v[46:47], v[6:7], off
	;; [unrolled: 1-line block ×12, first 2 shown]
	v_addc_co_u32_e32 v35, vcc, v37, v35, vcc
	global_load_dwordx2 v[70:71], v[28:29], off
	global_load_dwordx2 v[68:69], v[30:31], off
	;; [unrolled: 1-line block ×4, first 2 shown]
	v_add_u32_e32 v72, s17, v36
	v_add_u32_e32 v74, s17, v72
	;; [unrolled: 1-line block ×41, first 2 shown]
	v_ashrrev_i32_e32 v39, 31, v38
	v_lshlrev_b64 v[36:37], 3, v[38:39]
	v_mov_b32_e32 v39, s5
	v_add_co_u32_e32 v36, vcc, s4, v36
	v_add_u32_e32 v38, s17, v38
	v_addc_co_u32_e32 v37, vcc, v39, v37, vcc
	v_ashrrev_i32_e32 v39, 31, v38
	v_lshlrev_b64 v[38:39], 3, v[38:39]
	v_mov_b32_e32 v73, s5
	v_add_co_u32_e32 v38, vcc, s4, v38
	v_addc_co_u32_e32 v39, vcc, v73, v39, vcc
	v_ashrrev_i32_e32 v73, 31, v72
	global_load_dwordx2 v[146:147], v[36:37], off
	global_load_dwordx2 v[122:123], v[38:39], off
	s_waitcnt vmcnt(18)
	buffer_store_dword v41, off, s[0:3], 0 offset:4
	buffer_store_dword v40, off, s[0:3], 0
	v_lshlrev_b64 v[40:41], 3, v[72:73]
	s_waitcnt vmcnt(19)
	buffer_store_dword v49, off, s[0:3], 0 offset:12
	buffer_store_dword v48, off, s[0:3], 0 offset:8
	s_waitcnt vmcnt(20)
	buffer_store_dword v47, off, s[0:3], 0 offset:20
	buffer_store_dword v46, off, s[0:3], 0 offset:16
	;; [unrolled: 3-line block ×15, first 2 shown]
	s_waitcnt vmcnt(34)
	buffer_store_dword v120, off, s[0:3], 0 offset:128
	v_mov_b32_e32 v42, s5
	v_add_co_u32_e32 v40, vcc, s4, v40
	v_ashrrev_i32_e32 v75, 31, v74
	v_addc_co_u32_e32 v41, vcc, v42, v41, vcc
	v_lshlrev_b64 v[42:43], 3, v[74:75]
	v_mov_b32_e32 v44, s5
	v_add_co_u32_e32 v42, vcc, s4, v42
	v_ashrrev_i32_e32 v77, 31, v76
	v_addc_co_u32_e32 v43, vcc, v44, v43, vcc
	v_lshlrev_b64 v[44:45], 3, v[76:77]
	;; [unrolled: 5-line block ×38, first 2 shown]
	v_mov_b32_e32 v118, s5
	v_add_co_u32_e32 v116, vcc, s4, v116
	global_load_dwordx2 v[158:159], v[40:41], off
	global_load_dwordx2 v[160:161], v[42:43], off
	;; [unrolled: 1-line block ×36, first 2 shown]
	v_addc_co_u32_e32 v117, vcc, v118, v117, vcc
	global_load_dwordx2 v[150:151], v[112:113], off
	global_load_dwordx2 v[152:153], v[114:115], off
	;; [unrolled: 1-line block ×3, first 2 shown]
	v_ashrrev_i32_e32 v157, 31, v156
	v_lshlrev_b64 v[118:119], 3, v[156:157]
	v_mov_b32_e32 v120, s5
	v_add_co_u32_e32 v118, vcc, s4, v118
	v_addc_co_u32_e32 v119, vcc, v120, v119, vcc
	global_load_dwordx2 v[156:157], v[118:119], off
	s_nop 0
	buffer_store_dword v121, off, s[0:3], 0 offset:132
	s_waitcnt vmcnt(40)
	buffer_store_dword v158, off, s[0:3], 0 offset:136
	buffer_store_dword v159, off, s[0:3], 0 offset:140
	s_waitcnt vmcnt(41)
	buffer_store_dword v160, off, s[0:3], 0 offset:144
	buffer_store_dword v161, off, s[0:3], 0 offset:148
	s_waitcnt vmcnt(42)
	buffer_store_dword v163, off, s[0:3], 0 offset:156
	buffer_store_dword v162, off, s[0:3], 0 offset:152
	s_waitcnt vmcnt(43)
	buffer_store_dword v165, off, s[0:3], 0 offset:164
	buffer_store_dword v164, off, s[0:3], 0 offset:160
	s_waitcnt vmcnt(44)
	buffer_store_dword v166, off, s[0:3], 0 offset:168
	buffer_store_dword v167, off, s[0:3], 0 offset:172
	s_waitcnt vmcnt(45)
	buffer_store_dword v168, off, s[0:3], 0 offset:176
	buffer_store_dword v169, off, s[0:3], 0 offset:180
	s_waitcnt vmcnt(46)
	buffer_store_dword v170, off, s[0:3], 0 offset:184
	buffer_store_dword v171, off, s[0:3], 0 offset:188
	s_waitcnt vmcnt(47)
	buffer_store_dword v172, off, s[0:3], 0 offset:192
	buffer_store_dword v173, off, s[0:3], 0 offset:196
	s_waitcnt vmcnt(48)
	buffer_store_dword v177, off, s[0:3], 0 offset:204
	buffer_store_dword v176, off, s[0:3], 0 offset:200
	s_waitcnt vmcnt(49)
	buffer_store_dword v179, off, s[0:3], 0 offset:212
	buffer_store_dword v178, off, s[0:3], 0 offset:208
	s_waitcnt vmcnt(50)
	buffer_store_dword v180, off, s[0:3], 0 offset:216
	buffer_store_dword v181, off, s[0:3], 0 offset:220
	s_waitcnt vmcnt(51)
	buffer_store_dword v182, off, s[0:3], 0 offset:224
	buffer_store_dword v183, off, s[0:3], 0 offset:228
	s_waitcnt vmcnt(52)
	buffer_store_dword v184, off, s[0:3], 0 offset:232
	buffer_store_dword v185, off, s[0:3], 0 offset:236
	s_waitcnt vmcnt(53)
	buffer_store_dword v186, off, s[0:3], 0 offset:240
	buffer_store_dword v187, off, s[0:3], 0 offset:244
	s_waitcnt vmcnt(54)
	buffer_store_dword v189, off, s[0:3], 0 offset:252
	buffer_store_dword v188, off, s[0:3], 0 offset:248
	s_waitcnt vmcnt(55)
	buffer_store_dword v191, off, s[0:3], 0 offset:260
	buffer_store_dword v190, off, s[0:3], 0 offset:256
	s_waitcnt vmcnt(56)
	buffer_store_dword v192, off, s[0:3], 0 offset:264
	buffer_store_dword v193, off, s[0:3], 0 offset:268
	s_waitcnt vmcnt(57)
	buffer_store_dword v194, off, s[0:3], 0 offset:272
	buffer_store_dword v195, off, s[0:3], 0 offset:276
	s_waitcnt vmcnt(58)
	buffer_store_dword v196, off, s[0:3], 0 offset:280
	buffer_store_dword v197, off, s[0:3], 0 offset:284
	s_waitcnt vmcnt(59)
	buffer_store_dword v198, off, s[0:3], 0 offset:288
	buffer_store_dword v199, off, s[0:3], 0 offset:292
	s_waitcnt vmcnt(60)
	buffer_store_dword v201, off, s[0:3], 0 offset:300
	buffer_store_dword v200, off, s[0:3], 0 offset:296
	s_waitcnt vmcnt(61)
	buffer_store_dword v203, off, s[0:3], 0 offset:308
	buffer_store_dword v202, off, s[0:3], 0 offset:304
	s_waitcnt vmcnt(62)
	buffer_store_dword v204, off, s[0:3], 0 offset:312
	buffer_store_dword v205, off, s[0:3], 0 offset:316
	s_waitcnt vmcnt(62)
	buffer_store_dword v206, off, s[0:3], 0 offset:320
	buffer_store_dword v207, off, s[0:3], 0 offset:324
	buffer_store_dword v124, off, s[0:3], 0 offset:328
	;; [unrolled: 1-line block ×3, first 2 shown]
	s_waitcnt vmcnt(62)
	buffer_store_dword v126, off, s[0:3], 0 offset:336
	buffer_store_dword v127, off, s[0:3], 0 offset:340
	;; [unrolled: 1-line block ×8, first 2 shown]
	s_waitcnt vmcnt(62)
	buffer_store_dword v134, off, s[0:3], 0 offset:368
	buffer_store_dword v135, off, s[0:3], 0 offset:372
	;; [unrolled: 1-line block ×16, first 2 shown]
	s_waitcnt vmcnt(62)
	buffer_store_dword v152, off, s[0:3], 0 offset:432
	buffer_store_dword v153, off, s[0:3], 0 offset:436
	buffer_store_dword v155, off, s[0:3], 0 offset:444
	buffer_store_dword v154, off, s[0:3], 0 offset:440
	buffer_store_dword v157, off, s[0:3], 0 offset:452
	buffer_store_dword v156, off, s[0:3], 0 offset:448
	buffer_store_dword v146, off, s[0:3], 0 offset:456
	buffer_store_dword v147, off, s[0:3], 0 offset:460
	buffer_store_dword v122, off, s[0:3], 0 offset:464
	buffer_store_dword v123, off, s[0:3], 0 offset:468
	s_cmpk_lg_i32 s13, 0x84
	v_mov_b32_e32 v120, 0
	s_cselect_b64 s[8:9], -1, 0
	s_cmpk_eq_i32 s13, 0x84
	v_mov_b32_e32 v121, 0xbff00000
	s_cbranch_scc1 .LBB58_3
; %bb.2:
	v_lshl_add_u32 v130, v0, 3, v175
	buffer_load_dword v120, v130, s[0:3], 0 offen
	buffer_load_dword v121, v130, s[0:3], 0 offen offset:4
	s_waitcnt vmcnt(0)
	v_div_scale_f64 v[122:123], s[4:5], v[120:121], v[120:121], 1.0
	v_rcp_f64_e32 v[124:125], v[122:123]
	v_div_scale_f64 v[126:127], vcc, 1.0, v[120:121], 1.0
	v_fma_f64 v[128:129], -v[122:123], v[124:125], 1.0
	v_fmac_f64_e32 v[124:125], v[124:125], v[128:129]
	v_fma_f64 v[128:129], -v[122:123], v[124:125], 1.0
	v_fmac_f64_e32 v[124:125], v[124:125], v[128:129]
	v_mul_f64 v[128:129], v[126:127], v[124:125]
	v_fma_f64 v[122:123], -v[122:123], v[128:129], v[126:127]
	v_div_fmas_f64 v[122:123], v[122:123], v[124:125], v[128:129]
	v_div_fixup_f64 v[120:121], v[122:123], v[120:121], 1.0
	buffer_store_dword v120, v130, s[0:3], 0 offen
	buffer_store_dword v121, v130, s[0:3], 0 offen offset:4
	v_xor_b32_e32 v121, 0x80000000, v121
.LBB58_3:
	s_cmpk_eq_i32 s12, 0x79
	v_add_u32_e32 v122, 0x1e0, v1
	v_add_u32_e32 v123, 0, v1
	s_mov_b64 s[4:5], -1
	ds_write_b64 v1, v[120:121]
	s_cbranch_scc1 .LBB58_577
; %bb.4:
	buffer_load_dword v120, off, s[0:3], 0 offset:456
	buffer_load_dword v121, off, s[0:3], 0 offset:460
	v_cmp_eq_u32_e64 s[4:5], 58, v0
	s_waitcnt vmcnt(0)
	ds_write_b64 v122, v[120:121]
	s_waitcnt lgkmcnt(0)
	; wave barrier
	s_waitcnt lgkmcnt(0)
	s_and_saveexec_b64 s[6:7], s[4:5]
	s_cbranch_execz .LBB58_10
; %bb.5:
	s_and_b64 vcc, exec, s[8:9]
	s_cbranch_vccz .LBB58_7
; %bb.6:
	buffer_load_dword v120, v123, s[0:3], 0 offen
	buffer_load_dword v121, v123, s[0:3], 0 offen offset:4
	ds_read_b64 v[124:125], v122
	s_waitcnt vmcnt(0) lgkmcnt(0)
	v_mul_f64 v[120:121], v[120:121], v[124:125]
	s_cbranch_execz .LBB58_8
	s_branch .LBB58_9
.LBB58_7:
                                        ; implicit-def: $vgpr120_vgpr121
.LBB58_8:
	ds_read_b64 v[120:121], v122
.LBB58_9:
	v_mov_b32_e32 v124, 0
	ds_read_b64 v[124:125], v124 offset:456
	s_waitcnt lgkmcnt(0)
	v_mul_f64 v[120:121], v[120:121], v[124:125]
	buffer_store_dword v121, off, s[0:3], 0 offset:460
	buffer_store_dword v120, off, s[0:3], 0 offset:456
.LBB58_10:
	s_or_b64 exec, exec, s[6:7]
	buffer_load_dword v120, off, s[0:3], 0 offset:448
	buffer_load_dword v121, off, s[0:3], 0 offset:452
	v_or_b32_e32 v124, 8, v175
	v_add_u32_e32 v125, 16, v175
	v_add_u32_e32 v126, 24, v175
	;; [unrolled: 1-line block ×55, first 2 shown]
	v_cmp_lt_u32_e64 s[6:7], 56, v0
	s_waitcnt vmcnt(0)
	ds_write_b64 v122, v[120:121]
	s_waitcnt lgkmcnt(0)
	; wave barrier
	s_waitcnt lgkmcnt(0)
	s_and_saveexec_b64 s[10:11], s[6:7]
	s_cbranch_execz .LBB58_16
; %bb.11:
	s_andn2_b64 vcc, exec, s[8:9]
	s_cbranch_vccnz .LBB58_13
; %bb.12:
	buffer_load_dword v120, v123, s[0:3], 0 offen
	buffer_load_dword v121, v123, s[0:3], 0 offen offset:4
	ds_read_b64 v[180:181], v122
	s_waitcnt vmcnt(0) lgkmcnt(0)
	v_mul_f64 v[120:121], v[120:121], v[180:181]
	s_cbranch_execz .LBB58_14
	s_branch .LBB58_15
.LBB58_13:
                                        ; implicit-def: $vgpr120_vgpr121
.LBB58_14:
	ds_read_b64 v[120:121], v122
.LBB58_15:
	buffer_load_dword v184, off, s[0:3], 0 offset:456
	buffer_load_dword v185, off, s[0:3], 0 offset:460
	v_mov_b32_e32 v180, 0
	ds_read2_b64 v[180:183], v180 offset0:56 offset1:117
	s_waitcnt vmcnt(0) lgkmcnt(0)
	v_fma_f64 v[182:183], v[184:185], v[182:183], v[120:121]
	v_cndmask_b32_e64 v121, v121, v183, s[4:5]
	v_cndmask_b32_e64 v120, v120, v182, s[4:5]
	v_mul_f64 v[120:121], v[120:121], v[180:181]
	buffer_store_dword v121, off, s[0:3], 0 offset:452
	buffer_store_dword v120, off, s[0:3], 0 offset:448
.LBB58_16:
	s_or_b64 exec, exec, s[10:11]
	buffer_load_dword v120, off, s[0:3], 0 offset:440
	buffer_load_dword v121, off, s[0:3], 0 offset:444
	v_cmp_lt_u32_e64 s[4:5], 55, v0
	s_waitcnt vmcnt(0)
	ds_write_b64 v122, v[120:121]
	s_waitcnt lgkmcnt(0)
	; wave barrier
	s_waitcnt lgkmcnt(0)
	s_and_saveexec_b64 s[10:11], s[4:5]
	s_cbranch_execz .LBB58_26
; %bb.17:
	s_andn2_b64 vcc, exec, s[8:9]
	s_cbranch_vccnz .LBB58_19
; %bb.18:
	buffer_load_dword v120, v123, s[0:3], 0 offen
	buffer_load_dword v121, v123, s[0:3], 0 offen offset:4
	ds_read_b64 v[180:181], v122
	s_waitcnt vmcnt(0) lgkmcnt(0)
	v_mul_f64 v[120:121], v[120:121], v[180:181]
	s_cbranch_execz .LBB58_20
	s_branch .LBB58_21
.LBB58_19:
                                        ; implicit-def: $vgpr120_vgpr121
.LBB58_20:
	ds_read_b64 v[120:121], v122
.LBB58_21:
	s_and_saveexec_b64 s[12:13], s[6:7]
	s_cbranch_execz .LBB58_25
; %bb.22:
	v_subrev_u32_e32 v180, 56, v0
	s_movk_i32 s14, 0x3a0
	s_mov_b64 s[6:7], 0
.LBB58_23:                              ; =>This Inner Loop Header: Depth=1
	buffer_load_dword v182, v175, s[0:3], 0 offen
	buffer_load_dword v183, v175, s[0:3], 0 offen offset:4
	v_mov_b32_e32 v181, s14
	ds_read_b64 v[184:185], v181
	v_add_u32_e32 v180, -1, v180
	s_add_i32 s14, s14, 8
	v_cmp_eq_u32_e32 vcc, 0, v180
	v_add_u32_e32 v175, 8, v175
	s_or_b64 s[6:7], vcc, s[6:7]
	s_waitcnt vmcnt(0) lgkmcnt(0)
	v_fmac_f64_e32 v[120:121], v[182:183], v[184:185]
	s_andn2_b64 exec, exec, s[6:7]
	s_cbranch_execnz .LBB58_23
; %bb.24:
	s_or_b64 exec, exec, s[6:7]
.LBB58_25:
	s_or_b64 exec, exec, s[12:13]
	v_mov_b32_e32 v175, 0
	ds_read_b64 v[180:181], v175 offset:440
	s_waitcnt lgkmcnt(0)
	v_mul_f64 v[120:121], v[120:121], v[180:181]
	buffer_store_dword v121, off, s[0:3], 0 offset:444
	buffer_store_dword v120, off, s[0:3], 0 offset:440
.LBB58_26:
	s_or_b64 exec, exec, s[10:11]
	buffer_load_dword v120, off, s[0:3], 0 offset:432
	buffer_load_dword v121, off, s[0:3], 0 offset:436
	v_cmp_lt_u32_e64 s[6:7], 54, v0
	s_waitcnt vmcnt(0)
	ds_write_b64 v122, v[120:121]
	s_waitcnt lgkmcnt(0)
	; wave barrier
	s_waitcnt lgkmcnt(0)
	s_and_saveexec_b64 s[10:11], s[6:7]
	s_cbranch_execz .LBB58_36
; %bb.27:
	s_andn2_b64 vcc, exec, s[8:9]
	s_cbranch_vccnz .LBB58_29
; %bb.28:
	buffer_load_dword v120, v123, s[0:3], 0 offen
	buffer_load_dword v121, v123, s[0:3], 0 offen offset:4
	ds_read_b64 v[180:181], v122
	s_waitcnt vmcnt(0) lgkmcnt(0)
	v_mul_f64 v[120:121], v[120:121], v[180:181]
	s_cbranch_execz .LBB58_30
	s_branch .LBB58_31
.LBB58_29:
                                        ; implicit-def: $vgpr120_vgpr121
.LBB58_30:
	ds_read_b64 v[120:121], v122
.LBB58_31:
	s_and_saveexec_b64 s[12:13], s[4:5]
	s_cbranch_execz .LBB58_35
; %bb.32:
	v_subrev_u32_e32 v175, 55, v0
	s_movk_i32 s14, 0x398
	s_mov_b64 s[4:5], 0
.LBB58_33:                              ; =>This Inner Loop Header: Depth=1
	buffer_load_dword v180, v179, s[0:3], 0 offen
	buffer_load_dword v181, v179, s[0:3], 0 offen offset:4
	v_mov_b32_e32 v182, s14
	ds_read_b64 v[182:183], v182
	v_add_u32_e32 v175, -1, v175
	s_add_i32 s14, s14, 8
	v_cmp_eq_u32_e32 vcc, 0, v175
	v_add_u32_e32 v179, 8, v179
	s_or_b64 s[4:5], vcc, s[4:5]
	s_waitcnt vmcnt(0) lgkmcnt(0)
	v_fmac_f64_e32 v[120:121], v[180:181], v[182:183]
	s_andn2_b64 exec, exec, s[4:5]
	s_cbranch_execnz .LBB58_33
; %bb.34:
	s_or_b64 exec, exec, s[4:5]
.LBB58_35:
	s_or_b64 exec, exec, s[12:13]
	v_mov_b32_e32 v175, 0
	ds_read_b64 v[180:181], v175 offset:432
	s_waitcnt lgkmcnt(0)
	v_mul_f64 v[120:121], v[120:121], v[180:181]
	buffer_store_dword v121, off, s[0:3], 0 offset:436
	buffer_store_dword v120, off, s[0:3], 0 offset:432
.LBB58_36:
	;; [unrolled: 58-line block ×8, first 2 shown]
	s_or_b64 exec, exec, s[10:11]
	buffer_load_dword v120, off, s[0:3], 0 offset:376
	buffer_load_dword v121, off, s[0:3], 0 offset:380
	v_cmp_lt_u32_e64 s[4:5], 47, v0
	s_waitcnt vmcnt(0)
	ds_write_b64 v122, v[120:121]
	s_waitcnt lgkmcnt(0)
	; wave barrier
	s_waitcnt lgkmcnt(0)
	s_and_saveexec_b64 s[10:11], s[4:5]
	s_cbranch_execz .LBB58_106
; %bb.97:
	s_andn2_b64 vcc, exec, s[8:9]
	s_cbranch_vccnz .LBB58_99
; %bb.98:
	buffer_load_dword v120, v123, s[0:3], 0 offen
	buffer_load_dword v121, v123, s[0:3], 0 offen offset:4
	ds_read_b64 v[172:173], v122
	s_waitcnt vmcnt(0) lgkmcnt(0)
	v_mul_f64 v[120:121], v[120:121], v[172:173]
	s_cbranch_execz .LBB58_100
	s_branch .LBB58_101
.LBB58_99:
                                        ; implicit-def: $vgpr120_vgpr121
.LBB58_100:
	ds_read_b64 v[120:121], v122
.LBB58_101:
	s_and_saveexec_b64 s[12:13], s[6:7]
	s_cbranch_execz .LBB58_105
; %bb.102:
	v_subrev_u32_e32 v172, 48, v0
	s_movk_i32 s14, 0x360
	s_mov_b64 s[6:7], 0
.LBB58_103:                             ; =>This Inner Loop Header: Depth=1
	buffer_load_dword v174, v171, s[0:3], 0 offen
	buffer_load_dword v175, v171, s[0:3], 0 offen offset:4
	v_mov_b32_e32 v173, s14
	ds_read_b64 v[176:177], v173
	v_add_u32_e32 v172, -1, v172
	s_add_i32 s14, s14, 8
	v_cmp_eq_u32_e32 vcc, 0, v172
	v_add_u32_e32 v171, 8, v171
	s_or_b64 s[6:7], vcc, s[6:7]
	s_waitcnt vmcnt(0) lgkmcnt(0)
	v_fmac_f64_e32 v[120:121], v[174:175], v[176:177]
	s_andn2_b64 exec, exec, s[6:7]
	s_cbranch_execnz .LBB58_103
; %bb.104:
	s_or_b64 exec, exec, s[6:7]
.LBB58_105:
	s_or_b64 exec, exec, s[12:13]
	v_mov_b32_e32 v171, 0
	ds_read_b64 v[172:173], v171 offset:376
	s_waitcnt lgkmcnt(0)
	v_mul_f64 v[120:121], v[120:121], v[172:173]
	buffer_store_dword v121, off, s[0:3], 0 offset:380
	buffer_store_dword v120, off, s[0:3], 0 offset:376
.LBB58_106:
	s_or_b64 exec, exec, s[10:11]
	buffer_load_dword v120, off, s[0:3], 0 offset:368
	buffer_load_dword v121, off, s[0:3], 0 offset:372
	v_cmp_lt_u32_e64 s[6:7], 46, v0
	s_waitcnt vmcnt(0)
	ds_write_b64 v122, v[120:121]
	s_waitcnt lgkmcnt(0)
	; wave barrier
	s_waitcnt lgkmcnt(0)
	s_and_saveexec_b64 s[10:11], s[6:7]
	s_cbranch_execz .LBB58_116
; %bb.107:
	s_andn2_b64 vcc, exec, s[8:9]
	s_cbranch_vccnz .LBB58_109
; %bb.108:
	buffer_load_dword v120, v123, s[0:3], 0 offen
	buffer_load_dword v121, v123, s[0:3], 0 offen offset:4
	ds_read_b64 v[172:173], v122
	s_waitcnt vmcnt(0) lgkmcnt(0)
	v_mul_f64 v[120:121], v[120:121], v[172:173]
	s_cbranch_execz .LBB58_110
	s_branch .LBB58_111
.LBB58_109:
                                        ; implicit-def: $vgpr120_vgpr121
.LBB58_110:
	ds_read_b64 v[120:121], v122
.LBB58_111:
	s_and_saveexec_b64 s[12:13], s[4:5]
	s_cbranch_execz .LBB58_115
; %bb.112:
	v_subrev_u32_e32 v171, 47, v0
	s_movk_i32 s14, 0x358
	s_mov_b64 s[4:5], 0
.LBB58_113:                             ; =>This Inner Loop Header: Depth=1
	buffer_load_dword v172, v170, s[0:3], 0 offen
	buffer_load_dword v173, v170, s[0:3], 0 offen offset:4
	v_mov_b32_e32 v174, s14
	ds_read_b64 v[174:175], v174
	v_add_u32_e32 v171, -1, v171
	s_add_i32 s14, s14, 8
	v_cmp_eq_u32_e32 vcc, 0, v171
	v_add_u32_e32 v170, 8, v170
	s_or_b64 s[4:5], vcc, s[4:5]
	s_waitcnt vmcnt(0) lgkmcnt(0)
	v_fmac_f64_e32 v[120:121], v[172:173], v[174:175]
	s_andn2_b64 exec, exec, s[4:5]
	s_cbranch_execnz .LBB58_113
; %bb.114:
	s_or_b64 exec, exec, s[4:5]
.LBB58_115:
	s_or_b64 exec, exec, s[12:13]
	v_mov_b32_e32 v170, 0
	ds_read_b64 v[170:171], v170 offset:368
	s_waitcnt lgkmcnt(0)
	v_mul_f64 v[120:121], v[120:121], v[170:171]
	buffer_store_dword v121, off, s[0:3], 0 offset:372
	buffer_store_dword v120, off, s[0:3], 0 offset:368
.LBB58_116:
	;; [unrolled: 58-line block ×32, first 2 shown]
	s_or_b64 exec, exec, s[10:11]
	buffer_load_dword v120, off, s[0:3], 0 offset:120
	buffer_load_dword v121, off, s[0:3], 0 offset:124
	v_cmp_lt_u32_e64 s[4:5], 15, v0
	s_waitcnt vmcnt(0)
	ds_write_b64 v122, v[120:121]
	s_waitcnt lgkmcnt(0)
	; wave barrier
	s_waitcnt lgkmcnt(0)
	s_and_saveexec_b64 s[10:11], s[4:5]
	s_cbranch_execz .LBB58_426
; %bb.417:
	s_andn2_b64 vcc, exec, s[8:9]
	s_cbranch_vccnz .LBB58_419
; %bb.418:
	buffer_load_dword v120, v123, s[0:3], 0 offen
	buffer_load_dword v121, v123, s[0:3], 0 offen offset:4
	ds_read_b64 v[140:141], v122
	s_waitcnt vmcnt(0) lgkmcnt(0)
	v_mul_f64 v[120:121], v[120:121], v[140:141]
	s_cbranch_execz .LBB58_420
	s_branch .LBB58_421
.LBB58_419:
                                        ; implicit-def: $vgpr120_vgpr121
.LBB58_420:
	ds_read_b64 v[120:121], v122
.LBB58_421:
	s_and_saveexec_b64 s[12:13], s[6:7]
	s_cbranch_execz .LBB58_425
; %bb.422:
	v_add_u32_e32 v140, -16, v0
	s_movk_i32 s14, 0x260
	s_mov_b64 s[6:7], 0
.LBB58_423:                             ; =>This Inner Loop Header: Depth=1
	buffer_load_dword v142, v139, s[0:3], 0 offen
	buffer_load_dword v143, v139, s[0:3], 0 offen offset:4
	v_mov_b32_e32 v141, s14
	ds_read_b64 v[144:145], v141
	v_add_u32_e32 v140, -1, v140
	s_add_i32 s14, s14, 8
	v_cmp_eq_u32_e32 vcc, 0, v140
	v_add_u32_e32 v139, 8, v139
	s_or_b64 s[6:7], vcc, s[6:7]
	s_waitcnt vmcnt(0) lgkmcnt(0)
	v_fmac_f64_e32 v[120:121], v[142:143], v[144:145]
	s_andn2_b64 exec, exec, s[6:7]
	s_cbranch_execnz .LBB58_423
; %bb.424:
	s_or_b64 exec, exec, s[6:7]
.LBB58_425:
	s_or_b64 exec, exec, s[12:13]
	v_mov_b32_e32 v139, 0
	ds_read_b64 v[140:141], v139 offset:120
	s_waitcnt lgkmcnt(0)
	v_mul_f64 v[120:121], v[120:121], v[140:141]
	buffer_store_dword v121, off, s[0:3], 0 offset:124
	buffer_store_dword v120, off, s[0:3], 0 offset:120
.LBB58_426:
	s_or_b64 exec, exec, s[10:11]
	buffer_load_dword v120, off, s[0:3], 0 offset:112
	buffer_load_dword v121, off, s[0:3], 0 offset:116
	v_cmp_lt_u32_e64 s[6:7], 14, v0
	s_waitcnt vmcnt(0)
	ds_write_b64 v122, v[120:121]
	s_waitcnt lgkmcnt(0)
	; wave barrier
	s_waitcnt lgkmcnt(0)
	s_and_saveexec_b64 s[10:11], s[6:7]
	s_cbranch_execz .LBB58_436
; %bb.427:
	s_andn2_b64 vcc, exec, s[8:9]
	s_cbranch_vccnz .LBB58_429
; %bb.428:
	buffer_load_dword v120, v123, s[0:3], 0 offen
	buffer_load_dword v121, v123, s[0:3], 0 offen offset:4
	ds_read_b64 v[140:141], v122
	s_waitcnt vmcnt(0) lgkmcnt(0)
	v_mul_f64 v[120:121], v[120:121], v[140:141]
	s_cbranch_execz .LBB58_430
	s_branch .LBB58_431
.LBB58_429:
                                        ; implicit-def: $vgpr120_vgpr121
.LBB58_430:
	ds_read_b64 v[120:121], v122
.LBB58_431:
	s_and_saveexec_b64 s[12:13], s[4:5]
	s_cbranch_execz .LBB58_435
; %bb.432:
	v_add_u32_e32 v139, -15, v0
	s_movk_i32 s14, 0x258
	s_mov_b64 s[4:5], 0
.LBB58_433:                             ; =>This Inner Loop Header: Depth=1
	buffer_load_dword v140, v138, s[0:3], 0 offen
	buffer_load_dword v141, v138, s[0:3], 0 offen offset:4
	v_mov_b32_e32 v142, s14
	ds_read_b64 v[142:143], v142
	v_add_u32_e32 v139, -1, v139
	s_add_i32 s14, s14, 8
	v_cmp_eq_u32_e32 vcc, 0, v139
	v_add_u32_e32 v138, 8, v138
	s_or_b64 s[4:5], vcc, s[4:5]
	s_waitcnt vmcnt(0) lgkmcnt(0)
	v_fmac_f64_e32 v[120:121], v[140:141], v[142:143]
	s_andn2_b64 exec, exec, s[4:5]
	s_cbranch_execnz .LBB58_433
; %bb.434:
	s_or_b64 exec, exec, s[4:5]
.LBB58_435:
	s_or_b64 exec, exec, s[12:13]
	v_mov_b32_e32 v138, 0
	ds_read_b64 v[138:139], v138 offset:112
	s_waitcnt lgkmcnt(0)
	v_mul_f64 v[120:121], v[120:121], v[138:139]
	buffer_store_dword v121, off, s[0:3], 0 offset:116
	buffer_store_dword v120, off, s[0:3], 0 offset:112
.LBB58_436:
	;; [unrolled: 58-line block ×15, first 2 shown]
	s_or_b64 exec, exec, s[10:11]
	buffer_load_dword v120, off, s[0:3], 0
	buffer_load_dword v121, off, s[0:3], 0 offset:4
	v_cmp_ne_u32_e32 vcc, 0, v0
	s_waitcnt vmcnt(0)
	ds_write_b64 v122, v[120:121]
	s_waitcnt lgkmcnt(0)
	; wave barrier
	s_waitcnt lgkmcnt(0)
	s_and_saveexec_b64 s[6:7], vcc
	s_cbranch_execz .LBB58_576
; %bb.567:
	s_andn2_b64 vcc, exec, s[8:9]
	s_cbranch_vccnz .LBB58_569
; %bb.568:
	buffer_load_dword v120, v123, s[0:3], 0 offen
	buffer_load_dword v121, v123, s[0:3], 0 offen offset:4
	ds_read_b64 v[126:127], v122
	s_waitcnt vmcnt(0) lgkmcnt(0)
	v_mul_f64 v[120:121], v[120:121], v[126:127]
	s_cbranch_execz .LBB58_570
	s_branch .LBB58_571
.LBB58_569:
                                        ; implicit-def: $vgpr120_vgpr121
.LBB58_570:
	ds_read_b64 v[120:121], v122
.LBB58_571:
	s_and_saveexec_b64 s[10:11], s[4:5]
	s_cbranch_execz .LBB58_575
; %bb.572:
	v_add_u32_e32 v125, -1, v0
	s_movk_i32 s12, 0x1e8
	s_mov_b64 s[4:5], 0
.LBB58_573:                             ; =>This Inner Loop Header: Depth=1
	buffer_load_dword v126, v124, s[0:3], 0 offen
	buffer_load_dword v127, v124, s[0:3], 0 offen offset:4
	v_mov_b32_e32 v128, s12
	ds_read_b64 v[128:129], v128
	v_add_u32_e32 v125, -1, v125
	s_add_i32 s12, s12, 8
	v_cmp_eq_u32_e32 vcc, 0, v125
	v_add_u32_e32 v124, 8, v124
	s_or_b64 s[4:5], vcc, s[4:5]
	s_waitcnt vmcnt(0) lgkmcnt(0)
	v_fmac_f64_e32 v[120:121], v[126:127], v[128:129]
	s_andn2_b64 exec, exec, s[4:5]
	s_cbranch_execnz .LBB58_573
; %bb.574:
	s_or_b64 exec, exec, s[4:5]
.LBB58_575:
	s_or_b64 exec, exec, s[10:11]
	v_mov_b32_e32 v124, 0
	ds_read_b64 v[124:125], v124
	s_waitcnt lgkmcnt(0)
	v_mul_f64 v[120:121], v[120:121], v[124:125]
	buffer_store_dword v121, off, s[0:3], 0 offset:4
	buffer_store_dword v120, off, s[0:3], 0
.LBB58_576:
	s_or_b64 exec, exec, s[6:7]
	s_mov_b64 s[4:5], 0
.LBB58_577:
	s_and_b64 vcc, exec, s[4:5]
	s_cbranch_vccz .LBB58_1151
; %bb.578:
	buffer_load_dword v120, off, s[0:3], 0 offset:8
	buffer_load_dword v121, off, s[0:3], 0 offset:12
	v_cmp_eq_u32_e64 s[6:7], 0, v0
	s_waitcnt vmcnt(0)
	ds_write_b64 v122, v[120:121]
	s_waitcnt lgkmcnt(0)
	; wave barrier
	s_waitcnt lgkmcnt(0)
	s_and_saveexec_b64 s[4:5], s[6:7]
	s_cbranch_execz .LBB58_584
; %bb.579:
	s_and_b64 vcc, exec, s[8:9]
	s_cbranch_vccz .LBB58_581
; %bb.580:
	buffer_load_dword v120, v123, s[0:3], 0 offen
	buffer_load_dword v121, v123, s[0:3], 0 offen offset:4
	ds_read_b64 v[124:125], v122
	s_waitcnt vmcnt(0) lgkmcnt(0)
	v_mul_f64 v[120:121], v[120:121], v[124:125]
	s_cbranch_execz .LBB58_582
	s_branch .LBB58_583
.LBB58_581:
                                        ; implicit-def: $vgpr120_vgpr121
.LBB58_582:
	ds_read_b64 v[120:121], v122
.LBB58_583:
	v_mov_b32_e32 v124, 0
	ds_read_b64 v[124:125], v124 offset:8
	s_waitcnt lgkmcnt(0)
	v_mul_f64 v[120:121], v[120:121], v[124:125]
	buffer_store_dword v121, off, s[0:3], 0 offset:12
	buffer_store_dword v120, off, s[0:3], 0 offset:8
.LBB58_584:
	s_or_b64 exec, exec, s[4:5]
	buffer_load_dword v120, off, s[0:3], 0 offset:16
	buffer_load_dword v121, off, s[0:3], 0 offset:20
	v_cndmask_b32_e64 v124, 0, 1, s[8:9]
	v_cmp_gt_u32_e32 vcc, 2, v0
	v_cmp_ne_u32_e64 s[4:5], 1, v124
	s_waitcnt vmcnt(0)
	ds_write_b64 v122, v[120:121]
	s_waitcnt lgkmcnt(0)
	; wave barrier
	s_waitcnt lgkmcnt(0)
	s_and_saveexec_b64 s[8:9], vcc
	s_cbranch_execz .LBB58_592
; %bb.585:
	s_and_b64 vcc, exec, s[4:5]
	s_cbranch_vccnz .LBB58_587
; %bb.586:
	buffer_load_dword v120, v123, s[0:3], 0 offen
	buffer_load_dword v121, v123, s[0:3], 0 offen offset:4
	ds_read_b64 v[124:125], v122
	s_waitcnt vmcnt(0) lgkmcnt(0)
	v_mul_f64 v[120:121], v[120:121], v[124:125]
	s_cbranch_execz .LBB58_588
	s_branch .LBB58_589
.LBB58_587:
                                        ; implicit-def: $vgpr120_vgpr121
.LBB58_588:
	ds_read_b64 v[120:121], v122
.LBB58_589:
	s_and_saveexec_b64 s[10:11], s[6:7]
	s_cbranch_execz .LBB58_591
; %bb.590:
	buffer_load_dword v124, v123, s[0:3], 0 offen offset:8
	buffer_load_dword v125, v123, s[0:3], 0 offen offset:12
	ds_read_b64 v[126:127], v122 offset:8
	s_waitcnt vmcnt(0) lgkmcnt(0)
	v_fmac_f64_e32 v[120:121], v[124:125], v[126:127]
.LBB58_591:
	s_or_b64 exec, exec, s[10:11]
	v_mov_b32_e32 v124, 0
	ds_read_b64 v[124:125], v124 offset:16
	s_waitcnt lgkmcnt(0)
	v_mul_f64 v[120:121], v[120:121], v[124:125]
	buffer_store_dword v121, off, s[0:3], 0 offset:20
	buffer_store_dword v120, off, s[0:3], 0 offset:16
.LBB58_592:
	s_or_b64 exec, exec, s[8:9]
	buffer_load_dword v120, off, s[0:3], 0 offset:24
	buffer_load_dword v121, off, s[0:3], 0 offset:28
	v_cmp_gt_u32_e32 vcc, 3, v0
	s_waitcnt vmcnt(0)
	ds_write_b64 v122, v[120:121]
	s_waitcnt lgkmcnt(0)
	; wave barrier
	s_waitcnt lgkmcnt(0)
	s_and_saveexec_b64 s[8:9], vcc
	s_cbranch_execz .LBB58_600
; %bb.593:
	s_and_b64 vcc, exec, s[4:5]
	s_cbranch_vccnz .LBB58_595
; %bb.594:
	buffer_load_dword v120, v123, s[0:3], 0 offen
	buffer_load_dword v121, v123, s[0:3], 0 offen offset:4
	ds_read_b64 v[124:125], v122
	s_waitcnt vmcnt(0) lgkmcnt(0)
	v_mul_f64 v[120:121], v[120:121], v[124:125]
	s_cbranch_execz .LBB58_596
	s_branch .LBB58_597
.LBB58_595:
                                        ; implicit-def: $vgpr120_vgpr121
.LBB58_596:
	ds_read_b64 v[120:121], v122
.LBB58_597:
	v_cmp_ne_u32_e32 vcc, 2, v0
	s_and_saveexec_b64 s[10:11], vcc
	s_cbranch_execz .LBB58_599
; %bb.598:
	buffer_load_dword v125, v123, s[0:3], 0 offen offset:12
	buffer_load_dword v126, off, s[0:3], 0 offset:16
	buffer_load_dword v124, v123, s[0:3], 0 offen offset:8
	buffer_load_dword v127, off, s[0:3], 0 offset:20
	v_mov_b32_e32 v130, 0
	ds_read_b64 v[128:129], v122 offset:8
	ds_read_b64 v[130:131], v130 offset:496
	s_waitcnt vmcnt(1) lgkmcnt(1)
	v_fmac_f64_e32 v[120:121], v[124:125], v[128:129]
	s_waitcnt vmcnt(0) lgkmcnt(0)
	v_fma_f64 v[124:125], v[126:127], v[130:131], v[120:121]
	v_cndmask_b32_e64 v121, v121, v125, s[6:7]
	v_cndmask_b32_e64 v120, v120, v124, s[6:7]
.LBB58_599:
	s_or_b64 exec, exec, s[10:11]
	v_mov_b32_e32 v124, 0
	ds_read_b64 v[124:125], v124 offset:24
	s_waitcnt lgkmcnt(0)
	v_mul_f64 v[120:121], v[120:121], v[124:125]
	buffer_store_dword v121, off, s[0:3], 0 offset:28
	buffer_store_dword v120, off, s[0:3], 0 offset:24
.LBB58_600:
	s_or_b64 exec, exec, s[8:9]
	buffer_load_dword v120, off, s[0:3], 0 offset:32
	buffer_load_dword v121, off, s[0:3], 0 offset:36
	v_cmp_gt_u32_e32 vcc, 4, v0
	s_waitcnt vmcnt(0)
	ds_write_b64 v122, v[120:121]
	s_waitcnt lgkmcnt(0)
	; wave barrier
	s_waitcnt lgkmcnt(0)
	s_and_saveexec_b64 s[6:7], vcc
	s_cbranch_execz .LBB58_610
; %bb.601:
	s_and_b64 vcc, exec, s[4:5]
	s_cbranch_vccnz .LBB58_603
; %bb.602:
	buffer_load_dword v120, v123, s[0:3], 0 offen
	buffer_load_dword v121, v123, s[0:3], 0 offen offset:4
	ds_read_b64 v[124:125], v122
	s_waitcnt vmcnt(0) lgkmcnt(0)
	v_mul_f64 v[120:121], v[120:121], v[124:125]
	s_cbranch_execz .LBB58_604
	s_branch .LBB58_605
.LBB58_603:
                                        ; implicit-def: $vgpr120_vgpr121
.LBB58_604:
	ds_read_b64 v[120:121], v122
.LBB58_605:
	v_cmp_ne_u32_e32 vcc, 3, v0
	s_and_saveexec_b64 s[8:9], vcc
	s_cbranch_execz .LBB58_609
; %bb.606:
	v_mov_b32_e32 v125, 0
	v_add_u32_e32 v124, 0x1e8, v1
	v_add3_u32 v125, v1, v125, 8
	s_mov_b64 s[10:11], 0
	v_mov_b32_e32 v126, v0
.LBB58_607:                             ; =>This Inner Loop Header: Depth=1
	buffer_load_dword v128, v125, s[0:3], 0 offen
	buffer_load_dword v129, v125, s[0:3], 0 offen offset:4
	ds_read_b64 v[130:131], v124
	v_add_u32_e32 v126, 1, v126
	v_cmp_lt_u32_e32 vcc, 2, v126
	v_add_u32_e32 v124, 8, v124
	v_add_u32_e32 v125, 8, v125
	s_or_b64 s[10:11], vcc, s[10:11]
	s_waitcnt vmcnt(0) lgkmcnt(0)
	v_fmac_f64_e32 v[120:121], v[128:129], v[130:131]
	s_andn2_b64 exec, exec, s[10:11]
	s_cbranch_execnz .LBB58_607
; %bb.608:
	s_or_b64 exec, exec, s[10:11]
.LBB58_609:
	s_or_b64 exec, exec, s[8:9]
	v_mov_b32_e32 v124, 0
	ds_read_b64 v[124:125], v124 offset:32
	s_waitcnt lgkmcnt(0)
	v_mul_f64 v[120:121], v[120:121], v[124:125]
	buffer_store_dword v121, off, s[0:3], 0 offset:36
	buffer_store_dword v120, off, s[0:3], 0 offset:32
.LBB58_610:
	s_or_b64 exec, exec, s[6:7]
	buffer_load_dword v120, off, s[0:3], 0 offset:40
	buffer_load_dword v121, off, s[0:3], 0 offset:44
	v_cmp_gt_u32_e32 vcc, 5, v0
	s_waitcnt vmcnt(0)
	ds_write_b64 v122, v[120:121]
	s_waitcnt lgkmcnt(0)
	; wave barrier
	s_waitcnt lgkmcnt(0)
	s_and_saveexec_b64 s[6:7], vcc
	s_cbranch_execz .LBB58_620
; %bb.611:
	s_and_b64 vcc, exec, s[4:5]
	s_cbranch_vccnz .LBB58_613
; %bb.612:
	buffer_load_dword v120, v123, s[0:3], 0 offen
	buffer_load_dword v121, v123, s[0:3], 0 offen offset:4
	ds_read_b64 v[124:125], v122
	s_waitcnt vmcnt(0) lgkmcnt(0)
	v_mul_f64 v[120:121], v[120:121], v[124:125]
	s_cbranch_execz .LBB58_614
	s_branch .LBB58_615
.LBB58_613:
                                        ; implicit-def: $vgpr120_vgpr121
.LBB58_614:
	ds_read_b64 v[120:121], v122
.LBB58_615:
	v_cmp_ne_u32_e32 vcc, 4, v0
	s_and_saveexec_b64 s[8:9], vcc
	s_cbranch_execz .LBB58_619
; %bb.616:
	v_mov_b32_e32 v125, 0
	v_add_u32_e32 v124, 0x1e8, v1
	v_add3_u32 v125, v1, v125, 8
	s_mov_b64 s[10:11], 0
	v_mov_b32_e32 v126, v0
.LBB58_617:                             ; =>This Inner Loop Header: Depth=1
	buffer_load_dword v128, v125, s[0:3], 0 offen
	buffer_load_dword v129, v125, s[0:3], 0 offen offset:4
	ds_read_b64 v[130:131], v124
	v_add_u32_e32 v126, 1, v126
	v_cmp_lt_u32_e32 vcc, 3, v126
	v_add_u32_e32 v124, 8, v124
	v_add_u32_e32 v125, 8, v125
	s_or_b64 s[10:11], vcc, s[10:11]
	s_waitcnt vmcnt(0) lgkmcnt(0)
	v_fmac_f64_e32 v[120:121], v[128:129], v[130:131]
	s_andn2_b64 exec, exec, s[10:11]
	s_cbranch_execnz .LBB58_617
; %bb.618:
	s_or_b64 exec, exec, s[10:11]
.LBB58_619:
	s_or_b64 exec, exec, s[8:9]
	v_mov_b32_e32 v124, 0
	ds_read_b64 v[124:125], v124 offset:40
	s_waitcnt lgkmcnt(0)
	v_mul_f64 v[120:121], v[120:121], v[124:125]
	buffer_store_dword v121, off, s[0:3], 0 offset:44
	buffer_store_dword v120, off, s[0:3], 0 offset:40
.LBB58_620:
	;; [unrolled: 60-line block ×40, first 2 shown]
	s_or_b64 exec, exec, s[6:7]
	buffer_load_dword v120, off, s[0:3], 0 offset:352
	buffer_load_dword v121, off, s[0:3], 0 offset:356
	v_cmp_gt_u32_e32 vcc, 44, v0
	s_waitcnt vmcnt(0)
	ds_write_b64 v122, v[120:121]
	s_waitcnt lgkmcnt(0)
	; wave barrier
	s_waitcnt lgkmcnt(0)
	s_and_saveexec_b64 s[6:7], vcc
	s_cbranch_execz .LBB58_1010
; %bb.1001:
	s_and_b64 vcc, exec, s[4:5]
	s_cbranch_vccnz .LBB58_1003
; %bb.1002:
	buffer_load_dword v120, v123, s[0:3], 0 offen
	buffer_load_dword v121, v123, s[0:3], 0 offen offset:4
	ds_read_b64 v[124:125], v122
	s_waitcnt vmcnt(0) lgkmcnt(0)
	v_mul_f64 v[120:121], v[120:121], v[124:125]
	s_cbranch_execz .LBB58_1004
	s_branch .LBB58_1005
.LBB58_1003:
                                        ; implicit-def: $vgpr120_vgpr121
.LBB58_1004:
	ds_read_b64 v[120:121], v122
.LBB58_1005:
	v_cmp_ne_u32_e32 vcc, 43, v0
	s_and_saveexec_b64 s[8:9], vcc
	s_cbranch_execz .LBB58_1009
; %bb.1006:
	v_mov_b32_e32 v125, 0
	v_add_u32_e32 v124, 0x1e8, v1
	v_add3_u32 v125, v1, v125, 8
	s_mov_b64 s[10:11], 0
	v_mov_b32_e32 v126, v0
.LBB58_1007:                            ; =>This Inner Loop Header: Depth=1
	buffer_load_dword v128, v125, s[0:3], 0 offen
	buffer_load_dword v129, v125, s[0:3], 0 offen offset:4
	ds_read_b64 v[130:131], v124
	v_add_u32_e32 v126, 1, v126
	v_cmp_lt_u32_e32 vcc, 42, v126
	v_add_u32_e32 v124, 8, v124
	v_add_u32_e32 v125, 8, v125
	s_or_b64 s[10:11], vcc, s[10:11]
	s_waitcnt vmcnt(0) lgkmcnt(0)
	v_fmac_f64_e32 v[120:121], v[128:129], v[130:131]
	s_andn2_b64 exec, exec, s[10:11]
	s_cbranch_execnz .LBB58_1007
; %bb.1008:
	s_or_b64 exec, exec, s[10:11]
.LBB58_1009:
	s_or_b64 exec, exec, s[8:9]
	v_mov_b32_e32 v124, 0
	ds_read_b64 v[124:125], v124 offset:352
	s_waitcnt lgkmcnt(0)
	v_mul_f64 v[120:121], v[120:121], v[124:125]
	buffer_store_dword v121, off, s[0:3], 0 offset:356
	buffer_store_dword v120, off, s[0:3], 0 offset:352
.LBB58_1010:
	s_or_b64 exec, exec, s[6:7]
	buffer_load_dword v120, off, s[0:3], 0 offset:360
	buffer_load_dword v121, off, s[0:3], 0 offset:364
	v_cmp_gt_u32_e32 vcc, 45, v0
	s_waitcnt vmcnt(0)
	ds_write_b64 v122, v[120:121]
	s_waitcnt lgkmcnt(0)
	; wave barrier
	s_waitcnt lgkmcnt(0)
	s_and_saveexec_b64 s[6:7], vcc
	s_cbranch_execz .LBB58_1020
; %bb.1011:
	s_and_b64 vcc, exec, s[4:5]
	s_cbranch_vccnz .LBB58_1013
; %bb.1012:
	buffer_load_dword v120, v123, s[0:3], 0 offen
	buffer_load_dword v121, v123, s[0:3], 0 offen offset:4
	ds_read_b64 v[124:125], v122
	s_waitcnt vmcnt(0) lgkmcnt(0)
	v_mul_f64 v[120:121], v[120:121], v[124:125]
	s_cbranch_execz .LBB58_1014
	s_branch .LBB58_1015
.LBB58_1013:
                                        ; implicit-def: $vgpr120_vgpr121
.LBB58_1014:
	ds_read_b64 v[120:121], v122
.LBB58_1015:
	v_cmp_ne_u32_e32 vcc, 44, v0
	s_and_saveexec_b64 s[8:9], vcc
	s_cbranch_execz .LBB58_1019
; %bb.1016:
	v_mov_b32_e32 v125, 0
	v_add_u32_e32 v124, 0x1e8, v1
	v_add3_u32 v125, v1, v125, 8
	s_mov_b64 s[10:11], 0
	v_mov_b32_e32 v126, v0
.LBB58_1017:                            ; =>This Inner Loop Header: Depth=1
	buffer_load_dword v128, v125, s[0:3], 0 offen
	buffer_load_dword v129, v125, s[0:3], 0 offen offset:4
	ds_read_b64 v[130:131], v124
	v_add_u32_e32 v126, 1, v126
	v_cmp_lt_u32_e32 vcc, 43, v126
	v_add_u32_e32 v124, 8, v124
	v_add_u32_e32 v125, 8, v125
	s_or_b64 s[10:11], vcc, s[10:11]
	s_waitcnt vmcnt(0) lgkmcnt(0)
	v_fmac_f64_e32 v[120:121], v[128:129], v[130:131]
	s_andn2_b64 exec, exec, s[10:11]
	s_cbranch_execnz .LBB58_1017
; %bb.1018:
	s_or_b64 exec, exec, s[10:11]
.LBB58_1019:
	s_or_b64 exec, exec, s[8:9]
	v_mov_b32_e32 v124, 0
	ds_read_b64 v[124:125], v124 offset:360
	s_waitcnt lgkmcnt(0)
	v_mul_f64 v[120:121], v[120:121], v[124:125]
	buffer_store_dword v121, off, s[0:3], 0 offset:364
	buffer_store_dword v120, off, s[0:3], 0 offset:360
.LBB58_1020:
	;; [unrolled: 60-line block ×13, first 2 shown]
	s_or_b64 exec, exec, s[6:7]
	buffer_load_dword v120, off, s[0:3], 0 offset:456
	buffer_load_dword v121, off, s[0:3], 0 offset:460
	v_cmp_gt_u32_e64 s[6:7], 57, v0
	s_waitcnt vmcnt(0)
	ds_write_b64 v122, v[120:121]
	s_waitcnt lgkmcnt(0)
	; wave barrier
	s_waitcnt lgkmcnt(0)
	s_and_saveexec_b64 s[8:9], s[6:7]
	s_cbranch_execz .LBB58_1140
; %bb.1131:
	s_and_b64 vcc, exec, s[4:5]
	s_cbranch_vccnz .LBB58_1133
; %bb.1132:
	buffer_load_dword v120, v123, s[0:3], 0 offen
	buffer_load_dword v121, v123, s[0:3], 0 offen offset:4
	ds_read_b64 v[124:125], v122
	s_waitcnt vmcnt(0) lgkmcnt(0)
	v_mul_f64 v[120:121], v[120:121], v[124:125]
	s_cbranch_execz .LBB58_1134
	s_branch .LBB58_1135
.LBB58_1133:
                                        ; implicit-def: $vgpr120_vgpr121
.LBB58_1134:
	ds_read_b64 v[120:121], v122
.LBB58_1135:
	v_cmp_ne_u32_e32 vcc, 56, v0
	s_and_saveexec_b64 s[10:11], vcc
	s_cbranch_execz .LBB58_1139
; %bb.1136:
	v_mov_b32_e32 v125, 0
	v_add_u32_e32 v124, 0x1e8, v1
	v_add3_u32 v125, v1, v125, 8
	s_mov_b64 s[12:13], 0
	v_mov_b32_e32 v126, v0
.LBB58_1137:                            ; =>This Inner Loop Header: Depth=1
	buffer_load_dword v128, v125, s[0:3], 0 offen
	buffer_load_dword v129, v125, s[0:3], 0 offen offset:4
	ds_read_b64 v[130:131], v124
	v_add_u32_e32 v126, 1, v126
	v_cmp_lt_u32_e32 vcc, 55, v126
	v_add_u32_e32 v124, 8, v124
	v_add_u32_e32 v125, 8, v125
	s_or_b64 s[12:13], vcc, s[12:13]
	s_waitcnt vmcnt(0) lgkmcnt(0)
	v_fmac_f64_e32 v[120:121], v[128:129], v[130:131]
	s_andn2_b64 exec, exec, s[12:13]
	s_cbranch_execnz .LBB58_1137
; %bb.1138:
	s_or_b64 exec, exec, s[12:13]
.LBB58_1139:
	s_or_b64 exec, exec, s[10:11]
	v_mov_b32_e32 v124, 0
	ds_read_b64 v[124:125], v124 offset:456
	s_waitcnt lgkmcnt(0)
	v_mul_f64 v[120:121], v[120:121], v[124:125]
	buffer_store_dword v121, off, s[0:3], 0 offset:460
	buffer_store_dword v120, off, s[0:3], 0 offset:456
.LBB58_1140:
	s_or_b64 exec, exec, s[8:9]
	buffer_load_dword v120, off, s[0:3], 0 offset:464
	buffer_load_dword v121, off, s[0:3], 0 offset:468
	v_cmp_ne_u32_e32 vcc, 58, v0
	s_waitcnt vmcnt(0)
	ds_write_b64 v122, v[120:121]
	s_waitcnt lgkmcnt(0)
	; wave barrier
	s_waitcnt lgkmcnt(0)
	s_and_saveexec_b64 s[8:9], vcc
	s_cbranch_execz .LBB58_1150
; %bb.1141:
	s_and_b64 vcc, exec, s[4:5]
	s_cbranch_vccnz .LBB58_1143
; %bb.1142:
	buffer_load_dword v120, v123, s[0:3], 0 offen
	buffer_load_dword v121, v123, s[0:3], 0 offen offset:4
	ds_read_b64 v[124:125], v122
	s_waitcnt vmcnt(0) lgkmcnt(0)
	v_mul_f64 v[120:121], v[120:121], v[124:125]
	s_cbranch_execz .LBB58_1144
	s_branch .LBB58_1145
.LBB58_1143:
                                        ; implicit-def: $vgpr120_vgpr121
.LBB58_1144:
	ds_read_b64 v[120:121], v122
.LBB58_1145:
	s_and_saveexec_b64 s[4:5], s[6:7]
	s_cbranch_execz .LBB58_1149
; %bb.1146:
	v_mov_b32_e32 v123, 0
	v_add_u32_e32 v122, 0x1e8, v1
	v_add3_u32 v1, v1, v123, 8
	s_mov_b64 s[6:7], 0
.LBB58_1147:                            ; =>This Inner Loop Header: Depth=1
	buffer_load_dword v124, v1, s[0:3], 0 offen
	buffer_load_dword v125, v1, s[0:3], 0 offen offset:4
	ds_read_b64 v[126:127], v122
	v_add_u32_e32 v0, 1, v0
	v_cmp_lt_u32_e32 vcc, 56, v0
	v_add_u32_e32 v122, 8, v122
	v_add_u32_e32 v1, 8, v1
	s_or_b64 s[6:7], vcc, s[6:7]
	s_waitcnt vmcnt(0) lgkmcnt(0)
	v_fmac_f64_e32 v[120:121], v[124:125], v[126:127]
	s_andn2_b64 exec, exec, s[6:7]
	s_cbranch_execnz .LBB58_1147
; %bb.1148:
	s_or_b64 exec, exec, s[6:7]
.LBB58_1149:
	s_or_b64 exec, exec, s[4:5]
	v_mov_b32_e32 v0, 0
	ds_read_b64 v[0:1], v0 offset:464
	s_waitcnt lgkmcnt(0)
	v_mul_f64 v[0:1], v[120:121], v[0:1]
	buffer_store_dword v1, off, s[0:3], 0 offset:468
	buffer_store_dword v0, off, s[0:3], 0 offset:464
.LBB58_1150:
	s_or_b64 exec, exec, s[8:9]
.LBB58_1151:
	buffer_load_dword v0, off, s[0:3], 0
	buffer_load_dword v1, off, s[0:3], 0 offset:4
	buffer_load_dword v120, off, s[0:3], 0 offset:8
	;; [unrolled: 1-line block ×117, first 2 shown]
	s_waitcnt vmcnt(62)
	global_store_dwordx2 v[2:3], v[0:1], off
	global_store_dwordx2 v[4:5], v[120:121], off
	;; [unrolled: 1-line block ×28, first 2 shown]
	s_waitcnt vmcnt(62)
	global_store_dwordx2 v[62:63], v[174:175], off
	global_store_dwordx2 v[64:65], v[176:177], off
	;; [unrolled: 1-line block ×14, first 2 shown]
	s_waitcnt vmcnt(62)
	global_store_dwordx2 v[90:91], v[202:203], off
	global_store_dwordx2 v[92:93], v[204:205], off
	;; [unrolled: 1-line block ×7, first 2 shown]
	s_waitcnt vmcnt(62)
	global_store_dwordx2 v[104:105], v[216:217], off
	global_store_dwordx2 v[106:107], v[218:219], off
	;; [unrolled: 1-line block ×3, first 2 shown]
	s_waitcnt vmcnt(62)
	global_store_dwordx2 v[110:111], v[222:223], off
	global_store_dwordx2 v[112:113], v[224:225], off
	s_waitcnt vmcnt(62)
	global_store_dwordx2 v[114:115], v[226:227], off
	s_waitcnt vmcnt(61)
	global_store_dwordx2 v[116:117], v[228:229], off
	s_waitcnt vmcnt(60)
	global_store_dwordx2 v[118:119], v[230:231], off
	s_waitcnt vmcnt(59)
	global_store_dwordx2 v[36:37], v[232:233], off
	s_waitcnt vmcnt(58)
	global_store_dwordx2 v[38:39], v[234:235], off
.LBB58_1152:
	s_endpgm
	.section	.rodata,"a",@progbits
	.p2align	6, 0x0
	.amdhsa_kernel _ZN9rocsolver6v33100L18trti2_kernel_smallILi59EdPdEEv13rocblas_fill_17rocblas_diagonal_T1_iil
		.amdhsa_group_segment_fixed_size 952
		.amdhsa_private_segment_fixed_size 480
		.amdhsa_kernarg_size 32
		.amdhsa_user_sgpr_count 8
		.amdhsa_user_sgpr_private_segment_buffer 1
		.amdhsa_user_sgpr_dispatch_ptr 0
		.amdhsa_user_sgpr_queue_ptr 0
		.amdhsa_user_sgpr_kernarg_segment_ptr 1
		.amdhsa_user_sgpr_dispatch_id 0
		.amdhsa_user_sgpr_flat_scratch_init 1
		.amdhsa_user_sgpr_kernarg_preload_length 0
		.amdhsa_user_sgpr_kernarg_preload_offset 0
		.amdhsa_user_sgpr_private_segment_size 0
		.amdhsa_uses_dynamic_stack 0
		.amdhsa_system_sgpr_private_segment_wavefront_offset 1
		.amdhsa_system_sgpr_workgroup_id_x 1
		.amdhsa_system_sgpr_workgroup_id_y 0
		.amdhsa_system_sgpr_workgroup_id_z 0
		.amdhsa_system_sgpr_workgroup_info 0
		.amdhsa_system_vgpr_workitem_id 0
		.amdhsa_next_free_vgpr 236
		.amdhsa_next_free_sgpr 20
		.amdhsa_accum_offset 236
		.amdhsa_reserve_vcc 1
		.amdhsa_reserve_flat_scratch 0
		.amdhsa_float_round_mode_32 0
		.amdhsa_float_round_mode_16_64 0
		.amdhsa_float_denorm_mode_32 3
		.amdhsa_float_denorm_mode_16_64 3
		.amdhsa_dx10_clamp 1
		.amdhsa_ieee_mode 1
		.amdhsa_fp16_overflow 0
		.amdhsa_tg_split 0
		.amdhsa_exception_fp_ieee_invalid_op 0
		.amdhsa_exception_fp_denorm_src 0
		.amdhsa_exception_fp_ieee_div_zero 0
		.amdhsa_exception_fp_ieee_overflow 0
		.amdhsa_exception_fp_ieee_underflow 0
		.amdhsa_exception_fp_ieee_inexact 0
		.amdhsa_exception_int_div_zero 0
	.end_amdhsa_kernel
	.section	.text._ZN9rocsolver6v33100L18trti2_kernel_smallILi59EdPdEEv13rocblas_fill_17rocblas_diagonal_T1_iil,"axG",@progbits,_ZN9rocsolver6v33100L18trti2_kernel_smallILi59EdPdEEv13rocblas_fill_17rocblas_diagonal_T1_iil,comdat
.Lfunc_end58:
	.size	_ZN9rocsolver6v33100L18trti2_kernel_smallILi59EdPdEEv13rocblas_fill_17rocblas_diagonal_T1_iil, .Lfunc_end58-_ZN9rocsolver6v33100L18trti2_kernel_smallILi59EdPdEEv13rocblas_fill_17rocblas_diagonal_T1_iil
                                        ; -- End function
	.section	.AMDGPU.csdata,"",@progbits
; Kernel info:
; codeLenInByte = 34564
; NumSgprs: 24
; NumVgprs: 236
; NumAgprs: 0
; TotalNumVgprs: 236
; ScratchSize: 480
; MemoryBound: 0
; FloatMode: 240
; IeeeMode: 1
; LDSByteSize: 952 bytes/workgroup (compile time only)
; SGPRBlocks: 2
; VGPRBlocks: 29
; NumSGPRsForWavesPerEU: 24
; NumVGPRsForWavesPerEU: 236
; AccumOffset: 236
; Occupancy: 2
; WaveLimiterHint : 0
; COMPUTE_PGM_RSRC2:SCRATCH_EN: 1
; COMPUTE_PGM_RSRC2:USER_SGPR: 8
; COMPUTE_PGM_RSRC2:TRAP_HANDLER: 0
; COMPUTE_PGM_RSRC2:TGID_X_EN: 1
; COMPUTE_PGM_RSRC2:TGID_Y_EN: 0
; COMPUTE_PGM_RSRC2:TGID_Z_EN: 0
; COMPUTE_PGM_RSRC2:TIDIG_COMP_CNT: 0
; COMPUTE_PGM_RSRC3_GFX90A:ACCUM_OFFSET: 58
; COMPUTE_PGM_RSRC3_GFX90A:TG_SPLIT: 0
	.section	.text._ZN9rocsolver6v33100L18trti2_kernel_smallILi60EdPdEEv13rocblas_fill_17rocblas_diagonal_T1_iil,"axG",@progbits,_ZN9rocsolver6v33100L18trti2_kernel_smallILi60EdPdEEv13rocblas_fill_17rocblas_diagonal_T1_iil,comdat
	.globl	_ZN9rocsolver6v33100L18trti2_kernel_smallILi60EdPdEEv13rocblas_fill_17rocblas_diagonal_T1_iil ; -- Begin function _ZN9rocsolver6v33100L18trti2_kernel_smallILi60EdPdEEv13rocblas_fill_17rocblas_diagonal_T1_iil
	.p2align	8
	.type	_ZN9rocsolver6v33100L18trti2_kernel_smallILi60EdPdEEv13rocblas_fill_17rocblas_diagonal_T1_iil,@function
_ZN9rocsolver6v33100L18trti2_kernel_smallILi60EdPdEEv13rocblas_fill_17rocblas_diagonal_T1_iil: ; @_ZN9rocsolver6v33100L18trti2_kernel_smallILi60EdPdEEv13rocblas_fill_17rocblas_diagonal_T1_iil
; %bb.0:
	s_add_u32 s0, s0, s9
	s_addc_u32 s1, s1, 0
	v_cmp_gt_u32_e32 vcc, 60, v0
	s_and_saveexec_b64 s[6:7], vcc
	s_cbranch_execz .LBB59_1172
; %bb.1:
	s_load_dwordx8 s[12:19], s[4:5], 0x0
	s_ashr_i32 s6, s8, 31
	v_lshlrev_b32_e32 v1, 3, v0
	v_mov_b32_e32 v178, 0
	s_waitcnt lgkmcnt(0)
	s_mul_i32 s7, s8, s19
	s_mul_hi_u32 s9, s8, s18
	s_add_i32 s7, s9, s7
	s_mul_i32 s6, s6, s18
	s_add_i32 s7, s7, s6
	s_mul_i32 s6, s8, s18
	s_ashr_i32 s5, s16, 31
	s_lshl_b64 s[6:7], s[6:7], 3
	s_mov_b32 s4, s16
	s_add_u32 s6, s14, s6
	s_addc_u32 s7, s15, s7
	s_lshl_b64 s[4:5], s[4:5], 3
	s_add_u32 s4, s6, s4
	s_addc_u32 s5, s7, s5
	v_mov_b32_e32 v3, s5
	v_add_co_u32_e32 v2, vcc, s4, v1
	s_ashr_i32 s7, s17, 31
	s_mov_b32 s6, s17
	v_addc_co_u32_e32 v3, vcc, 0, v3, vcc
	s_lshl_b64 s[6:7], s[6:7], 3
	v_add_co_u32_e32 v4, vcc, s6, v2
	s_add_i32 s6, s17, s17
	v_add_u32_e32 v8, s6, v0
	v_mov_b32_e32 v5, s7
	v_ashrrev_i32_e32 v9, 31, v8
	v_addc_co_u32_e32 v5, vcc, v3, v5, vcc
	v_lshlrev_b64 v[6:7], 3, v[8:9]
	v_add_u32_e32 v10, s17, v8
	v_mov_b32_e32 v9, s5
	v_add_co_u32_e32 v6, vcc, s4, v6
	v_ashrrev_i32_e32 v11, 31, v10
	v_addc_co_u32_e32 v7, vcc, v9, v7, vcc
	v_lshlrev_b64 v[8:9], 3, v[10:11]
	v_add_u32_e32 v12, s17, v10
	v_mov_b32_e32 v11, s5
	v_add_co_u32_e32 v8, vcc, s4, v8
	;; [unrolled: 6-line block ×14, first 2 shown]
	v_ashrrev_i32_e32 v37, 31, v36
	v_addc_co_u32_e32 v33, vcc, v35, v33, vcc
	v_lshlrev_b64 v[34:35], 3, v[36:37]
	global_load_dwordx2 v[42:43], v1, s[4:5]
	v_mov_b32_e32 v37, s5
	v_add_co_u32_e32 v34, vcc, s4, v34
	global_load_dwordx2 v[50:51], v[4:5], off
	global_load_dwordx2 v[48:49], v[6:7], off
	;; [unrolled: 1-line block ×12, first 2 shown]
	v_addc_co_u32_e32 v35, vcc, v37, v35, vcc
	global_load_dwordx2 v[72:73], v[28:29], off
	global_load_dwordx2 v[70:71], v[30:31], off
	;; [unrolled: 1-line block ×4, first 2 shown]
	v_add_u32_e32 v74, s17, v36
	v_add_u32_e32 v76, s17, v74
	;; [unrolled: 1-line block ×41, first 2 shown]
	v_ashrrev_i32_e32 v39, 31, v38
	v_lshlrev_b64 v[36:37], 3, v[38:39]
	v_add_u32_e32 v40, s17, v38
	v_mov_b32_e32 v39, s5
	v_add_co_u32_e32 v36, vcc, s4, v36
	v_ashrrev_i32_e32 v41, 31, v40
	v_addc_co_u32_e32 v37, vcc, v39, v37, vcc
	v_lshlrev_b64 v[38:39], 3, v[40:41]
	v_mov_b32_e32 v41, s5
	v_add_co_u32_e32 v38, vcc, s4, v38
	v_add_u32_e32 v40, s17, v40
	v_addc_co_u32_e32 v39, vcc, v41, v39, vcc
	v_ashrrev_i32_e32 v41, 31, v40
	v_lshlrev_b64 v[40:41], 3, v[40:41]
	v_mov_b32_e32 v75, s5
	v_add_co_u32_e32 v40, vcc, s4, v40
	v_addc_co_u32_e32 v41, vcc, v75, v41, vcc
	v_ashrrev_i32_e32 v75, 31, v74
	global_load_dwordx2 v[154:155], v[36:37], off
	global_load_dwordx2 v[152:153], v[38:39], off
	;; [unrolled: 1-line block ×3, first 2 shown]
	s_waitcnt vmcnt(19)
	buffer_store_dword v43, off, s[0:3], 0 offset:4
	buffer_store_dword v42, off, s[0:3], 0
	v_lshlrev_b64 v[42:43], 3, v[74:75]
	s_waitcnt vmcnt(20)
	buffer_store_dword v51, off, s[0:3], 0 offset:12
	buffer_store_dword v50, off, s[0:3], 0 offset:8
	s_waitcnt vmcnt(21)
	buffer_store_dword v49, off, s[0:3], 0 offset:20
	buffer_store_dword v48, off, s[0:3], 0 offset:16
	;; [unrolled: 3-line block ×15, first 2 shown]
	s_waitcnt vmcnt(35)
	buffer_store_dword v122, off, s[0:3], 0 offset:128
	v_mov_b32_e32 v44, s5
	v_add_co_u32_e32 v42, vcc, s4, v42
	v_ashrrev_i32_e32 v77, 31, v76
	v_addc_co_u32_e32 v43, vcc, v44, v43, vcc
	v_lshlrev_b64 v[44:45], 3, v[76:77]
	v_mov_b32_e32 v46, s5
	v_add_co_u32_e32 v44, vcc, s4, v44
	v_ashrrev_i32_e32 v79, 31, v78
	v_addc_co_u32_e32 v45, vcc, v46, v45, vcc
	v_lshlrev_b64 v[46:47], 3, v[78:79]
	;; [unrolled: 5-line block ×38, first 2 shown]
	v_mov_b32_e32 v120, s5
	v_add_co_u32_e32 v118, vcc, s4, v118
	global_load_dwordx2 v[162:163], v[42:43], off
	global_load_dwordx2 v[164:165], v[44:45], off
	;; [unrolled: 1-line block ×36, first 2 shown]
	v_addc_co_u32_e32 v119, vcc, v120, v119, vcc
	global_load_dwordx2 v[150:151], v[114:115], off
	global_load_dwordx2 v[156:157], v[116:117], off
	;; [unrolled: 1-line block ×3, first 2 shown]
	v_ashrrev_i32_e32 v161, 31, v160
	v_lshlrev_b64 v[120:121], 3, v[160:161]
	v_mov_b32_e32 v122, s5
	v_add_co_u32_e32 v120, vcc, s4, v120
	v_addc_co_u32_e32 v121, vcc, v122, v121, vcc
	global_load_dwordx2 v[160:161], v[120:121], off
	s_nop 0
	buffer_store_dword v123, off, s[0:3], 0 offset:132
	s_waitcnt vmcnt(40)
	buffer_store_dword v162, off, s[0:3], 0 offset:136
	buffer_store_dword v163, off, s[0:3], 0 offset:140
	s_waitcnt vmcnt(41)
	buffer_store_dword v164, off, s[0:3], 0 offset:144
	;; [unrolled: 3-line block ×24, first 2 shown]
	buffer_store_dword v211, off, s[0:3], 0 offset:324
	buffer_store_dword v124, off, s[0:3], 0 offset:328
	;; [unrolled: 1-line block ×3, first 2 shown]
	s_waitcnt vmcnt(62)
	buffer_store_dword v128, off, s[0:3], 0 offset:336
	buffer_store_dword v129, off, s[0:3], 0 offset:340
	;; [unrolled: 1-line block ×8, first 2 shown]
	s_waitcnt vmcnt(62)
	buffer_store_dword v136, off, s[0:3], 0 offset:368
	buffer_store_dword v137, off, s[0:3], 0 offset:372
	;; [unrolled: 1-line block ×16, first 2 shown]
	s_waitcnt vmcnt(62)
	buffer_store_dword v156, off, s[0:3], 0 offset:432
	buffer_store_dword v157, off, s[0:3], 0 offset:436
	;; [unrolled: 1-line block ×12, first 2 shown]
	s_cmpk_lg_i32 s13, 0x84
	v_mov_b32_e32 v122, 0
	s_cselect_b64 s[8:9], -1, 0
	s_cmpk_eq_i32 s13, 0x84
	v_mov_b32_e32 v123, 0xbff00000
	s_cbranch_scc1 .LBB59_3
; %bb.2:
	v_lshl_add_u32 v132, v0, 3, v178
	buffer_load_dword v122, v132, s[0:3], 0 offen
	buffer_load_dword v123, v132, s[0:3], 0 offen offset:4
	s_waitcnt vmcnt(0)
	v_div_scale_f64 v[124:125], s[4:5], v[122:123], v[122:123], 1.0
	v_rcp_f64_e32 v[126:127], v[124:125]
	v_div_scale_f64 v[128:129], vcc, 1.0, v[122:123], 1.0
	v_fma_f64 v[130:131], -v[124:125], v[126:127], 1.0
	v_fmac_f64_e32 v[126:127], v[126:127], v[130:131]
	v_fma_f64 v[130:131], -v[124:125], v[126:127], 1.0
	v_fmac_f64_e32 v[126:127], v[126:127], v[130:131]
	v_mul_f64 v[130:131], v[128:129], v[126:127]
	v_fma_f64 v[124:125], -v[124:125], v[130:131], v[128:129]
	v_div_fmas_f64 v[124:125], v[124:125], v[126:127], v[130:131]
	v_div_fixup_f64 v[122:123], v[124:125], v[122:123], 1.0
	buffer_store_dword v122, v132, s[0:3], 0 offen
	buffer_store_dword v123, v132, s[0:3], 0 offen offset:4
	v_xor_b32_e32 v123, 0x80000000, v123
.LBB59_3:
	s_cmpk_eq_i32 s12, 0x79
	v_add_u32_e32 v124, 0x1e0, v1
	v_add_u32_e32 v125, 0, v1
	s_mov_b64 s[4:5], -1
	ds_write_b64 v1, v[122:123]
	s_cbranch_scc1 .LBB59_587
; %bb.4:
	buffer_load_dword v122, off, s[0:3], 0 offset:464
	buffer_load_dword v123, off, s[0:3], 0 offset:468
	v_cmp_eq_u32_e64 s[4:5], 59, v0
	s_waitcnt vmcnt(0)
	ds_write_b64 v124, v[122:123]
	s_waitcnt lgkmcnt(0)
	; wave barrier
	s_waitcnt lgkmcnt(0)
	s_and_saveexec_b64 s[6:7], s[4:5]
	s_cbranch_execz .LBB59_10
; %bb.5:
	s_and_b64 vcc, exec, s[8:9]
	s_cbranch_vccz .LBB59_7
; %bb.6:
	buffer_load_dword v122, v125, s[0:3], 0 offen
	buffer_load_dword v123, v125, s[0:3], 0 offen offset:4
	ds_read_b64 v[126:127], v124
	s_waitcnt vmcnt(0) lgkmcnt(0)
	v_mul_f64 v[122:123], v[122:123], v[126:127]
	s_cbranch_execz .LBB59_8
	s_branch .LBB59_9
.LBB59_7:
                                        ; implicit-def: $vgpr122_vgpr123
.LBB59_8:
	ds_read_b64 v[122:123], v124
.LBB59_9:
	v_mov_b32_e32 v126, 0
	ds_read_b64 v[126:127], v126 offset:464
	s_waitcnt lgkmcnt(0)
	v_mul_f64 v[122:123], v[122:123], v[126:127]
	buffer_store_dword v123, off, s[0:3], 0 offset:468
	buffer_store_dword v122, off, s[0:3], 0 offset:464
.LBB59_10:
	s_or_b64 exec, exec, s[6:7]
	buffer_load_dword v122, off, s[0:3], 0 offset:456
	buffer_load_dword v123, off, s[0:3], 0 offset:460
	v_or_b32_e32 v126, 8, v178
	v_add_u32_e32 v127, 16, v178
	v_add_u32_e32 v128, 24, v178
	;; [unrolled: 1-line block ×56, first 2 shown]
	v_cmp_lt_u32_e64 s[6:7], 57, v0
	s_waitcnt vmcnt(0)
	ds_write_b64 v124, v[122:123]
	s_waitcnt lgkmcnt(0)
	; wave barrier
	s_waitcnt lgkmcnt(0)
	s_and_saveexec_b64 s[10:11], s[6:7]
	s_cbranch_execz .LBB59_16
; %bb.11:
	s_andn2_b64 vcc, exec, s[8:9]
	s_cbranch_vccnz .LBB59_13
; %bb.12:
	buffer_load_dword v122, v125, s[0:3], 0 offen
	buffer_load_dword v123, v125, s[0:3], 0 offen offset:4
	ds_read_b64 v[184:185], v124
	s_waitcnt vmcnt(0) lgkmcnt(0)
	v_mul_f64 v[122:123], v[122:123], v[184:185]
	s_cbranch_execz .LBB59_14
	s_branch .LBB59_15
.LBB59_13:
                                        ; implicit-def: $vgpr122_vgpr123
.LBB59_14:
	ds_read_b64 v[122:123], v124
.LBB59_15:
	buffer_load_dword v188, off, s[0:3], 0 offset:464
	buffer_load_dword v189, off, s[0:3], 0 offset:468
	v_mov_b32_e32 v183, 0
	ds_read2_b64 v[184:187], v183 offset0:57 offset1:118
	s_waitcnt vmcnt(0) lgkmcnt(0)
	v_fma_f64 v[186:187], v[188:189], v[186:187], v[122:123]
	v_cndmask_b32_e64 v123, v123, v187, s[4:5]
	v_cndmask_b32_e64 v122, v122, v186, s[4:5]
	v_mul_f64 v[122:123], v[122:123], v[184:185]
	buffer_store_dword v123, off, s[0:3], 0 offset:460
	buffer_store_dword v122, off, s[0:3], 0 offset:456
.LBB59_16:
	s_or_b64 exec, exec, s[10:11]
	buffer_load_dword v122, off, s[0:3], 0 offset:448
	buffer_load_dword v123, off, s[0:3], 0 offset:452
	v_cmp_lt_u32_e64 s[4:5], 56, v0
	s_waitcnt vmcnt(0)
	ds_write_b64 v124, v[122:123]
	s_waitcnt lgkmcnt(0)
	; wave barrier
	s_waitcnt lgkmcnt(0)
	s_and_saveexec_b64 s[10:11], s[4:5]
	s_cbranch_execz .LBB59_26
; %bb.17:
	s_andn2_b64 vcc, exec, s[8:9]
	s_cbranch_vccnz .LBB59_19
; %bb.18:
	buffer_load_dword v122, v125, s[0:3], 0 offen
	buffer_load_dword v123, v125, s[0:3], 0 offen offset:4
	ds_read_b64 v[184:185], v124
	s_waitcnt vmcnt(0) lgkmcnt(0)
	v_mul_f64 v[122:123], v[122:123], v[184:185]
	s_cbranch_execz .LBB59_20
	s_branch .LBB59_21
.LBB59_19:
                                        ; implicit-def: $vgpr122_vgpr123
.LBB59_20:
	ds_read_b64 v[122:123], v124
.LBB59_21:
	s_and_saveexec_b64 s[12:13], s[6:7]
	s_cbranch_execz .LBB59_25
; %bb.22:
	v_subrev_u32_e32 v183, 57, v0
	s_movk_i32 s14, 0x3a8
	s_mov_b64 s[6:7], 0
.LBB59_23:                              ; =>This Inner Loop Header: Depth=1
	buffer_load_dword v184, v178, s[0:3], 0 offen
	buffer_load_dword v185, v178, s[0:3], 0 offen offset:4
	v_mov_b32_e32 v186, s14
	ds_read_b64 v[186:187], v186
	v_add_u32_e32 v183, -1, v183
	s_add_i32 s14, s14, 8
	v_cmp_eq_u32_e32 vcc, 0, v183
	v_add_u32_e32 v178, 8, v178
	s_or_b64 s[6:7], vcc, s[6:7]
	s_waitcnt vmcnt(0) lgkmcnt(0)
	v_fmac_f64_e32 v[122:123], v[184:185], v[186:187]
	s_andn2_b64 exec, exec, s[6:7]
	s_cbranch_execnz .LBB59_23
; %bb.24:
	s_or_b64 exec, exec, s[6:7]
.LBB59_25:
	s_or_b64 exec, exec, s[12:13]
	v_mov_b32_e32 v178, 0
	ds_read_b64 v[184:185], v178 offset:448
	s_waitcnt lgkmcnt(0)
	v_mul_f64 v[122:123], v[122:123], v[184:185]
	buffer_store_dword v123, off, s[0:3], 0 offset:452
	buffer_store_dword v122, off, s[0:3], 0 offset:448
.LBB59_26:
	s_or_b64 exec, exec, s[10:11]
	buffer_load_dword v122, off, s[0:3], 0 offset:440
	buffer_load_dword v123, off, s[0:3], 0 offset:444
	v_cmp_lt_u32_e64 s[6:7], 55, v0
	s_waitcnt vmcnt(0)
	ds_write_b64 v124, v[122:123]
	s_waitcnt lgkmcnt(0)
	; wave barrier
	s_waitcnt lgkmcnt(0)
	s_and_saveexec_b64 s[10:11], s[6:7]
	s_cbranch_execz .LBB59_36
; %bb.27:
	s_andn2_b64 vcc, exec, s[8:9]
	s_cbranch_vccnz .LBB59_29
; %bb.28:
	buffer_load_dword v122, v125, s[0:3], 0 offen
	buffer_load_dword v123, v125, s[0:3], 0 offen offset:4
	ds_read_b64 v[184:185], v124
	s_waitcnt vmcnt(0) lgkmcnt(0)
	v_mul_f64 v[122:123], v[122:123], v[184:185]
	s_cbranch_execz .LBB59_30
	s_branch .LBB59_31
.LBB59_29:
                                        ; implicit-def: $vgpr122_vgpr123
.LBB59_30:
	ds_read_b64 v[122:123], v124
.LBB59_31:
	s_and_saveexec_b64 s[12:13], s[4:5]
	s_cbranch_execz .LBB59_35
; %bb.32:
	v_subrev_u32_e32 v178, 56, v0
	s_movk_i32 s14, 0x3a0
	s_mov_b64 s[4:5], 0
.LBB59_33:                              ; =>This Inner Loop Header: Depth=1
	buffer_load_dword v184, v182, s[0:3], 0 offen
	buffer_load_dword v185, v182, s[0:3], 0 offen offset:4
	v_mov_b32_e32 v183, s14
	ds_read_b64 v[186:187], v183
	v_add_u32_e32 v178, -1, v178
	s_add_i32 s14, s14, 8
	v_cmp_eq_u32_e32 vcc, 0, v178
	v_add_u32_e32 v182, 8, v182
	s_or_b64 s[4:5], vcc, s[4:5]
	s_waitcnt vmcnt(0) lgkmcnt(0)
	v_fmac_f64_e32 v[122:123], v[184:185], v[186:187]
	s_andn2_b64 exec, exec, s[4:5]
	s_cbranch_execnz .LBB59_33
; %bb.34:
	s_or_b64 exec, exec, s[4:5]
.LBB59_35:
	s_or_b64 exec, exec, s[12:13]
	v_mov_b32_e32 v178, 0
	ds_read_b64 v[182:183], v178 offset:440
	s_waitcnt lgkmcnt(0)
	v_mul_f64 v[122:123], v[122:123], v[182:183]
	buffer_store_dword v123, off, s[0:3], 0 offset:444
	buffer_store_dword v122, off, s[0:3], 0 offset:440
.LBB59_36:
	;; [unrolled: 58-line block ×8, first 2 shown]
	s_or_b64 exec, exec, s[10:11]
	buffer_load_dword v122, off, s[0:3], 0 offset:384
	buffer_load_dword v123, off, s[0:3], 0 offset:388
	v_cmp_lt_u32_e64 s[4:5], 48, v0
	s_waitcnt vmcnt(0)
	ds_write_b64 v124, v[122:123]
	s_waitcnt lgkmcnt(0)
	; wave barrier
	s_waitcnt lgkmcnt(0)
	s_and_saveexec_b64 s[10:11], s[4:5]
	s_cbranch_execz .LBB59_106
; %bb.97:
	s_andn2_b64 vcc, exec, s[8:9]
	s_cbranch_vccnz .LBB59_99
; %bb.98:
	buffer_load_dword v122, v125, s[0:3], 0 offen
	buffer_load_dword v123, v125, s[0:3], 0 offen offset:4
	ds_read_b64 v[176:177], v124
	s_waitcnt vmcnt(0) lgkmcnt(0)
	v_mul_f64 v[122:123], v[122:123], v[176:177]
	s_cbranch_execz .LBB59_100
	s_branch .LBB59_101
.LBB59_99:
                                        ; implicit-def: $vgpr122_vgpr123
.LBB59_100:
	ds_read_b64 v[122:123], v124
.LBB59_101:
	s_and_saveexec_b64 s[12:13], s[6:7]
	s_cbranch_execz .LBB59_105
; %bb.102:
	v_subrev_u32_e32 v175, 49, v0
	s_movk_i32 s14, 0x368
	s_mov_b64 s[6:7], 0
.LBB59_103:                             ; =>This Inner Loop Header: Depth=1
	buffer_load_dword v176, v174, s[0:3], 0 offen
	buffer_load_dword v177, v174, s[0:3], 0 offen offset:4
	v_mov_b32_e32 v178, s14
	ds_read_b64 v[178:179], v178
	v_add_u32_e32 v175, -1, v175
	s_add_i32 s14, s14, 8
	v_cmp_eq_u32_e32 vcc, 0, v175
	v_add_u32_e32 v174, 8, v174
	s_or_b64 s[6:7], vcc, s[6:7]
	s_waitcnt vmcnt(0) lgkmcnt(0)
	v_fmac_f64_e32 v[122:123], v[176:177], v[178:179]
	s_andn2_b64 exec, exec, s[6:7]
	s_cbranch_execnz .LBB59_103
; %bb.104:
	s_or_b64 exec, exec, s[6:7]
.LBB59_105:
	s_or_b64 exec, exec, s[12:13]
	v_mov_b32_e32 v174, 0
	ds_read_b64 v[174:175], v174 offset:384
	s_waitcnt lgkmcnt(0)
	v_mul_f64 v[122:123], v[122:123], v[174:175]
	buffer_store_dword v123, off, s[0:3], 0 offset:388
	buffer_store_dword v122, off, s[0:3], 0 offset:384
.LBB59_106:
	s_or_b64 exec, exec, s[10:11]
	buffer_load_dword v122, off, s[0:3], 0 offset:376
	buffer_load_dword v123, off, s[0:3], 0 offset:380
	v_cmp_lt_u32_e64 s[6:7], 47, v0
	s_waitcnt vmcnt(0)
	ds_write_b64 v124, v[122:123]
	s_waitcnt lgkmcnt(0)
	; wave barrier
	s_waitcnt lgkmcnt(0)
	s_and_saveexec_b64 s[10:11], s[6:7]
	s_cbranch_execz .LBB59_116
; %bb.107:
	s_andn2_b64 vcc, exec, s[8:9]
	s_cbranch_vccnz .LBB59_109
; %bb.108:
	buffer_load_dword v122, v125, s[0:3], 0 offen
	buffer_load_dword v123, v125, s[0:3], 0 offen offset:4
	ds_read_b64 v[174:175], v124
	s_waitcnt vmcnt(0) lgkmcnt(0)
	v_mul_f64 v[122:123], v[122:123], v[174:175]
	s_cbranch_execz .LBB59_110
	s_branch .LBB59_111
.LBB59_109:
                                        ; implicit-def: $vgpr122_vgpr123
.LBB59_110:
	ds_read_b64 v[122:123], v124
.LBB59_111:
	s_and_saveexec_b64 s[12:13], s[4:5]
	s_cbranch_execz .LBB59_115
; %bb.112:
	v_subrev_u32_e32 v174, 48, v0
	s_movk_i32 s14, 0x360
	s_mov_b64 s[4:5], 0
.LBB59_113:                             ; =>This Inner Loop Header: Depth=1
	buffer_load_dword v176, v173, s[0:3], 0 offen
	buffer_load_dword v177, v173, s[0:3], 0 offen offset:4
	v_mov_b32_e32 v175, s14
	ds_read_b64 v[178:179], v175
	v_add_u32_e32 v174, -1, v174
	s_add_i32 s14, s14, 8
	v_cmp_eq_u32_e32 vcc, 0, v174
	v_add_u32_e32 v173, 8, v173
	s_or_b64 s[4:5], vcc, s[4:5]
	s_waitcnt vmcnt(0) lgkmcnt(0)
	v_fmac_f64_e32 v[122:123], v[176:177], v[178:179]
	s_andn2_b64 exec, exec, s[4:5]
	s_cbranch_execnz .LBB59_113
; %bb.114:
	s_or_b64 exec, exec, s[4:5]
.LBB59_115:
	s_or_b64 exec, exec, s[12:13]
	v_mov_b32_e32 v173, 0
	ds_read_b64 v[174:175], v173 offset:376
	s_waitcnt lgkmcnt(0)
	v_mul_f64 v[122:123], v[122:123], v[174:175]
	buffer_store_dword v123, off, s[0:3], 0 offset:380
	buffer_store_dword v122, off, s[0:3], 0 offset:376
.LBB59_116:
	;; [unrolled: 58-line block ×33, first 2 shown]
	s_or_b64 exec, exec, s[10:11]
	buffer_load_dword v122, off, s[0:3], 0 offset:120
	buffer_load_dword v123, off, s[0:3], 0 offset:124
	v_cmp_lt_u32_e64 s[6:7], 15, v0
	s_waitcnt vmcnt(0)
	ds_write_b64 v124, v[122:123]
	s_waitcnt lgkmcnt(0)
	; wave barrier
	s_waitcnt lgkmcnt(0)
	s_and_saveexec_b64 s[10:11], s[6:7]
	s_cbranch_execz .LBB59_436
; %bb.427:
	s_andn2_b64 vcc, exec, s[8:9]
	s_cbranch_vccnz .LBB59_429
; %bb.428:
	buffer_load_dword v122, v125, s[0:3], 0 offen
	buffer_load_dword v123, v125, s[0:3], 0 offen offset:4
	ds_read_b64 v[142:143], v124
	s_waitcnt vmcnt(0) lgkmcnt(0)
	v_mul_f64 v[122:123], v[122:123], v[142:143]
	s_cbranch_execz .LBB59_430
	s_branch .LBB59_431
.LBB59_429:
                                        ; implicit-def: $vgpr122_vgpr123
.LBB59_430:
	ds_read_b64 v[122:123], v124
.LBB59_431:
	s_and_saveexec_b64 s[12:13], s[4:5]
	s_cbranch_execz .LBB59_435
; %bb.432:
	v_add_u32_e32 v142, -16, v0
	s_movk_i32 s14, 0x260
	s_mov_b64 s[4:5], 0
.LBB59_433:                             ; =>This Inner Loop Header: Depth=1
	buffer_load_dword v144, v141, s[0:3], 0 offen
	buffer_load_dword v145, v141, s[0:3], 0 offen offset:4
	v_mov_b32_e32 v143, s14
	ds_read_b64 v[146:147], v143
	v_add_u32_e32 v142, -1, v142
	s_add_i32 s14, s14, 8
	v_cmp_eq_u32_e32 vcc, 0, v142
	v_add_u32_e32 v141, 8, v141
	s_or_b64 s[4:5], vcc, s[4:5]
	s_waitcnt vmcnt(0) lgkmcnt(0)
	v_fmac_f64_e32 v[122:123], v[144:145], v[146:147]
	s_andn2_b64 exec, exec, s[4:5]
	s_cbranch_execnz .LBB59_433
; %bb.434:
	s_or_b64 exec, exec, s[4:5]
.LBB59_435:
	s_or_b64 exec, exec, s[12:13]
	v_mov_b32_e32 v141, 0
	ds_read_b64 v[142:143], v141 offset:120
	s_waitcnt lgkmcnt(0)
	v_mul_f64 v[122:123], v[122:123], v[142:143]
	buffer_store_dword v123, off, s[0:3], 0 offset:124
	buffer_store_dword v122, off, s[0:3], 0 offset:120
.LBB59_436:
	s_or_b64 exec, exec, s[10:11]
	buffer_load_dword v122, off, s[0:3], 0 offset:112
	buffer_load_dword v123, off, s[0:3], 0 offset:116
	v_cmp_lt_u32_e64 s[4:5], 14, v0
	s_waitcnt vmcnt(0)
	ds_write_b64 v124, v[122:123]
	s_waitcnt lgkmcnt(0)
	; wave barrier
	s_waitcnt lgkmcnt(0)
	s_and_saveexec_b64 s[10:11], s[4:5]
	s_cbranch_execz .LBB59_446
; %bb.437:
	s_andn2_b64 vcc, exec, s[8:9]
	s_cbranch_vccnz .LBB59_439
; %bb.438:
	buffer_load_dword v122, v125, s[0:3], 0 offen
	buffer_load_dword v123, v125, s[0:3], 0 offen offset:4
	ds_read_b64 v[142:143], v124
	s_waitcnt vmcnt(0) lgkmcnt(0)
	v_mul_f64 v[122:123], v[122:123], v[142:143]
	s_cbranch_execz .LBB59_440
	s_branch .LBB59_441
.LBB59_439:
                                        ; implicit-def: $vgpr122_vgpr123
.LBB59_440:
	ds_read_b64 v[122:123], v124
.LBB59_441:
	s_and_saveexec_b64 s[12:13], s[6:7]
	s_cbranch_execz .LBB59_445
; %bb.442:
	v_add_u32_e32 v141, -15, v0
	s_movk_i32 s14, 0x258
	s_mov_b64 s[6:7], 0
.LBB59_443:                             ; =>This Inner Loop Header: Depth=1
	buffer_load_dword v142, v140, s[0:3], 0 offen
	buffer_load_dword v143, v140, s[0:3], 0 offen offset:4
	v_mov_b32_e32 v144, s14
	ds_read_b64 v[144:145], v144
	v_add_u32_e32 v141, -1, v141
	s_add_i32 s14, s14, 8
	v_cmp_eq_u32_e32 vcc, 0, v141
	v_add_u32_e32 v140, 8, v140
	s_or_b64 s[6:7], vcc, s[6:7]
	s_waitcnt vmcnt(0) lgkmcnt(0)
	v_fmac_f64_e32 v[122:123], v[142:143], v[144:145]
	s_andn2_b64 exec, exec, s[6:7]
	s_cbranch_execnz .LBB59_443
; %bb.444:
	s_or_b64 exec, exec, s[6:7]
.LBB59_445:
	s_or_b64 exec, exec, s[12:13]
	v_mov_b32_e32 v140, 0
	ds_read_b64 v[140:141], v140 offset:112
	s_waitcnt lgkmcnt(0)
	v_mul_f64 v[122:123], v[122:123], v[140:141]
	buffer_store_dword v123, off, s[0:3], 0 offset:116
	buffer_store_dword v122, off, s[0:3], 0 offset:112
.LBB59_446:
	;; [unrolled: 58-line block ×15, first 2 shown]
	s_or_b64 exec, exec, s[10:11]
	buffer_load_dword v122, off, s[0:3], 0
	buffer_load_dword v123, off, s[0:3], 0 offset:4
	v_cmp_ne_u32_e32 vcc, 0, v0
	s_waitcnt vmcnt(0)
	ds_write_b64 v124, v[122:123]
	s_waitcnt lgkmcnt(0)
	; wave barrier
	s_waitcnt lgkmcnt(0)
	s_and_saveexec_b64 s[4:5], vcc
	s_cbranch_execz .LBB59_586
; %bb.577:
	s_andn2_b64 vcc, exec, s[8:9]
	s_cbranch_vccnz .LBB59_579
; %bb.578:
	buffer_load_dword v122, v125, s[0:3], 0 offen
	buffer_load_dword v123, v125, s[0:3], 0 offen offset:4
	ds_read_b64 v[128:129], v124
	s_waitcnt vmcnt(0) lgkmcnt(0)
	v_mul_f64 v[122:123], v[122:123], v[128:129]
	s_cbranch_execz .LBB59_580
	s_branch .LBB59_581
.LBB59_579:
                                        ; implicit-def: $vgpr122_vgpr123
.LBB59_580:
	ds_read_b64 v[122:123], v124
.LBB59_581:
	s_and_saveexec_b64 s[10:11], s[6:7]
	s_cbranch_execz .LBB59_585
; %bb.582:
	v_add_u32_e32 v127, -1, v0
	s_movk_i32 s12, 0x1e8
	s_mov_b64 s[6:7], 0
.LBB59_583:                             ; =>This Inner Loop Header: Depth=1
	buffer_load_dword v128, v126, s[0:3], 0 offen
	buffer_load_dword v129, v126, s[0:3], 0 offen offset:4
	v_mov_b32_e32 v130, s12
	ds_read_b64 v[130:131], v130
	v_add_u32_e32 v127, -1, v127
	s_add_i32 s12, s12, 8
	v_cmp_eq_u32_e32 vcc, 0, v127
	v_add_u32_e32 v126, 8, v126
	s_or_b64 s[6:7], vcc, s[6:7]
	s_waitcnt vmcnt(0) lgkmcnt(0)
	v_fmac_f64_e32 v[122:123], v[128:129], v[130:131]
	s_andn2_b64 exec, exec, s[6:7]
	s_cbranch_execnz .LBB59_583
; %bb.584:
	s_or_b64 exec, exec, s[6:7]
.LBB59_585:
	s_or_b64 exec, exec, s[10:11]
	v_mov_b32_e32 v126, 0
	ds_read_b64 v[126:127], v126
	s_waitcnt lgkmcnt(0)
	v_mul_f64 v[122:123], v[122:123], v[126:127]
	buffer_store_dword v123, off, s[0:3], 0 offset:4
	buffer_store_dword v122, off, s[0:3], 0
.LBB59_586:
	s_or_b64 exec, exec, s[4:5]
	s_mov_b64 s[4:5], 0
.LBB59_587:
	s_and_b64 vcc, exec, s[4:5]
	s_cbranch_vccz .LBB59_1171
; %bb.588:
	buffer_load_dword v122, off, s[0:3], 0 offset:8
	buffer_load_dword v123, off, s[0:3], 0 offset:12
	v_cmp_eq_u32_e64 s[6:7], 0, v0
	s_waitcnt vmcnt(0)
	ds_write_b64 v124, v[122:123]
	s_waitcnt lgkmcnt(0)
	; wave barrier
	s_waitcnt lgkmcnt(0)
	s_and_saveexec_b64 s[4:5], s[6:7]
	s_cbranch_execz .LBB59_594
; %bb.589:
	s_and_b64 vcc, exec, s[8:9]
	s_cbranch_vccz .LBB59_591
; %bb.590:
	buffer_load_dword v122, v125, s[0:3], 0 offen
	buffer_load_dword v123, v125, s[0:3], 0 offen offset:4
	ds_read_b64 v[126:127], v124
	s_waitcnt vmcnt(0) lgkmcnt(0)
	v_mul_f64 v[122:123], v[122:123], v[126:127]
	s_cbranch_execz .LBB59_592
	s_branch .LBB59_593
.LBB59_591:
                                        ; implicit-def: $vgpr122_vgpr123
.LBB59_592:
	ds_read_b64 v[122:123], v124
.LBB59_593:
	v_mov_b32_e32 v126, 0
	ds_read_b64 v[126:127], v126 offset:8
	s_waitcnt lgkmcnt(0)
	v_mul_f64 v[122:123], v[122:123], v[126:127]
	buffer_store_dword v123, off, s[0:3], 0 offset:12
	buffer_store_dword v122, off, s[0:3], 0 offset:8
.LBB59_594:
	s_or_b64 exec, exec, s[4:5]
	buffer_load_dword v122, off, s[0:3], 0 offset:16
	buffer_load_dword v123, off, s[0:3], 0 offset:20
	v_cndmask_b32_e64 v126, 0, 1, s[8:9]
	v_cmp_gt_u32_e32 vcc, 2, v0
	v_cmp_ne_u32_e64 s[4:5], 1, v126
	s_waitcnt vmcnt(0)
	ds_write_b64 v124, v[122:123]
	s_waitcnt lgkmcnt(0)
	; wave barrier
	s_waitcnt lgkmcnt(0)
	s_and_saveexec_b64 s[8:9], vcc
	s_cbranch_execz .LBB59_602
; %bb.595:
	s_and_b64 vcc, exec, s[4:5]
	s_cbranch_vccnz .LBB59_597
; %bb.596:
	buffer_load_dword v122, v125, s[0:3], 0 offen
	buffer_load_dword v123, v125, s[0:3], 0 offen offset:4
	ds_read_b64 v[126:127], v124
	s_waitcnt vmcnt(0) lgkmcnt(0)
	v_mul_f64 v[122:123], v[122:123], v[126:127]
	s_cbranch_execz .LBB59_598
	s_branch .LBB59_599
.LBB59_597:
                                        ; implicit-def: $vgpr122_vgpr123
.LBB59_598:
	ds_read_b64 v[122:123], v124
.LBB59_599:
	s_and_saveexec_b64 s[10:11], s[6:7]
	s_cbranch_execz .LBB59_601
; %bb.600:
	buffer_load_dword v126, v125, s[0:3], 0 offen offset:8
	buffer_load_dword v127, v125, s[0:3], 0 offen offset:12
	ds_read_b64 v[128:129], v124 offset:8
	s_waitcnt vmcnt(0) lgkmcnt(0)
	v_fmac_f64_e32 v[122:123], v[126:127], v[128:129]
.LBB59_601:
	s_or_b64 exec, exec, s[10:11]
	v_mov_b32_e32 v126, 0
	ds_read_b64 v[126:127], v126 offset:16
	s_waitcnt lgkmcnt(0)
	v_mul_f64 v[122:123], v[122:123], v[126:127]
	buffer_store_dword v123, off, s[0:3], 0 offset:20
	buffer_store_dword v122, off, s[0:3], 0 offset:16
.LBB59_602:
	s_or_b64 exec, exec, s[8:9]
	buffer_load_dword v122, off, s[0:3], 0 offset:24
	buffer_load_dword v123, off, s[0:3], 0 offset:28
	v_cmp_gt_u32_e32 vcc, 3, v0
	s_waitcnt vmcnt(0)
	ds_write_b64 v124, v[122:123]
	s_waitcnt lgkmcnt(0)
	; wave barrier
	s_waitcnt lgkmcnt(0)
	s_and_saveexec_b64 s[8:9], vcc
	s_cbranch_execz .LBB59_610
; %bb.603:
	s_and_b64 vcc, exec, s[4:5]
	s_cbranch_vccnz .LBB59_605
; %bb.604:
	buffer_load_dword v122, v125, s[0:3], 0 offen
	buffer_load_dword v123, v125, s[0:3], 0 offen offset:4
	ds_read_b64 v[126:127], v124
	s_waitcnt vmcnt(0) lgkmcnt(0)
	v_mul_f64 v[122:123], v[122:123], v[126:127]
	s_cbranch_execz .LBB59_606
	s_branch .LBB59_607
.LBB59_605:
                                        ; implicit-def: $vgpr122_vgpr123
.LBB59_606:
	ds_read_b64 v[122:123], v124
.LBB59_607:
	v_cmp_ne_u32_e32 vcc, 2, v0
	s_and_saveexec_b64 s[10:11], vcc
	s_cbranch_execz .LBB59_609
; %bb.608:
	buffer_load_dword v127, v125, s[0:3], 0 offen offset:12
	buffer_load_dword v128, off, s[0:3], 0 offset:16
	buffer_load_dword v126, v125, s[0:3], 0 offen offset:8
	buffer_load_dword v129, off, s[0:3], 0 offset:20
	v_mov_b32_e32 v132, 0
	ds_read_b64 v[130:131], v124 offset:8
	ds_read_b64 v[132:133], v132 offset:496
	s_waitcnt vmcnt(1) lgkmcnt(1)
	v_fmac_f64_e32 v[122:123], v[126:127], v[130:131]
	s_waitcnt vmcnt(0) lgkmcnt(0)
	v_fma_f64 v[126:127], v[128:129], v[132:133], v[122:123]
	v_cndmask_b32_e64 v123, v123, v127, s[6:7]
	v_cndmask_b32_e64 v122, v122, v126, s[6:7]
.LBB59_609:
	s_or_b64 exec, exec, s[10:11]
	v_mov_b32_e32 v126, 0
	ds_read_b64 v[126:127], v126 offset:24
	s_waitcnt lgkmcnt(0)
	v_mul_f64 v[122:123], v[122:123], v[126:127]
	buffer_store_dword v123, off, s[0:3], 0 offset:28
	buffer_store_dword v122, off, s[0:3], 0 offset:24
.LBB59_610:
	s_or_b64 exec, exec, s[8:9]
	buffer_load_dword v122, off, s[0:3], 0 offset:32
	buffer_load_dword v123, off, s[0:3], 0 offset:36
	v_cmp_gt_u32_e32 vcc, 4, v0
	s_waitcnt vmcnt(0)
	ds_write_b64 v124, v[122:123]
	s_waitcnt lgkmcnt(0)
	; wave barrier
	s_waitcnt lgkmcnt(0)
	s_and_saveexec_b64 s[6:7], vcc
	s_cbranch_execz .LBB59_620
; %bb.611:
	s_and_b64 vcc, exec, s[4:5]
	s_cbranch_vccnz .LBB59_613
; %bb.612:
	buffer_load_dword v122, v125, s[0:3], 0 offen
	buffer_load_dword v123, v125, s[0:3], 0 offen offset:4
	ds_read_b64 v[126:127], v124
	s_waitcnt vmcnt(0) lgkmcnt(0)
	v_mul_f64 v[122:123], v[122:123], v[126:127]
	s_cbranch_execz .LBB59_614
	s_branch .LBB59_615
.LBB59_613:
                                        ; implicit-def: $vgpr122_vgpr123
.LBB59_614:
	ds_read_b64 v[122:123], v124
.LBB59_615:
	v_cmp_ne_u32_e32 vcc, 3, v0
	s_and_saveexec_b64 s[8:9], vcc
	s_cbranch_execz .LBB59_619
; %bb.616:
	v_mov_b32_e32 v127, 0
	v_add_u32_e32 v126, 0x1e8, v1
	v_add3_u32 v127, v1, v127, 8
	s_mov_b64 s[10:11], 0
	v_mov_b32_e32 v128, v0
.LBB59_617:                             ; =>This Inner Loop Header: Depth=1
	buffer_load_dword v130, v127, s[0:3], 0 offen
	buffer_load_dword v131, v127, s[0:3], 0 offen offset:4
	ds_read_b64 v[132:133], v126
	v_add_u32_e32 v128, 1, v128
	v_cmp_lt_u32_e32 vcc, 2, v128
	v_add_u32_e32 v126, 8, v126
	v_add_u32_e32 v127, 8, v127
	s_or_b64 s[10:11], vcc, s[10:11]
	s_waitcnt vmcnt(0) lgkmcnt(0)
	v_fmac_f64_e32 v[122:123], v[130:131], v[132:133]
	s_andn2_b64 exec, exec, s[10:11]
	s_cbranch_execnz .LBB59_617
; %bb.618:
	s_or_b64 exec, exec, s[10:11]
.LBB59_619:
	s_or_b64 exec, exec, s[8:9]
	v_mov_b32_e32 v126, 0
	ds_read_b64 v[126:127], v126 offset:32
	s_waitcnt lgkmcnt(0)
	v_mul_f64 v[122:123], v[122:123], v[126:127]
	buffer_store_dword v123, off, s[0:3], 0 offset:36
	buffer_store_dword v122, off, s[0:3], 0 offset:32
.LBB59_620:
	s_or_b64 exec, exec, s[6:7]
	buffer_load_dword v122, off, s[0:3], 0 offset:40
	buffer_load_dword v123, off, s[0:3], 0 offset:44
	v_cmp_gt_u32_e32 vcc, 5, v0
	s_waitcnt vmcnt(0)
	ds_write_b64 v124, v[122:123]
	s_waitcnt lgkmcnt(0)
	; wave barrier
	s_waitcnt lgkmcnt(0)
	s_and_saveexec_b64 s[6:7], vcc
	s_cbranch_execz .LBB59_630
; %bb.621:
	s_and_b64 vcc, exec, s[4:5]
	s_cbranch_vccnz .LBB59_623
; %bb.622:
	buffer_load_dword v122, v125, s[0:3], 0 offen
	buffer_load_dword v123, v125, s[0:3], 0 offen offset:4
	ds_read_b64 v[126:127], v124
	s_waitcnt vmcnt(0) lgkmcnt(0)
	v_mul_f64 v[122:123], v[122:123], v[126:127]
	s_cbranch_execz .LBB59_624
	s_branch .LBB59_625
.LBB59_623:
                                        ; implicit-def: $vgpr122_vgpr123
.LBB59_624:
	ds_read_b64 v[122:123], v124
.LBB59_625:
	v_cmp_ne_u32_e32 vcc, 4, v0
	s_and_saveexec_b64 s[8:9], vcc
	s_cbranch_execz .LBB59_629
; %bb.626:
	v_mov_b32_e32 v127, 0
	v_add_u32_e32 v126, 0x1e8, v1
	v_add3_u32 v127, v1, v127, 8
	s_mov_b64 s[10:11], 0
	v_mov_b32_e32 v128, v0
.LBB59_627:                             ; =>This Inner Loop Header: Depth=1
	buffer_load_dword v130, v127, s[0:3], 0 offen
	buffer_load_dword v131, v127, s[0:3], 0 offen offset:4
	ds_read_b64 v[132:133], v126
	v_add_u32_e32 v128, 1, v128
	v_cmp_lt_u32_e32 vcc, 3, v128
	v_add_u32_e32 v126, 8, v126
	v_add_u32_e32 v127, 8, v127
	s_or_b64 s[10:11], vcc, s[10:11]
	s_waitcnt vmcnt(0) lgkmcnt(0)
	v_fmac_f64_e32 v[122:123], v[130:131], v[132:133]
	s_andn2_b64 exec, exec, s[10:11]
	s_cbranch_execnz .LBB59_627
; %bb.628:
	s_or_b64 exec, exec, s[10:11]
.LBB59_629:
	s_or_b64 exec, exec, s[8:9]
	v_mov_b32_e32 v126, 0
	ds_read_b64 v[126:127], v126 offset:40
	s_waitcnt lgkmcnt(0)
	v_mul_f64 v[122:123], v[122:123], v[126:127]
	buffer_store_dword v123, off, s[0:3], 0 offset:44
	buffer_store_dword v122, off, s[0:3], 0 offset:40
.LBB59_630:
	;; [unrolled: 60-line block ×39, first 2 shown]
	s_or_b64 exec, exec, s[6:7]
	buffer_load_dword v122, off, s[0:3], 0 offset:344
	buffer_load_dword v123, off, s[0:3], 0 offset:348
	v_cmp_gt_u32_e32 vcc, 43, v0
	s_waitcnt vmcnt(0)
	ds_write_b64 v124, v[122:123]
	s_waitcnt lgkmcnt(0)
	; wave barrier
	s_waitcnt lgkmcnt(0)
	s_and_saveexec_b64 s[6:7], vcc
	s_cbranch_execz .LBB59_1010
; %bb.1001:
	s_and_b64 vcc, exec, s[4:5]
	s_cbranch_vccnz .LBB59_1003
; %bb.1002:
	buffer_load_dword v122, v125, s[0:3], 0 offen
	buffer_load_dword v123, v125, s[0:3], 0 offen offset:4
	ds_read_b64 v[126:127], v124
	s_waitcnt vmcnt(0) lgkmcnt(0)
	v_mul_f64 v[122:123], v[122:123], v[126:127]
	s_cbranch_execz .LBB59_1004
	s_branch .LBB59_1005
.LBB59_1003:
                                        ; implicit-def: $vgpr122_vgpr123
.LBB59_1004:
	ds_read_b64 v[122:123], v124
.LBB59_1005:
	v_cmp_ne_u32_e32 vcc, 42, v0
	s_and_saveexec_b64 s[8:9], vcc
	s_cbranch_execz .LBB59_1009
; %bb.1006:
	v_mov_b32_e32 v127, 0
	v_add_u32_e32 v126, 0x1e8, v1
	v_add3_u32 v127, v1, v127, 8
	s_mov_b64 s[10:11], 0
	v_mov_b32_e32 v128, v0
.LBB59_1007:                            ; =>This Inner Loop Header: Depth=1
	buffer_load_dword v130, v127, s[0:3], 0 offen
	buffer_load_dword v131, v127, s[0:3], 0 offen offset:4
	ds_read_b64 v[132:133], v126
	v_add_u32_e32 v128, 1, v128
	v_cmp_lt_u32_e32 vcc, 41, v128
	v_add_u32_e32 v126, 8, v126
	v_add_u32_e32 v127, 8, v127
	s_or_b64 s[10:11], vcc, s[10:11]
	s_waitcnt vmcnt(0) lgkmcnt(0)
	v_fmac_f64_e32 v[122:123], v[130:131], v[132:133]
	s_andn2_b64 exec, exec, s[10:11]
	s_cbranch_execnz .LBB59_1007
; %bb.1008:
	s_or_b64 exec, exec, s[10:11]
.LBB59_1009:
	s_or_b64 exec, exec, s[8:9]
	v_mov_b32_e32 v126, 0
	ds_read_b64 v[126:127], v126 offset:344
	s_waitcnt lgkmcnt(0)
	v_mul_f64 v[122:123], v[122:123], v[126:127]
	buffer_store_dword v123, off, s[0:3], 0 offset:348
	buffer_store_dword v122, off, s[0:3], 0 offset:344
.LBB59_1010:
	s_or_b64 exec, exec, s[6:7]
	buffer_load_dword v122, off, s[0:3], 0 offset:352
	buffer_load_dword v123, off, s[0:3], 0 offset:356
	v_cmp_gt_u32_e32 vcc, 44, v0
	s_waitcnt vmcnt(0)
	ds_write_b64 v124, v[122:123]
	s_waitcnt lgkmcnt(0)
	; wave barrier
	s_waitcnt lgkmcnt(0)
	s_and_saveexec_b64 s[6:7], vcc
	s_cbranch_execz .LBB59_1020
; %bb.1011:
	s_and_b64 vcc, exec, s[4:5]
	s_cbranch_vccnz .LBB59_1013
; %bb.1012:
	buffer_load_dword v122, v125, s[0:3], 0 offen
	buffer_load_dword v123, v125, s[0:3], 0 offen offset:4
	ds_read_b64 v[126:127], v124
	s_waitcnt vmcnt(0) lgkmcnt(0)
	v_mul_f64 v[122:123], v[122:123], v[126:127]
	s_cbranch_execz .LBB59_1014
	s_branch .LBB59_1015
.LBB59_1013:
                                        ; implicit-def: $vgpr122_vgpr123
.LBB59_1014:
	ds_read_b64 v[122:123], v124
.LBB59_1015:
	v_cmp_ne_u32_e32 vcc, 43, v0
	s_and_saveexec_b64 s[8:9], vcc
	s_cbranch_execz .LBB59_1019
; %bb.1016:
	v_mov_b32_e32 v127, 0
	v_add_u32_e32 v126, 0x1e8, v1
	v_add3_u32 v127, v1, v127, 8
	s_mov_b64 s[10:11], 0
	v_mov_b32_e32 v128, v0
.LBB59_1017:                            ; =>This Inner Loop Header: Depth=1
	buffer_load_dword v130, v127, s[0:3], 0 offen
	buffer_load_dword v131, v127, s[0:3], 0 offen offset:4
	ds_read_b64 v[132:133], v126
	v_add_u32_e32 v128, 1, v128
	v_cmp_lt_u32_e32 vcc, 42, v128
	v_add_u32_e32 v126, 8, v126
	v_add_u32_e32 v127, 8, v127
	s_or_b64 s[10:11], vcc, s[10:11]
	s_waitcnt vmcnt(0) lgkmcnt(0)
	v_fmac_f64_e32 v[122:123], v[130:131], v[132:133]
	s_andn2_b64 exec, exec, s[10:11]
	s_cbranch_execnz .LBB59_1017
; %bb.1018:
	s_or_b64 exec, exec, s[10:11]
.LBB59_1019:
	s_or_b64 exec, exec, s[8:9]
	v_mov_b32_e32 v126, 0
	ds_read_b64 v[126:127], v126 offset:352
	s_waitcnt lgkmcnt(0)
	v_mul_f64 v[122:123], v[122:123], v[126:127]
	buffer_store_dword v123, off, s[0:3], 0 offset:356
	buffer_store_dword v122, off, s[0:3], 0 offset:352
.LBB59_1020:
	;; [unrolled: 60-line block ×15, first 2 shown]
	s_or_b64 exec, exec, s[6:7]
	buffer_load_dword v122, off, s[0:3], 0 offset:464
	buffer_load_dword v123, off, s[0:3], 0 offset:468
	v_cmp_gt_u32_e64 s[6:7], 58, v0
	s_waitcnt vmcnt(0)
	ds_write_b64 v124, v[122:123]
	s_waitcnt lgkmcnt(0)
	; wave barrier
	s_waitcnt lgkmcnt(0)
	s_and_saveexec_b64 s[8:9], s[6:7]
	s_cbranch_execz .LBB59_1160
; %bb.1151:
	s_and_b64 vcc, exec, s[4:5]
	s_cbranch_vccnz .LBB59_1153
; %bb.1152:
	buffer_load_dword v122, v125, s[0:3], 0 offen
	buffer_load_dword v123, v125, s[0:3], 0 offen offset:4
	ds_read_b64 v[126:127], v124
	s_waitcnt vmcnt(0) lgkmcnt(0)
	v_mul_f64 v[122:123], v[122:123], v[126:127]
	s_cbranch_execz .LBB59_1154
	s_branch .LBB59_1155
.LBB59_1153:
                                        ; implicit-def: $vgpr122_vgpr123
.LBB59_1154:
	ds_read_b64 v[122:123], v124
.LBB59_1155:
	v_cmp_ne_u32_e32 vcc, 57, v0
	s_and_saveexec_b64 s[10:11], vcc
	s_cbranch_execz .LBB59_1159
; %bb.1156:
	v_mov_b32_e32 v127, 0
	v_add_u32_e32 v126, 0x1e8, v1
	v_add3_u32 v127, v1, v127, 8
	s_mov_b64 s[12:13], 0
	v_mov_b32_e32 v128, v0
.LBB59_1157:                            ; =>This Inner Loop Header: Depth=1
	buffer_load_dword v130, v127, s[0:3], 0 offen
	buffer_load_dword v131, v127, s[0:3], 0 offen offset:4
	ds_read_b64 v[132:133], v126
	v_add_u32_e32 v128, 1, v128
	v_cmp_lt_u32_e32 vcc, 56, v128
	v_add_u32_e32 v126, 8, v126
	v_add_u32_e32 v127, 8, v127
	s_or_b64 s[12:13], vcc, s[12:13]
	s_waitcnt vmcnt(0) lgkmcnt(0)
	v_fmac_f64_e32 v[122:123], v[130:131], v[132:133]
	s_andn2_b64 exec, exec, s[12:13]
	s_cbranch_execnz .LBB59_1157
; %bb.1158:
	s_or_b64 exec, exec, s[12:13]
.LBB59_1159:
	s_or_b64 exec, exec, s[10:11]
	v_mov_b32_e32 v126, 0
	ds_read_b64 v[126:127], v126 offset:464
	s_waitcnt lgkmcnt(0)
	v_mul_f64 v[122:123], v[122:123], v[126:127]
	buffer_store_dword v123, off, s[0:3], 0 offset:468
	buffer_store_dword v122, off, s[0:3], 0 offset:464
.LBB59_1160:
	s_or_b64 exec, exec, s[8:9]
	buffer_load_dword v122, off, s[0:3], 0 offset:472
	buffer_load_dword v123, off, s[0:3], 0 offset:476
	v_cmp_ne_u32_e32 vcc, 59, v0
	s_waitcnt vmcnt(0)
	ds_write_b64 v124, v[122:123]
	s_waitcnt lgkmcnt(0)
	; wave barrier
	s_waitcnt lgkmcnt(0)
	s_and_saveexec_b64 s[8:9], vcc
	s_cbranch_execz .LBB59_1170
; %bb.1161:
	s_and_b64 vcc, exec, s[4:5]
	s_cbranch_vccnz .LBB59_1163
; %bb.1162:
	buffer_load_dword v122, v125, s[0:3], 0 offen
	buffer_load_dword v123, v125, s[0:3], 0 offen offset:4
	ds_read_b64 v[126:127], v124
	s_waitcnt vmcnt(0) lgkmcnt(0)
	v_mul_f64 v[122:123], v[122:123], v[126:127]
	s_cbranch_execz .LBB59_1164
	s_branch .LBB59_1165
.LBB59_1163:
                                        ; implicit-def: $vgpr122_vgpr123
.LBB59_1164:
	ds_read_b64 v[122:123], v124
.LBB59_1165:
	s_and_saveexec_b64 s[4:5], s[6:7]
	s_cbranch_execz .LBB59_1169
; %bb.1166:
	v_mov_b32_e32 v125, 0
	v_add_u32_e32 v124, 0x1e8, v1
	v_add3_u32 v1, v1, v125, 8
	s_mov_b64 s[6:7], 0
.LBB59_1167:                            ; =>This Inner Loop Header: Depth=1
	buffer_load_dword v126, v1, s[0:3], 0 offen
	buffer_load_dword v127, v1, s[0:3], 0 offen offset:4
	ds_read_b64 v[128:129], v124
	v_add_u32_e32 v0, 1, v0
	v_cmp_lt_u32_e32 vcc, 57, v0
	v_add_u32_e32 v124, 8, v124
	v_add_u32_e32 v1, 8, v1
	s_or_b64 s[6:7], vcc, s[6:7]
	s_waitcnt vmcnt(0) lgkmcnt(0)
	v_fmac_f64_e32 v[122:123], v[126:127], v[128:129]
	s_andn2_b64 exec, exec, s[6:7]
	s_cbranch_execnz .LBB59_1167
; %bb.1168:
	s_or_b64 exec, exec, s[6:7]
.LBB59_1169:
	s_or_b64 exec, exec, s[4:5]
	v_mov_b32_e32 v0, 0
	ds_read_b64 v[0:1], v0 offset:472
	s_waitcnt lgkmcnt(0)
	v_mul_f64 v[0:1], v[122:123], v[0:1]
	buffer_store_dword v1, off, s[0:3], 0 offset:476
	buffer_store_dword v0, off, s[0:3], 0 offset:472
.LBB59_1170:
	s_or_b64 exec, exec, s[8:9]
.LBB59_1171:
	buffer_load_dword v0, off, s[0:3], 0
	buffer_load_dword v1, off, s[0:3], 0 offset:4
	buffer_load_dword v122, off, s[0:3], 0 offset:8
	buffer_load_dword v123, off, s[0:3], 0 offset:12
	buffer_load_dword v124, off, s[0:3], 0 offset:16
	buffer_load_dword v125, off, s[0:3], 0 offset:20
	buffer_load_dword v126, off, s[0:3], 0 offset:24
	buffer_load_dword v127, off, s[0:3], 0 offset:28
	buffer_load_dword v128, off, s[0:3], 0 offset:32
	buffer_load_dword v129, off, s[0:3], 0 offset:36
	buffer_load_dword v130, off, s[0:3], 0 offset:40
	buffer_load_dword v131, off, s[0:3], 0 offset:44
	buffer_load_dword v132, off, s[0:3], 0 offset:48
	buffer_load_dword v133, off, s[0:3], 0 offset:52
	buffer_load_dword v134, off, s[0:3], 0 offset:56
	buffer_load_dword v135, off, s[0:3], 0 offset:60
	buffer_load_dword v136, off, s[0:3], 0 offset:72
	buffer_load_dword v137, off, s[0:3], 0 offset:76
	buffer_load_dword v138, off, s[0:3], 0 offset:80
	buffer_load_dword v139, off, s[0:3], 0 offset:84
	buffer_load_dword v140, off, s[0:3], 0 offset:88
	buffer_load_dword v141, off, s[0:3], 0 offset:92
	buffer_load_dword v143, off, s[0:3], 0 offset:68
	buffer_load_dword v142, off, s[0:3], 0 offset:64
	buffer_load_dword v144, off, s[0:3], 0 offset:96
	buffer_load_dword v145, off, s[0:3], 0 offset:100
	buffer_load_dword v146, off, s[0:3], 0 offset:104
	buffer_load_dword v147, off, s[0:3], 0 offset:108
	buffer_load_dword v148, off, s[0:3], 0 offset:112
	buffer_load_dword v149, off, s[0:3], 0 offset:116
	buffer_load_dword v150, off, s[0:3], 0 offset:120
	buffer_load_dword v151, off, s[0:3], 0 offset:124
	buffer_load_dword v152, off, s[0:3], 0 offset:128
	buffer_load_dword v153, off, s[0:3], 0 offset:132
	buffer_load_dword v154, off, s[0:3], 0 offset:136
	buffer_load_dword v155, off, s[0:3], 0 offset:140
	buffer_load_dword v156, off, s[0:3], 0 offset:144
	buffer_load_dword v157, off, s[0:3], 0 offset:148
	buffer_load_dword v158, off, s[0:3], 0 offset:152
	buffer_load_dword v159, off, s[0:3], 0 offset:156
	buffer_load_dword v160, off, s[0:3], 0 offset:160
	buffer_load_dword v161, off, s[0:3], 0 offset:164
	buffer_load_dword v162, off, s[0:3], 0 offset:168
	buffer_load_dword v163, off, s[0:3], 0 offset:172
	buffer_load_dword v164, off, s[0:3], 0 offset:176
	buffer_load_dword v165, off, s[0:3], 0 offset:180
	buffer_load_dword v166, off, s[0:3], 0 offset:184
	buffer_load_dword v167, off, s[0:3], 0 offset:188
	buffer_load_dword v168, off, s[0:3], 0 offset:192
	buffer_load_dword v169, off, s[0:3], 0 offset:196
	buffer_load_dword v170, off, s[0:3], 0 offset:200
	buffer_load_dword v171, off, s[0:3], 0 offset:204
	buffer_load_dword v172, off, s[0:3], 0 offset:208
	buffer_load_dword v173, off, s[0:3], 0 offset:212
	buffer_load_dword v174, off, s[0:3], 0 offset:216
	buffer_load_dword v175, off, s[0:3], 0 offset:220
	buffer_load_dword v176, off, s[0:3], 0 offset:224
	buffer_load_dword v177, off, s[0:3], 0 offset:228
	buffer_load_dword v178, off, s[0:3], 0 offset:232
	buffer_load_dword v179, off, s[0:3], 0 offset:236
	buffer_load_dword v180, off, s[0:3], 0 offset:240
	buffer_load_dword v181, off, s[0:3], 0 offset:244
	buffer_load_dword v182, off, s[0:3], 0 offset:248
	buffer_load_dword v183, off, s[0:3], 0 offset:252
	buffer_load_dword v184, off, s[0:3], 0 offset:256
	buffer_load_dword v185, off, s[0:3], 0 offset:260
	buffer_load_dword v186, off, s[0:3], 0 offset:264
	buffer_load_dword v187, off, s[0:3], 0 offset:268
	buffer_load_dword v188, off, s[0:3], 0 offset:272
	buffer_load_dword v189, off, s[0:3], 0 offset:276
	buffer_load_dword v190, off, s[0:3], 0 offset:280
	buffer_load_dword v191, off, s[0:3], 0 offset:284
	buffer_load_dword v192, off, s[0:3], 0 offset:288
	buffer_load_dword v193, off, s[0:3], 0 offset:292
	buffer_load_dword v194, off, s[0:3], 0 offset:296
	buffer_load_dword v195, off, s[0:3], 0 offset:300
	buffer_load_dword v196, off, s[0:3], 0 offset:304
	buffer_load_dword v197, off, s[0:3], 0 offset:308
	buffer_load_dword v198, off, s[0:3], 0 offset:312
	buffer_load_dword v199, off, s[0:3], 0 offset:316
	buffer_load_dword v200, off, s[0:3], 0 offset:320
	buffer_load_dword v201, off, s[0:3], 0 offset:324
	buffer_load_dword v202, off, s[0:3], 0 offset:328
	buffer_load_dword v203, off, s[0:3], 0 offset:332
	buffer_load_dword v204, off, s[0:3], 0 offset:336
	buffer_load_dword v205, off, s[0:3], 0 offset:340
	buffer_load_dword v206, off, s[0:3], 0 offset:344
	buffer_load_dword v207, off, s[0:3], 0 offset:348
	buffer_load_dword v208, off, s[0:3], 0 offset:352
	buffer_load_dword v209, off, s[0:3], 0 offset:356
	buffer_load_dword v210, off, s[0:3], 0 offset:360
	buffer_load_dword v211, off, s[0:3], 0 offset:364
	buffer_load_dword v212, off, s[0:3], 0 offset:368
	buffer_load_dword v213, off, s[0:3], 0 offset:372
	buffer_load_dword v214, off, s[0:3], 0 offset:376
	buffer_load_dword v215, off, s[0:3], 0 offset:380
	buffer_load_dword v216, off, s[0:3], 0 offset:384
	buffer_load_dword v217, off, s[0:3], 0 offset:388
	buffer_load_dword v218, off, s[0:3], 0 offset:392
	buffer_load_dword v219, off, s[0:3], 0 offset:396
	buffer_load_dword v220, off, s[0:3], 0 offset:400
	buffer_load_dword v221, off, s[0:3], 0 offset:404
	buffer_load_dword v222, off, s[0:3], 0 offset:408
	buffer_load_dword v223, off, s[0:3], 0 offset:412
	buffer_load_dword v224, off, s[0:3], 0 offset:416
	buffer_load_dword v225, off, s[0:3], 0 offset:420
	buffer_load_dword v226, off, s[0:3], 0 offset:424
	buffer_load_dword v227, off, s[0:3], 0 offset:428
	buffer_load_dword v228, off, s[0:3], 0 offset:432
	buffer_load_dword v229, off, s[0:3], 0 offset:436
	buffer_load_dword v230, off, s[0:3], 0 offset:440
	buffer_load_dword v231, off, s[0:3], 0 offset:444
	buffer_load_dword v232, off, s[0:3], 0 offset:448
	buffer_load_dword v233, off, s[0:3], 0 offset:452
	buffer_load_dword v234, off, s[0:3], 0 offset:456
	buffer_load_dword v235, off, s[0:3], 0 offset:460
	buffer_load_dword v236, off, s[0:3], 0 offset:464
	buffer_load_dword v237, off, s[0:3], 0 offset:468
	buffer_load_dword v238, off, s[0:3], 0 offset:472
	buffer_load_dword v239, off, s[0:3], 0 offset:476
	s_waitcnt vmcnt(62)
	global_store_dwordx2 v[2:3], v[0:1], off
	global_store_dwordx2 v[4:5], v[122:123], off
	;; [unrolled: 1-line block ×29, first 2 shown]
	s_waitcnt vmcnt(62)
	global_store_dwordx2 v[66:67], v[178:179], off
	global_store_dwordx2 v[68:69], v[180:181], off
	;; [unrolled: 1-line block ×14, first 2 shown]
	s_waitcnt vmcnt(62)
	global_store_dwordx2 v[94:95], v[206:207], off
	global_store_dwordx2 v[96:97], v[208:209], off
	;; [unrolled: 1-line block ×7, first 2 shown]
	s_waitcnt vmcnt(62)
	global_store_dwordx2 v[108:109], v[220:221], off
	global_store_dwordx2 v[110:111], v[222:223], off
	;; [unrolled: 1-line block ×4, first 2 shown]
	s_waitcnt vmcnt(62)
	global_store_dwordx2 v[116:117], v[228:229], off
	global_store_dwordx2 v[118:119], v[230:231], off
	s_waitcnt vmcnt(62)
	global_store_dwordx2 v[120:121], v[232:233], off
	s_waitcnt vmcnt(61)
	;; [unrolled: 2-line block ×4, first 2 shown]
	global_store_dwordx2 v[40:41], v[238:239], off
.LBB59_1172:
	s_endpgm
	.section	.rodata,"a",@progbits
	.p2align	6, 0x0
	.amdhsa_kernel _ZN9rocsolver6v33100L18trti2_kernel_smallILi60EdPdEEv13rocblas_fill_17rocblas_diagonal_T1_iil
		.amdhsa_group_segment_fixed_size 960
		.amdhsa_private_segment_fixed_size 496
		.amdhsa_kernarg_size 32
		.amdhsa_user_sgpr_count 8
		.amdhsa_user_sgpr_private_segment_buffer 1
		.amdhsa_user_sgpr_dispatch_ptr 0
		.amdhsa_user_sgpr_queue_ptr 0
		.amdhsa_user_sgpr_kernarg_segment_ptr 1
		.amdhsa_user_sgpr_dispatch_id 0
		.amdhsa_user_sgpr_flat_scratch_init 1
		.amdhsa_user_sgpr_kernarg_preload_length 0
		.amdhsa_user_sgpr_kernarg_preload_offset 0
		.amdhsa_user_sgpr_private_segment_size 0
		.amdhsa_uses_dynamic_stack 0
		.amdhsa_system_sgpr_private_segment_wavefront_offset 1
		.amdhsa_system_sgpr_workgroup_id_x 1
		.amdhsa_system_sgpr_workgroup_id_y 0
		.amdhsa_system_sgpr_workgroup_id_z 0
		.amdhsa_system_sgpr_workgroup_info 0
		.amdhsa_system_vgpr_workitem_id 0
		.amdhsa_next_free_vgpr 240
		.amdhsa_next_free_sgpr 20
		.amdhsa_accum_offset 240
		.amdhsa_reserve_vcc 1
		.amdhsa_reserve_flat_scratch 0
		.amdhsa_float_round_mode_32 0
		.amdhsa_float_round_mode_16_64 0
		.amdhsa_float_denorm_mode_32 3
		.amdhsa_float_denorm_mode_16_64 3
		.amdhsa_dx10_clamp 1
		.amdhsa_ieee_mode 1
		.amdhsa_fp16_overflow 0
		.amdhsa_tg_split 0
		.amdhsa_exception_fp_ieee_invalid_op 0
		.amdhsa_exception_fp_denorm_src 0
		.amdhsa_exception_fp_ieee_div_zero 0
		.amdhsa_exception_fp_ieee_overflow 0
		.amdhsa_exception_fp_ieee_underflow 0
		.amdhsa_exception_fp_ieee_inexact 0
		.amdhsa_exception_int_div_zero 0
	.end_amdhsa_kernel
	.section	.text._ZN9rocsolver6v33100L18trti2_kernel_smallILi60EdPdEEv13rocblas_fill_17rocblas_diagonal_T1_iil,"axG",@progbits,_ZN9rocsolver6v33100L18trti2_kernel_smallILi60EdPdEEv13rocblas_fill_17rocblas_diagonal_T1_iil,comdat
.Lfunc_end59:
	.size	_ZN9rocsolver6v33100L18trti2_kernel_smallILi60EdPdEEv13rocblas_fill_17rocblas_diagonal_T1_iil, .Lfunc_end59-_ZN9rocsolver6v33100L18trti2_kernel_smallILi60EdPdEEv13rocblas_fill_17rocblas_diagonal_T1_iil
                                        ; -- End function
	.section	.AMDGPU.csdata,"",@progbits
; Kernel info:
; codeLenInByte = 35152
; NumSgprs: 24
; NumVgprs: 240
; NumAgprs: 0
; TotalNumVgprs: 240
; ScratchSize: 496
; MemoryBound: 0
; FloatMode: 240
; IeeeMode: 1
; LDSByteSize: 960 bytes/workgroup (compile time only)
; SGPRBlocks: 2
; VGPRBlocks: 29
; NumSGPRsForWavesPerEU: 24
; NumVGPRsForWavesPerEU: 240
; AccumOffset: 240
; Occupancy: 2
; WaveLimiterHint : 0
; COMPUTE_PGM_RSRC2:SCRATCH_EN: 1
; COMPUTE_PGM_RSRC2:USER_SGPR: 8
; COMPUTE_PGM_RSRC2:TRAP_HANDLER: 0
; COMPUTE_PGM_RSRC2:TGID_X_EN: 1
; COMPUTE_PGM_RSRC2:TGID_Y_EN: 0
; COMPUTE_PGM_RSRC2:TGID_Z_EN: 0
; COMPUTE_PGM_RSRC2:TIDIG_COMP_CNT: 0
; COMPUTE_PGM_RSRC3_GFX90A:ACCUM_OFFSET: 59
; COMPUTE_PGM_RSRC3_GFX90A:TG_SPLIT: 0
	.section	.text._ZN9rocsolver6v33100L18trti2_kernel_smallILi61EdPdEEv13rocblas_fill_17rocblas_diagonal_T1_iil,"axG",@progbits,_ZN9rocsolver6v33100L18trti2_kernel_smallILi61EdPdEEv13rocblas_fill_17rocblas_diagonal_T1_iil,comdat
	.globl	_ZN9rocsolver6v33100L18trti2_kernel_smallILi61EdPdEEv13rocblas_fill_17rocblas_diagonal_T1_iil ; -- Begin function _ZN9rocsolver6v33100L18trti2_kernel_smallILi61EdPdEEv13rocblas_fill_17rocblas_diagonal_T1_iil
	.p2align	8
	.type	_ZN9rocsolver6v33100L18trti2_kernel_smallILi61EdPdEEv13rocblas_fill_17rocblas_diagonal_T1_iil,@function
_ZN9rocsolver6v33100L18trti2_kernel_smallILi61EdPdEEv13rocblas_fill_17rocblas_diagonal_T1_iil: ; @_ZN9rocsolver6v33100L18trti2_kernel_smallILi61EdPdEEv13rocblas_fill_17rocblas_diagonal_T1_iil
; %bb.0:
	s_add_u32 s0, s0, s9
	s_addc_u32 s1, s1, 0
	v_cmp_gt_u32_e32 vcc, 61, v0
	s_and_saveexec_b64 s[6:7], vcc
	s_cbranch_execz .LBB60_1192
; %bb.1:
	s_load_dwordx8 s[12:19], s[4:5], 0x0
	s_ashr_i32 s6, s8, 31
	v_lshlrev_b32_e32 v1, 3, v0
	v_mov_b32_e32 v204, 0
	s_waitcnt lgkmcnt(0)
	s_mul_i32 s7, s8, s19
	s_mul_hi_u32 s9, s8, s18
	s_add_i32 s7, s9, s7
	s_mul_i32 s6, s6, s18
	s_add_i32 s7, s7, s6
	s_mul_i32 s6, s8, s18
	s_ashr_i32 s5, s16, 31
	s_lshl_b64 s[6:7], s[6:7], 3
	s_mov_b32 s4, s16
	s_add_u32 s6, s14, s6
	s_addc_u32 s7, s15, s7
	s_lshl_b64 s[4:5], s[4:5], 3
	s_add_u32 s4, s6, s4
	s_addc_u32 s5, s7, s5
	v_mov_b32_e32 v3, s5
	v_add_co_u32_e32 v2, vcc, s4, v1
	s_ashr_i32 s7, s17, 31
	s_mov_b32 s6, s17
	v_addc_co_u32_e32 v3, vcc, 0, v3, vcc
	s_lshl_b64 s[6:7], s[6:7], 3
	v_add_co_u32_e32 v4, vcc, s6, v2
	s_add_i32 s6, s17, s17
	v_add_u32_e32 v8, s6, v0
	v_mov_b32_e32 v5, s7
	v_ashrrev_i32_e32 v9, 31, v8
	v_addc_co_u32_e32 v5, vcc, v3, v5, vcc
	v_lshlrev_b64 v[6:7], 3, v[8:9]
	v_add_u32_e32 v10, s17, v8
	v_mov_b32_e32 v9, s5
	v_add_co_u32_e32 v6, vcc, s4, v6
	v_ashrrev_i32_e32 v11, 31, v10
	v_addc_co_u32_e32 v7, vcc, v9, v7, vcc
	v_lshlrev_b64 v[8:9], 3, v[10:11]
	v_add_u32_e32 v12, s17, v10
	v_mov_b32_e32 v11, s5
	v_add_co_u32_e32 v8, vcc, s4, v8
	;; [unrolled: 6-line block ×17, first 2 shown]
	v_ashrrev_i32_e32 v43, 31, v42
	v_addc_co_u32_e32 v39, vcc, v41, v39, vcc
	v_lshlrev_b64 v[40:41], 3, v[42:43]
	v_mov_b32_e32 v43, s5
	v_add_co_u32_e32 v40, vcc, s4, v40
	global_load_dwordx2 v[44:45], v1, s[4:5]
	global_load_dwordx2 v[52:53], v[4:5], off
	global_load_dwordx2 v[50:51], v[6:7], off
	;; [unrolled: 1-line block ×16, first 2 shown]
	v_addc_co_u32_e32 v41, vcc, v43, v41, vcc
	global_load_dwordx2 v[78:79], v[36:37], off
	global_load_dwordx2 v[80:81], v[38:39], off
	;; [unrolled: 1-line block ×3, first 2 shown]
	v_add_u32_e32 v84, s17, v42
	v_ashrrev_i32_e32 v85, 31, v84
	v_lshlrev_b64 v[42:43], 3, v[84:85]
	v_mov_b32_e32 v85, s5
	v_add_co_u32_e32 v42, vcc, s4, v42
	v_addc_co_u32_e32 v43, vcc, v85, v43, vcc
	global_load_dwordx2 v[124:125], v[42:43], off
	s_waitcnt vmcnt(20)
	buffer_store_dword v45, off, s[0:3], 0 offset:4
	buffer_store_dword v44, off, s[0:3], 0
	s_waitcnt vmcnt(21)
	buffer_store_dword v53, off, s[0:3], 0 offset:12
	buffer_store_dword v52, off, s[0:3], 0 offset:8
	s_waitcnt vmcnt(22)
	buffer_store_dword v51, off, s[0:3], 0 offset:20
	buffer_store_dword v50, off, s[0:3], 0 offset:16
	s_waitcnt vmcnt(23)
	buffer_store_dword v49, off, s[0:3], 0 offset:28
	buffer_store_dword v48, off, s[0:3], 0 offset:24
	s_waitcnt vmcnt(24)
	buffer_store_dword v47, off, s[0:3], 0 offset:36
	buffer_store_dword v46, off, s[0:3], 0 offset:32
	s_waitcnt vmcnt(25)
	buffer_store_dword v55, off, s[0:3], 0 offset:44
	buffer_store_dword v54, off, s[0:3], 0 offset:40
	s_waitcnt vmcnt(26)
	buffer_store_dword v57, off, s[0:3], 0 offset:52
	buffer_store_dword v56, off, s[0:3], 0 offset:48
	s_waitcnt vmcnt(27)
	buffer_store_dword v59, off, s[0:3], 0 offset:60
	buffer_store_dword v58, off, s[0:3], 0 offset:56
	s_waitcnt vmcnt(28)
	buffer_store_dword v61, off, s[0:3], 0 offset:68
	buffer_store_dword v60, off, s[0:3], 0 offset:64
	s_waitcnt vmcnt(29)
	buffer_store_dword v62, off, s[0:3], 0 offset:72
	buffer_store_dword v63, off, s[0:3], 0 offset:76
	s_waitcnt vmcnt(30)
	buffer_store_dword v64, off, s[0:3], 0 offset:80
	buffer_store_dword v65, off, s[0:3], 0 offset:84
	s_waitcnt vmcnt(31)
	buffer_store_dword v66, off, s[0:3], 0 offset:88
	buffer_store_dword v67, off, s[0:3], 0 offset:92
	s_waitcnt vmcnt(32)
	buffer_store_dword v68, off, s[0:3], 0 offset:96
	buffer_store_dword v69, off, s[0:3], 0 offset:100
	s_waitcnt vmcnt(33)
	buffer_store_dword v70, off, s[0:3], 0 offset:104
	buffer_store_dword v71, off, s[0:3], 0 offset:108
	s_waitcnt vmcnt(34)
	buffer_store_dword v73, off, s[0:3], 0 offset:116
	buffer_store_dword v72, off, s[0:3], 0 offset:112
	s_waitcnt vmcnt(35)
	buffer_store_dword v74, off, s[0:3], 0 offset:120
	buffer_store_dword v75, off, s[0:3], 0 offset:124
	s_waitcnt vmcnt(36)
	buffer_store_dword v76, off, s[0:3], 0 offset:128
	buffer_store_dword v77, off, s[0:3], 0 offset:132
	s_waitcnt vmcnt(37)
	buffer_store_dword v78, off, s[0:3], 0 offset:136
	buffer_store_dword v79, off, s[0:3], 0 offset:140
	s_waitcnt vmcnt(38)
	buffer_store_dword v80, off, s[0:3], 0 offset:144
	buffer_store_dword v81, off, s[0:3], 0 offset:148
	s_waitcnt vmcnt(39)
	buffer_store_dword v83, off, s[0:3], 0 offset:156
	buffer_store_dword v82, off, s[0:3], 0 offset:152
	s_waitcnt vmcnt(40)
	buffer_store_dword v125, off, s[0:3], 0 offset:164
	v_add_u32_e32 v46, s17, v84
	v_ashrrev_i32_e32 v47, 31, v46
	v_lshlrev_b64 v[44:45], 3, v[46:47]
	v_add_u32_e32 v48, s17, v46
	v_mov_b32_e32 v47, s5
	v_add_co_u32_e32 v44, vcc, s4, v44
	v_ashrrev_i32_e32 v49, 31, v48
	v_addc_co_u32_e32 v45, vcc, v47, v45, vcc
	v_lshlrev_b64 v[46:47], 3, v[48:49]
	v_add_u32_e32 v50, s17, v48
	v_mov_b32_e32 v49, s5
	v_add_co_u32_e32 v46, vcc, s4, v46
	v_ashrrev_i32_e32 v51, 31, v50
	v_addc_co_u32_e32 v47, vcc, v49, v47, vcc
	;; [unrolled: 6-line block ×38, first 2 shown]
	v_lshlrev_b64 v[120:121], 3, v[122:123]
	v_mov_b32_e32 v123, s5
	v_add_co_u32_e32 v120, vcc, s4, v120
	global_load_dwordx2 v[132:133], v[44:45], off
	global_load_dwordx2 v[130:131], v[46:47], off
	;; [unrolled: 1-line block ×36, first 2 shown]
	v_addc_co_u32_e32 v121, vcc, v123, v121, vcc
	global_load_dwordx2 v[202:203], v[116:117], off
	global_load_dwordx2 v[200:201], v[118:119], off
	;; [unrolled: 1-line block ×3, first 2 shown]
	v_add_u32_e32 v122, s17, v122
	v_ashrrev_i32_e32 v123, 31, v122
	v_lshlrev_b64 v[122:123], 3, v[122:123]
	v_mov_b32_e32 v125, s5
	v_add_co_u32_e32 v122, vcc, s4, v122
	v_addc_co_u32_e32 v123, vcc, v125, v123, vcc
	global_load_dwordx2 v[206:207], v[122:123], off
	s_nop 0
	buffer_store_dword v124, off, s[0:3], 0 offset:160
	s_waitcnt vmcnt(40)
	buffer_store_dword v132, off, s[0:3], 0 offset:168
	buffer_store_dword v133, off, s[0:3], 0 offset:172
	s_waitcnt vmcnt(41)
	buffer_store_dword v130, off, s[0:3], 0 offset:176
	;; [unrolled: 3-line block ×24, first 2 shown]
	buffer_store_dword v166, off, s[0:3], 0 offset:352
	buffer_store_dword v180, off, s[0:3], 0 offset:360
	;; [unrolled: 1-line block ×3, first 2 shown]
	s_waitcnt vmcnt(62)
	buffer_store_dword v178, off, s[0:3], 0 offset:368
	buffer_store_dword v179, off, s[0:3], 0 offset:372
	buffer_store_dword v176, off, s[0:3], 0 offset:376
	buffer_store_dword v177, off, s[0:3], 0 offset:380
	buffer_store_dword v174, off, s[0:3], 0 offset:384
	buffer_store_dword v175, off, s[0:3], 0 offset:388
	buffer_store_dword v189, off, s[0:3], 0 offset:396
	buffer_store_dword v188, off, s[0:3], 0 offset:392
	s_waitcnt vmcnt(62)
	buffer_store_dword v187, off, s[0:3], 0 offset:404
	buffer_store_dword v186, off, s[0:3], 0 offset:400
	;; [unrolled: 1-line block ×16, first 2 shown]
	s_waitcnt vmcnt(62)
	buffer_store_dword v200, off, s[0:3], 0 offset:464
	buffer_store_dword v201, off, s[0:3], 0 offset:468
	buffer_store_dword v198, off, s[0:3], 0 offset:472
	buffer_store_dword v199, off, s[0:3], 0 offset:476
	buffer_store_dword v206, off, s[0:3], 0 offset:480
	buffer_store_dword v207, off, s[0:3], 0 offset:484
	s_cmpk_lg_i32 s13, 0x84
	v_mov_b32_e32 v124, 0
	s_cselect_b64 s[8:9], -1, 0
	s_cmpk_eq_i32 s13, 0x84
	v_mov_b32_e32 v125, 0xbff00000
	s_cbranch_scc1 .LBB60_3
; %bb.2:
	v_lshl_add_u32 v134, v0, 3, v204
	buffer_load_dword v124, v134, s[0:3], 0 offen
	buffer_load_dword v125, v134, s[0:3], 0 offen offset:4
	s_waitcnt vmcnt(0)
	v_div_scale_f64 v[126:127], s[4:5], v[124:125], v[124:125], 1.0
	v_rcp_f64_e32 v[128:129], v[126:127]
	v_div_scale_f64 v[130:131], vcc, 1.0, v[124:125], 1.0
	v_fma_f64 v[132:133], -v[126:127], v[128:129], 1.0
	v_fmac_f64_e32 v[128:129], v[128:129], v[132:133]
	v_fma_f64 v[132:133], -v[126:127], v[128:129], 1.0
	v_fmac_f64_e32 v[128:129], v[128:129], v[132:133]
	v_mul_f64 v[132:133], v[130:131], v[128:129]
	v_fma_f64 v[126:127], -v[126:127], v[132:133], v[130:131]
	v_div_fmas_f64 v[126:127], v[126:127], v[128:129], v[132:133]
	v_div_fixup_f64 v[124:125], v[126:127], v[124:125], 1.0
	buffer_store_dword v124, v134, s[0:3], 0 offen
	buffer_store_dword v125, v134, s[0:3], 0 offen offset:4
	v_xor_b32_e32 v125, 0x80000000, v125
.LBB60_3:
	s_cmpk_eq_i32 s12, 0x79
	v_add_u32_e32 v126, 0x1f0, v1
	v_add_u32_e32 v127, 0, v1
	s_mov_b64 s[4:5], -1
	ds_write_b64 v1, v[124:125]
	s_cbranch_scc1 .LBB60_597
; %bb.4:
	buffer_load_dword v124, off, s[0:3], 0 offset:472
	buffer_load_dword v125, off, s[0:3], 0 offset:476
	v_cmp_eq_u32_e64 s[4:5], 60, v0
	s_waitcnt vmcnt(0)
	ds_write_b64 v126, v[124:125]
	s_waitcnt lgkmcnt(0)
	; wave barrier
	s_waitcnt lgkmcnt(0)
	s_and_saveexec_b64 s[6:7], s[4:5]
	s_cbranch_execz .LBB60_10
; %bb.5:
	s_and_b64 vcc, exec, s[8:9]
	s_cbranch_vccz .LBB60_7
; %bb.6:
	buffer_load_dword v124, v127, s[0:3], 0 offen
	buffer_load_dword v125, v127, s[0:3], 0 offen offset:4
	ds_read_b64 v[128:129], v126
	s_waitcnt vmcnt(0) lgkmcnt(0)
	v_mul_f64 v[124:125], v[124:125], v[128:129]
	s_cbranch_execz .LBB60_8
	s_branch .LBB60_9
.LBB60_7:
                                        ; implicit-def: $vgpr124_vgpr125
.LBB60_8:
	ds_read_b64 v[124:125], v126
.LBB60_9:
	v_mov_b32_e32 v128, 0
	ds_read_b64 v[128:129], v128 offset:472
	s_waitcnt lgkmcnt(0)
	v_mul_f64 v[124:125], v[124:125], v[128:129]
	buffer_store_dword v125, off, s[0:3], 0 offset:476
	buffer_store_dword v124, off, s[0:3], 0 offset:472
.LBB60_10:
	s_or_b64 exec, exec, s[6:7]
	buffer_load_dword v124, off, s[0:3], 0 offset:464
	buffer_load_dword v125, off, s[0:3], 0 offset:468
	v_or_b32_e32 v128, 8, v204
	v_add_u32_e32 v129, 16, v204
	v_add_u32_e32 v130, 24, v204
	;; [unrolled: 1-line block ×57, first 2 shown]
	v_cmp_lt_u32_e64 s[6:7], 58, v0
	s_waitcnt vmcnt(0)
	ds_write_b64 v126, v[124:125]
	s_waitcnt lgkmcnt(0)
	; wave barrier
	s_waitcnt lgkmcnt(0)
	s_and_saveexec_b64 s[10:11], s[6:7]
	s_cbranch_execz .LBB60_16
; %bb.11:
	s_andn2_b64 vcc, exec, s[8:9]
	s_cbranch_vccnz .LBB60_13
; %bb.12:
	buffer_load_dword v124, v127, s[0:3], 0 offen
	buffer_load_dword v125, v127, s[0:3], 0 offen offset:4
	ds_read_b64 v[186:187], v126
	s_waitcnt vmcnt(0) lgkmcnt(0)
	v_mul_f64 v[124:125], v[124:125], v[186:187]
	s_cbranch_execz .LBB60_14
	s_branch .LBB60_15
.LBB60_13:
                                        ; implicit-def: $vgpr124_vgpr125
.LBB60_14:
	ds_read_b64 v[124:125], v126
.LBB60_15:
	buffer_load_dword v190, off, s[0:3], 0 offset:472
	buffer_load_dword v191, off, s[0:3], 0 offset:476
	v_mov_b32_e32 v186, 0
	ds_read2_b64 v[186:189], v186 offset0:58 offset1:121
	s_waitcnt vmcnt(0) lgkmcnt(0)
	v_fma_f64 v[188:189], v[190:191], v[188:189], v[124:125]
	v_cndmask_b32_e64 v125, v125, v189, s[4:5]
	v_cndmask_b32_e64 v124, v124, v188, s[4:5]
	v_mul_f64 v[124:125], v[124:125], v[186:187]
	buffer_store_dword v125, off, s[0:3], 0 offset:468
	buffer_store_dword v124, off, s[0:3], 0 offset:464
.LBB60_16:
	s_or_b64 exec, exec, s[10:11]
	buffer_load_dword v124, off, s[0:3], 0 offset:456
	buffer_load_dword v125, off, s[0:3], 0 offset:460
	v_cmp_lt_u32_e64 s[4:5], 57, v0
	s_waitcnt vmcnt(0)
	ds_write_b64 v126, v[124:125]
	s_waitcnt lgkmcnt(0)
	; wave barrier
	s_waitcnt lgkmcnt(0)
	s_and_saveexec_b64 s[10:11], s[4:5]
	s_cbranch_execz .LBB60_26
; %bb.17:
	s_andn2_b64 vcc, exec, s[8:9]
	s_cbranch_vccnz .LBB60_19
; %bb.18:
	buffer_load_dword v124, v127, s[0:3], 0 offen
	buffer_load_dword v125, v127, s[0:3], 0 offen offset:4
	ds_read_b64 v[186:187], v126
	s_waitcnt vmcnt(0) lgkmcnt(0)
	v_mul_f64 v[124:125], v[124:125], v[186:187]
	s_cbranch_execz .LBB60_20
	s_branch .LBB60_21
.LBB60_19:
                                        ; implicit-def: $vgpr124_vgpr125
.LBB60_20:
	ds_read_b64 v[124:125], v126
.LBB60_21:
	s_and_saveexec_b64 s[12:13], s[6:7]
	s_cbranch_execz .LBB60_25
; %bb.22:
	v_subrev_u32_e32 v186, 58, v0
	s_movk_i32 s14, 0x3c0
	s_mov_b64 s[6:7], 0
.LBB60_23:                              ; =>This Inner Loop Header: Depth=1
	buffer_load_dword v188, v185, s[0:3], 0 offen
	buffer_load_dword v189, v185, s[0:3], 0 offen offset:4
	v_mov_b32_e32 v187, s14
	ds_read_b64 v[190:191], v187
	v_add_u32_e32 v186, -1, v186
	s_add_i32 s14, s14, 8
	v_cmp_eq_u32_e32 vcc, 0, v186
	v_add_u32_e32 v185, 8, v185
	s_or_b64 s[6:7], vcc, s[6:7]
	s_waitcnt vmcnt(0) lgkmcnt(0)
	v_fmac_f64_e32 v[124:125], v[188:189], v[190:191]
	s_andn2_b64 exec, exec, s[6:7]
	s_cbranch_execnz .LBB60_23
; %bb.24:
	s_or_b64 exec, exec, s[6:7]
.LBB60_25:
	s_or_b64 exec, exec, s[12:13]
	v_mov_b32_e32 v185, 0
	ds_read_b64 v[186:187], v185 offset:456
	s_waitcnt lgkmcnt(0)
	v_mul_f64 v[124:125], v[124:125], v[186:187]
	buffer_store_dword v125, off, s[0:3], 0 offset:460
	buffer_store_dword v124, off, s[0:3], 0 offset:456
.LBB60_26:
	s_or_b64 exec, exec, s[10:11]
	buffer_load_dword v124, off, s[0:3], 0 offset:448
	buffer_load_dword v125, off, s[0:3], 0 offset:452
	v_cmp_lt_u32_e64 s[6:7], 56, v0
	s_waitcnt vmcnt(0)
	ds_write_b64 v126, v[124:125]
	s_waitcnt lgkmcnt(0)
	; wave barrier
	s_waitcnt lgkmcnt(0)
	s_and_saveexec_b64 s[10:11], s[6:7]
	s_cbranch_execz .LBB60_36
; %bb.27:
	s_andn2_b64 vcc, exec, s[8:9]
	s_cbranch_vccnz .LBB60_29
; %bb.28:
	buffer_load_dword v124, v127, s[0:3], 0 offen
	buffer_load_dword v125, v127, s[0:3], 0 offen offset:4
	ds_read_b64 v[186:187], v126
	s_waitcnt vmcnt(0) lgkmcnt(0)
	v_mul_f64 v[124:125], v[124:125], v[186:187]
	s_cbranch_execz .LBB60_30
	s_branch .LBB60_31
.LBB60_29:
                                        ; implicit-def: $vgpr124_vgpr125
.LBB60_30:
	ds_read_b64 v[124:125], v126
.LBB60_31:
	s_and_saveexec_b64 s[12:13], s[4:5]
	s_cbranch_execz .LBB60_35
; %bb.32:
	v_subrev_u32_e32 v185, 57, v0
	s_movk_i32 s14, 0x3b8
	s_mov_b64 s[4:5], 0
.LBB60_33:                              ; =>This Inner Loop Header: Depth=1
	buffer_load_dword v186, v184, s[0:3], 0 offen
	buffer_load_dword v187, v184, s[0:3], 0 offen offset:4
	v_mov_b32_e32 v188, s14
	ds_read_b64 v[188:189], v188
	v_add_u32_e32 v185, -1, v185
	s_add_i32 s14, s14, 8
	v_cmp_eq_u32_e32 vcc, 0, v185
	v_add_u32_e32 v184, 8, v184
	s_or_b64 s[4:5], vcc, s[4:5]
	s_waitcnt vmcnt(0) lgkmcnt(0)
	v_fmac_f64_e32 v[124:125], v[186:187], v[188:189]
	s_andn2_b64 exec, exec, s[4:5]
	s_cbranch_execnz .LBB60_33
; %bb.34:
	s_or_b64 exec, exec, s[4:5]
.LBB60_35:
	s_or_b64 exec, exec, s[12:13]
	v_mov_b32_e32 v184, 0
	ds_read_b64 v[184:185], v184 offset:448
	s_waitcnt lgkmcnt(0)
	v_mul_f64 v[124:125], v[124:125], v[184:185]
	buffer_store_dword v125, off, s[0:3], 0 offset:452
	buffer_store_dword v124, off, s[0:3], 0 offset:448
.LBB60_36:
	;; [unrolled: 58-line block ×8, first 2 shown]
	s_or_b64 exec, exec, s[10:11]
	buffer_load_dword v124, off, s[0:3], 0 offset:392
	buffer_load_dword v125, off, s[0:3], 0 offset:396
	v_cmp_lt_u32_e64 s[4:5], 49, v0
	s_waitcnt vmcnt(0)
	ds_write_b64 v126, v[124:125]
	s_waitcnt lgkmcnt(0)
	; wave barrier
	s_waitcnt lgkmcnt(0)
	s_and_saveexec_b64 s[10:11], s[4:5]
	s_cbranch_execz .LBB60_106
; %bb.97:
	s_andn2_b64 vcc, exec, s[8:9]
	s_cbranch_vccnz .LBB60_99
; %bb.98:
	buffer_load_dword v124, v127, s[0:3], 0 offen
	buffer_load_dword v125, v127, s[0:3], 0 offen offset:4
	ds_read_b64 v[178:179], v126
	s_waitcnt vmcnt(0) lgkmcnt(0)
	v_mul_f64 v[124:125], v[124:125], v[178:179]
	s_cbranch_execz .LBB60_100
	s_branch .LBB60_101
.LBB60_99:
                                        ; implicit-def: $vgpr124_vgpr125
.LBB60_100:
	ds_read_b64 v[124:125], v126
.LBB60_101:
	s_and_saveexec_b64 s[12:13], s[6:7]
	s_cbranch_execz .LBB60_105
; %bb.102:
	v_subrev_u32_e32 v178, 50, v0
	s_movk_i32 s14, 0x380
	s_mov_b64 s[6:7], 0
.LBB60_103:                             ; =>This Inner Loop Header: Depth=1
	buffer_load_dword v180, v177, s[0:3], 0 offen
	buffer_load_dword v181, v177, s[0:3], 0 offen offset:4
	v_mov_b32_e32 v179, s14
	ds_read_b64 v[182:183], v179
	v_add_u32_e32 v178, -1, v178
	s_add_i32 s14, s14, 8
	v_cmp_eq_u32_e32 vcc, 0, v178
	v_add_u32_e32 v177, 8, v177
	s_or_b64 s[6:7], vcc, s[6:7]
	s_waitcnt vmcnt(0) lgkmcnt(0)
	v_fmac_f64_e32 v[124:125], v[180:181], v[182:183]
	s_andn2_b64 exec, exec, s[6:7]
	s_cbranch_execnz .LBB60_103
; %bb.104:
	s_or_b64 exec, exec, s[6:7]
.LBB60_105:
	s_or_b64 exec, exec, s[12:13]
	v_mov_b32_e32 v177, 0
	ds_read_b64 v[178:179], v177 offset:392
	s_waitcnt lgkmcnt(0)
	v_mul_f64 v[124:125], v[124:125], v[178:179]
	buffer_store_dword v125, off, s[0:3], 0 offset:396
	buffer_store_dword v124, off, s[0:3], 0 offset:392
.LBB60_106:
	s_or_b64 exec, exec, s[10:11]
	buffer_load_dword v124, off, s[0:3], 0 offset:384
	buffer_load_dword v125, off, s[0:3], 0 offset:388
	v_cmp_lt_u32_e64 s[6:7], 48, v0
	s_waitcnt vmcnt(0)
	ds_write_b64 v126, v[124:125]
	s_waitcnt lgkmcnt(0)
	; wave barrier
	s_waitcnt lgkmcnt(0)
	s_and_saveexec_b64 s[10:11], s[6:7]
	s_cbranch_execz .LBB60_116
; %bb.107:
	s_andn2_b64 vcc, exec, s[8:9]
	s_cbranch_vccnz .LBB60_109
; %bb.108:
	buffer_load_dword v124, v127, s[0:3], 0 offen
	buffer_load_dword v125, v127, s[0:3], 0 offen offset:4
	ds_read_b64 v[178:179], v126
	s_waitcnt vmcnt(0) lgkmcnt(0)
	v_mul_f64 v[124:125], v[124:125], v[178:179]
	s_cbranch_execz .LBB60_110
	s_branch .LBB60_111
.LBB60_109:
                                        ; implicit-def: $vgpr124_vgpr125
.LBB60_110:
	ds_read_b64 v[124:125], v126
.LBB60_111:
	s_and_saveexec_b64 s[12:13], s[4:5]
	s_cbranch_execz .LBB60_115
; %bb.112:
	v_subrev_u32_e32 v177, 49, v0
	s_movk_i32 s14, 0x378
	s_mov_b64 s[4:5], 0
.LBB60_113:                             ; =>This Inner Loop Header: Depth=1
	buffer_load_dword v178, v176, s[0:3], 0 offen
	buffer_load_dword v179, v176, s[0:3], 0 offen offset:4
	v_mov_b32_e32 v180, s14
	ds_read_b64 v[180:181], v180
	v_add_u32_e32 v177, -1, v177
	s_add_i32 s14, s14, 8
	v_cmp_eq_u32_e32 vcc, 0, v177
	v_add_u32_e32 v176, 8, v176
	s_or_b64 s[4:5], vcc, s[4:5]
	s_waitcnt vmcnt(0) lgkmcnt(0)
	v_fmac_f64_e32 v[124:125], v[178:179], v[180:181]
	s_andn2_b64 exec, exec, s[4:5]
	s_cbranch_execnz .LBB60_113
; %bb.114:
	s_or_b64 exec, exec, s[4:5]
.LBB60_115:
	s_or_b64 exec, exec, s[12:13]
	v_mov_b32_e32 v176, 0
	ds_read_b64 v[176:177], v176 offset:384
	s_waitcnt lgkmcnt(0)
	v_mul_f64 v[124:125], v[124:125], v[176:177]
	buffer_store_dword v125, off, s[0:3], 0 offset:388
	buffer_store_dword v124, off, s[0:3], 0 offset:384
.LBB60_116:
	s_or_b64 exec, exec, s[10:11]
	buffer_load_dword v124, off, s[0:3], 0 offset:376
	buffer_load_dword v125, off, s[0:3], 0 offset:380
	v_cmp_lt_u32_e64 s[4:5], 47, v0
	s_waitcnt vmcnt(0)
	ds_write_b64 v126, v[124:125]
	s_waitcnt lgkmcnt(0)
	; wave barrier
	s_waitcnt lgkmcnt(0)
	s_and_saveexec_b64 s[10:11], s[4:5]
	s_cbranch_execz .LBB60_126
; %bb.117:
	s_andn2_b64 vcc, exec, s[8:9]
	s_cbranch_vccnz .LBB60_119
; %bb.118:
	buffer_load_dword v124, v127, s[0:3], 0 offen
	buffer_load_dword v125, v127, s[0:3], 0 offen offset:4
	ds_read_b64 v[176:177], v126
	s_waitcnt vmcnt(0) lgkmcnt(0)
	v_mul_f64 v[124:125], v[124:125], v[176:177]
	s_cbranch_execz .LBB60_120
	s_branch .LBB60_121
.LBB60_119:
                                        ; implicit-def: $vgpr124_vgpr125
.LBB60_120:
	ds_read_b64 v[124:125], v126
.LBB60_121:
	s_and_saveexec_b64 s[12:13], s[6:7]
	s_cbranch_execz .LBB60_125
; %bb.122:
	v_subrev_u32_e32 v176, 48, v0
	s_movk_i32 s14, 0x370
	s_mov_b64 s[6:7], 0
.LBB60_123:                             ; =>This Inner Loop Header: Depth=1
	buffer_load_dword v178, v175, s[0:3], 0 offen
	buffer_load_dword v179, v175, s[0:3], 0 offen offset:4
	v_mov_b32_e32 v177, s14
	ds_read_b64 v[180:181], v177
	v_add_u32_e32 v176, -1, v176
	s_add_i32 s14, s14, 8
	v_cmp_eq_u32_e32 vcc, 0, v176
	v_add_u32_e32 v175, 8, v175
	s_or_b64 s[6:7], vcc, s[6:7]
	s_waitcnt vmcnt(0) lgkmcnt(0)
	v_fmac_f64_e32 v[124:125], v[178:179], v[180:181]
	s_andn2_b64 exec, exec, s[6:7]
	s_cbranch_execnz .LBB60_123
; %bb.124:
	s_or_b64 exec, exec, s[6:7]
.LBB60_125:
	s_or_b64 exec, exec, s[12:13]
	v_mov_b32_e32 v175, 0
	ds_read_b64 v[176:177], v175 offset:376
	s_waitcnt lgkmcnt(0)
	v_mul_f64 v[124:125], v[124:125], v[176:177]
	buffer_store_dword v125, off, s[0:3], 0 offset:380
	buffer_store_dword v124, off, s[0:3], 0 offset:376
.LBB60_126:
	s_or_b64 exec, exec, s[10:11]
	buffer_load_dword v124, off, s[0:3], 0 offset:368
	buffer_load_dword v125, off, s[0:3], 0 offset:372
	v_cmp_lt_u32_e64 s[6:7], 46, v0
	s_waitcnt vmcnt(0)
	ds_write_b64 v126, v[124:125]
	s_waitcnt lgkmcnt(0)
	; wave barrier
	s_waitcnt lgkmcnt(0)
	s_and_saveexec_b64 s[10:11], s[6:7]
	s_cbranch_execz .LBB60_136
; %bb.127:
	s_andn2_b64 vcc, exec, s[8:9]
	s_cbranch_vccnz .LBB60_129
; %bb.128:
	buffer_load_dword v124, v127, s[0:3], 0 offen
	buffer_load_dword v125, v127, s[0:3], 0 offen offset:4
	ds_read_b64 v[176:177], v126
	s_waitcnt vmcnt(0) lgkmcnt(0)
	v_mul_f64 v[124:125], v[124:125], v[176:177]
	s_cbranch_execz .LBB60_130
	s_branch .LBB60_131
.LBB60_129:
                                        ; implicit-def: $vgpr124_vgpr125
.LBB60_130:
	ds_read_b64 v[124:125], v126
.LBB60_131:
	s_and_saveexec_b64 s[12:13], s[4:5]
	s_cbranch_execz .LBB60_135
; %bb.132:
	v_subrev_u32_e32 v175, 47, v0
	s_movk_i32 s14, 0x368
	s_mov_b64 s[4:5], 0
.LBB60_133:                             ; =>This Inner Loop Header: Depth=1
	buffer_load_dword v176, v174, s[0:3], 0 offen
	buffer_load_dword v177, v174, s[0:3], 0 offen offset:4
	v_mov_b32_e32 v178, s14
	ds_read_b64 v[178:179], v178
	v_add_u32_e32 v175, -1, v175
	s_add_i32 s14, s14, 8
	v_cmp_eq_u32_e32 vcc, 0, v175
	v_add_u32_e32 v174, 8, v174
	s_or_b64 s[4:5], vcc, s[4:5]
	s_waitcnt vmcnt(0) lgkmcnt(0)
	v_fmac_f64_e32 v[124:125], v[176:177], v[178:179]
	s_andn2_b64 exec, exec, s[4:5]
	s_cbranch_execnz .LBB60_133
; %bb.134:
	s_or_b64 exec, exec, s[4:5]
.LBB60_135:
	s_or_b64 exec, exec, s[12:13]
	v_mov_b32_e32 v174, 0
	ds_read_b64 v[174:175], v174 offset:368
	s_waitcnt lgkmcnt(0)
	v_mul_f64 v[124:125], v[124:125], v[174:175]
	buffer_store_dword v125, off, s[0:3], 0 offset:372
	buffer_store_dword v124, off, s[0:3], 0 offset:368
.LBB60_136:
	s_or_b64 exec, exec, s[10:11]
	buffer_load_dword v124, off, s[0:3], 0 offset:360
	buffer_load_dword v125, off, s[0:3], 0 offset:364
	v_cmp_lt_u32_e64 s[4:5], 45, v0
	s_waitcnt vmcnt(0)
	ds_write_b64 v126, v[124:125]
	s_waitcnt lgkmcnt(0)
	; wave barrier
	s_waitcnt lgkmcnt(0)
	s_and_saveexec_b64 s[10:11], s[4:5]
	s_cbranch_execz .LBB60_146
; %bb.137:
	s_andn2_b64 vcc, exec, s[8:9]
	s_cbranch_vccnz .LBB60_139
; %bb.138:
	buffer_load_dword v124, v127, s[0:3], 0 offen
	buffer_load_dword v125, v127, s[0:3], 0 offen offset:4
	ds_read_b64 v[174:175], v126
	s_waitcnt vmcnt(0) lgkmcnt(0)
	v_mul_f64 v[124:125], v[124:125], v[174:175]
	s_cbranch_execz .LBB60_140
	s_branch .LBB60_141
.LBB60_139:
                                        ; implicit-def: $vgpr124_vgpr125
.LBB60_140:
	ds_read_b64 v[124:125], v126
.LBB60_141:
	s_and_saveexec_b64 s[12:13], s[6:7]
	s_cbranch_execz .LBB60_145
; %bb.142:
	v_subrev_u32_e32 v174, 46, v0
	s_movk_i32 s14, 0x360
	s_mov_b64 s[6:7], 0
.LBB60_143:                             ; =>This Inner Loop Header: Depth=1
	buffer_load_dword v176, v173, s[0:3], 0 offen
	buffer_load_dword v177, v173, s[0:3], 0 offen offset:4
	v_mov_b32_e32 v175, s14
	ds_read_b64 v[178:179], v175
	v_add_u32_e32 v174, -1, v174
	s_add_i32 s14, s14, 8
	v_cmp_eq_u32_e32 vcc, 0, v174
	v_add_u32_e32 v173, 8, v173
	s_or_b64 s[6:7], vcc, s[6:7]
	s_waitcnt vmcnt(0) lgkmcnt(0)
	v_fmac_f64_e32 v[124:125], v[176:177], v[178:179]
	s_andn2_b64 exec, exec, s[6:7]
	s_cbranch_execnz .LBB60_143
; %bb.144:
	s_or_b64 exec, exec, s[6:7]
.LBB60_145:
	s_or_b64 exec, exec, s[12:13]
	v_mov_b32_e32 v173, 0
	ds_read_b64 v[174:175], v173 offset:360
	s_waitcnt lgkmcnt(0)
	v_mul_f64 v[124:125], v[124:125], v[174:175]
	buffer_store_dword v125, off, s[0:3], 0 offset:364
	buffer_store_dword v124, off, s[0:3], 0 offset:360
.LBB60_146:
	s_or_b64 exec, exec, s[10:11]
	buffer_load_dword v124, off, s[0:3], 0 offset:352
	buffer_load_dword v125, off, s[0:3], 0 offset:356
	v_cmp_lt_u32_e64 s[6:7], 44, v0
	s_waitcnt vmcnt(0)
	ds_write_b64 v126, v[124:125]
	s_waitcnt lgkmcnt(0)
	; wave barrier
	s_waitcnt lgkmcnt(0)
	s_and_saveexec_b64 s[10:11], s[6:7]
	s_cbranch_execz .LBB60_156
; %bb.147:
	s_andn2_b64 vcc, exec, s[8:9]
	s_cbranch_vccnz .LBB60_149
; %bb.148:
	buffer_load_dword v124, v127, s[0:3], 0 offen
	buffer_load_dword v125, v127, s[0:3], 0 offen offset:4
	ds_read_b64 v[174:175], v126
	s_waitcnt vmcnt(0) lgkmcnt(0)
	v_mul_f64 v[124:125], v[124:125], v[174:175]
	s_cbranch_execz .LBB60_150
	s_branch .LBB60_151
.LBB60_149:
                                        ; implicit-def: $vgpr124_vgpr125
.LBB60_150:
	ds_read_b64 v[124:125], v126
.LBB60_151:
	s_and_saveexec_b64 s[12:13], s[4:5]
	s_cbranch_execz .LBB60_155
; %bb.152:
	v_subrev_u32_e32 v173, 45, v0
	s_movk_i32 s14, 0x358
	s_mov_b64 s[4:5], 0
.LBB60_153:                             ; =>This Inner Loop Header: Depth=1
	buffer_load_dword v174, v172, s[0:3], 0 offen
	buffer_load_dword v175, v172, s[0:3], 0 offen offset:4
	v_mov_b32_e32 v176, s14
	ds_read_b64 v[176:177], v176
	v_add_u32_e32 v173, -1, v173
	s_add_i32 s14, s14, 8
	v_cmp_eq_u32_e32 vcc, 0, v173
	v_add_u32_e32 v172, 8, v172
	s_or_b64 s[4:5], vcc, s[4:5]
	s_waitcnt vmcnt(0) lgkmcnt(0)
	v_fmac_f64_e32 v[124:125], v[174:175], v[176:177]
	s_andn2_b64 exec, exec, s[4:5]
	s_cbranch_execnz .LBB60_153
; %bb.154:
	s_or_b64 exec, exec, s[4:5]
.LBB60_155:
	s_or_b64 exec, exec, s[12:13]
	v_mov_b32_e32 v172, 0
	ds_read_b64 v[172:173], v172 offset:352
	s_waitcnt lgkmcnt(0)
	v_mul_f64 v[124:125], v[124:125], v[172:173]
	buffer_store_dword v125, off, s[0:3], 0 offset:356
	buffer_store_dword v124, off, s[0:3], 0 offset:352
.LBB60_156:
	s_or_b64 exec, exec, s[10:11]
	buffer_load_dword v124, off, s[0:3], 0 offset:344
	buffer_load_dword v125, off, s[0:3], 0 offset:348
	v_cmp_lt_u32_e64 s[4:5], 43, v0
	s_waitcnt vmcnt(0)
	ds_write_b64 v126, v[124:125]
	s_waitcnt lgkmcnt(0)
	; wave barrier
	s_waitcnt lgkmcnt(0)
	s_and_saveexec_b64 s[10:11], s[4:5]
	s_cbranch_execz .LBB60_166
; %bb.157:
	s_andn2_b64 vcc, exec, s[8:9]
	s_cbranch_vccnz .LBB60_159
; %bb.158:
	buffer_load_dword v124, v127, s[0:3], 0 offen
	buffer_load_dword v125, v127, s[0:3], 0 offen offset:4
	ds_read_b64 v[172:173], v126
	s_waitcnt vmcnt(0) lgkmcnt(0)
	v_mul_f64 v[124:125], v[124:125], v[172:173]
	s_cbranch_execz .LBB60_160
	s_branch .LBB60_161
.LBB60_159:
                                        ; implicit-def: $vgpr124_vgpr125
.LBB60_160:
	ds_read_b64 v[124:125], v126
.LBB60_161:
	s_and_saveexec_b64 s[12:13], s[6:7]
	s_cbranch_execz .LBB60_165
; %bb.162:
	v_subrev_u32_e32 v172, 44, v0
	s_movk_i32 s14, 0x350
	s_mov_b64 s[6:7], 0
.LBB60_163:                             ; =>This Inner Loop Header: Depth=1
	buffer_load_dword v174, v171, s[0:3], 0 offen
	buffer_load_dword v175, v171, s[0:3], 0 offen offset:4
	v_mov_b32_e32 v173, s14
	ds_read_b64 v[176:177], v173
	v_add_u32_e32 v172, -1, v172
	s_add_i32 s14, s14, 8
	v_cmp_eq_u32_e32 vcc, 0, v172
	v_add_u32_e32 v171, 8, v171
	s_or_b64 s[6:7], vcc, s[6:7]
	s_waitcnt vmcnt(0) lgkmcnt(0)
	v_fmac_f64_e32 v[124:125], v[174:175], v[176:177]
	s_andn2_b64 exec, exec, s[6:7]
	s_cbranch_execnz .LBB60_163
; %bb.164:
	s_or_b64 exec, exec, s[6:7]
.LBB60_165:
	s_or_b64 exec, exec, s[12:13]
	v_mov_b32_e32 v171, 0
	ds_read_b64 v[172:173], v171 offset:344
	s_waitcnt lgkmcnt(0)
	v_mul_f64 v[124:125], v[124:125], v[172:173]
	buffer_store_dword v125, off, s[0:3], 0 offset:348
	buffer_store_dword v124, off, s[0:3], 0 offset:344
.LBB60_166:
	s_or_b64 exec, exec, s[10:11]
	buffer_load_dword v124, off, s[0:3], 0 offset:336
	buffer_load_dword v125, off, s[0:3], 0 offset:340
	v_cmp_lt_u32_e64 s[6:7], 42, v0
	s_waitcnt vmcnt(0)
	ds_write_b64 v126, v[124:125]
	s_waitcnt lgkmcnt(0)
	; wave barrier
	s_waitcnt lgkmcnt(0)
	s_and_saveexec_b64 s[10:11], s[6:7]
	s_cbranch_execz .LBB60_176
; %bb.167:
	s_andn2_b64 vcc, exec, s[8:9]
	s_cbranch_vccnz .LBB60_169
; %bb.168:
	buffer_load_dword v124, v127, s[0:3], 0 offen
	buffer_load_dword v125, v127, s[0:3], 0 offen offset:4
	ds_read_b64 v[172:173], v126
	s_waitcnt vmcnt(0) lgkmcnt(0)
	v_mul_f64 v[124:125], v[124:125], v[172:173]
	s_cbranch_execz .LBB60_170
	s_branch .LBB60_171
.LBB60_169:
                                        ; implicit-def: $vgpr124_vgpr125
.LBB60_170:
	ds_read_b64 v[124:125], v126
.LBB60_171:
	s_and_saveexec_b64 s[12:13], s[4:5]
	s_cbranch_execz .LBB60_175
; %bb.172:
	v_subrev_u32_e32 v171, 43, v0
	s_movk_i32 s14, 0x348
	s_mov_b64 s[4:5], 0
.LBB60_173:                             ; =>This Inner Loop Header: Depth=1
	buffer_load_dword v172, v170, s[0:3], 0 offen
	buffer_load_dword v173, v170, s[0:3], 0 offen offset:4
	v_mov_b32_e32 v174, s14
	ds_read_b64 v[174:175], v174
	v_add_u32_e32 v171, -1, v171
	s_add_i32 s14, s14, 8
	v_cmp_eq_u32_e32 vcc, 0, v171
	v_add_u32_e32 v170, 8, v170
	s_or_b64 s[4:5], vcc, s[4:5]
	s_waitcnt vmcnt(0) lgkmcnt(0)
	v_fmac_f64_e32 v[124:125], v[172:173], v[174:175]
	s_andn2_b64 exec, exec, s[4:5]
	s_cbranch_execnz .LBB60_173
; %bb.174:
	s_or_b64 exec, exec, s[4:5]
.LBB60_175:
	s_or_b64 exec, exec, s[12:13]
	v_mov_b32_e32 v170, 0
	ds_read_b64 v[170:171], v170 offset:336
	s_waitcnt lgkmcnt(0)
	v_mul_f64 v[124:125], v[124:125], v[170:171]
	buffer_store_dword v125, off, s[0:3], 0 offset:340
	buffer_store_dword v124, off, s[0:3], 0 offset:336
.LBB60_176:
	s_or_b64 exec, exec, s[10:11]
	buffer_load_dword v124, off, s[0:3], 0 offset:328
	buffer_load_dword v125, off, s[0:3], 0 offset:332
	v_cmp_lt_u32_e64 s[4:5], 41, v0
	s_waitcnt vmcnt(0)
	ds_write_b64 v126, v[124:125]
	s_waitcnt lgkmcnt(0)
	; wave barrier
	s_waitcnt lgkmcnt(0)
	s_and_saveexec_b64 s[10:11], s[4:5]
	s_cbranch_execz .LBB60_186
; %bb.177:
	s_andn2_b64 vcc, exec, s[8:9]
	s_cbranch_vccnz .LBB60_179
; %bb.178:
	buffer_load_dword v124, v127, s[0:3], 0 offen
	buffer_load_dword v125, v127, s[0:3], 0 offen offset:4
	ds_read_b64 v[170:171], v126
	s_waitcnt vmcnt(0) lgkmcnt(0)
	v_mul_f64 v[124:125], v[124:125], v[170:171]
	s_cbranch_execz .LBB60_180
	s_branch .LBB60_181
.LBB60_179:
                                        ; implicit-def: $vgpr124_vgpr125
.LBB60_180:
	ds_read_b64 v[124:125], v126
.LBB60_181:
	s_and_saveexec_b64 s[12:13], s[6:7]
	s_cbranch_execz .LBB60_185
; %bb.182:
	v_subrev_u32_e32 v170, 42, v0
	s_movk_i32 s14, 0x340
	s_mov_b64 s[6:7], 0
.LBB60_183:                             ; =>This Inner Loop Header: Depth=1
	buffer_load_dword v172, v169, s[0:3], 0 offen
	buffer_load_dword v173, v169, s[0:3], 0 offen offset:4
	v_mov_b32_e32 v171, s14
	ds_read_b64 v[174:175], v171
	v_add_u32_e32 v170, -1, v170
	s_add_i32 s14, s14, 8
	v_cmp_eq_u32_e32 vcc, 0, v170
	v_add_u32_e32 v169, 8, v169
	s_or_b64 s[6:7], vcc, s[6:7]
	s_waitcnt vmcnt(0) lgkmcnt(0)
	v_fmac_f64_e32 v[124:125], v[172:173], v[174:175]
	s_andn2_b64 exec, exec, s[6:7]
	s_cbranch_execnz .LBB60_183
; %bb.184:
	s_or_b64 exec, exec, s[6:7]
.LBB60_185:
	s_or_b64 exec, exec, s[12:13]
	v_mov_b32_e32 v169, 0
	ds_read_b64 v[170:171], v169 offset:328
	s_waitcnt lgkmcnt(0)
	v_mul_f64 v[124:125], v[124:125], v[170:171]
	buffer_store_dword v125, off, s[0:3], 0 offset:332
	buffer_store_dword v124, off, s[0:3], 0 offset:328
.LBB60_186:
	s_or_b64 exec, exec, s[10:11]
	buffer_load_dword v124, off, s[0:3], 0 offset:320
	buffer_load_dword v125, off, s[0:3], 0 offset:324
	v_cmp_lt_u32_e64 s[6:7], 40, v0
	s_waitcnt vmcnt(0)
	ds_write_b64 v126, v[124:125]
	s_waitcnt lgkmcnt(0)
	; wave barrier
	s_waitcnt lgkmcnt(0)
	s_and_saveexec_b64 s[10:11], s[6:7]
	s_cbranch_execz .LBB60_196
; %bb.187:
	s_andn2_b64 vcc, exec, s[8:9]
	s_cbranch_vccnz .LBB60_189
; %bb.188:
	buffer_load_dword v124, v127, s[0:3], 0 offen
	buffer_load_dword v125, v127, s[0:3], 0 offen offset:4
	ds_read_b64 v[170:171], v126
	s_waitcnt vmcnt(0) lgkmcnt(0)
	v_mul_f64 v[124:125], v[124:125], v[170:171]
	s_cbranch_execz .LBB60_190
	s_branch .LBB60_191
.LBB60_189:
                                        ; implicit-def: $vgpr124_vgpr125
.LBB60_190:
	ds_read_b64 v[124:125], v126
.LBB60_191:
	s_and_saveexec_b64 s[12:13], s[4:5]
	s_cbranch_execz .LBB60_195
; %bb.192:
	v_subrev_u32_e32 v169, 41, v0
	s_movk_i32 s14, 0x338
	s_mov_b64 s[4:5], 0
.LBB60_193:                             ; =>This Inner Loop Header: Depth=1
	buffer_load_dword v170, v168, s[0:3], 0 offen
	buffer_load_dword v171, v168, s[0:3], 0 offen offset:4
	v_mov_b32_e32 v172, s14
	ds_read_b64 v[172:173], v172
	v_add_u32_e32 v169, -1, v169
	s_add_i32 s14, s14, 8
	v_cmp_eq_u32_e32 vcc, 0, v169
	v_add_u32_e32 v168, 8, v168
	s_or_b64 s[4:5], vcc, s[4:5]
	s_waitcnt vmcnt(0) lgkmcnt(0)
	v_fmac_f64_e32 v[124:125], v[170:171], v[172:173]
	s_andn2_b64 exec, exec, s[4:5]
	s_cbranch_execnz .LBB60_193
; %bb.194:
	s_or_b64 exec, exec, s[4:5]
.LBB60_195:
	s_or_b64 exec, exec, s[12:13]
	v_mov_b32_e32 v168, 0
	ds_read_b64 v[168:169], v168 offset:320
	s_waitcnt lgkmcnt(0)
	v_mul_f64 v[124:125], v[124:125], v[168:169]
	buffer_store_dword v125, off, s[0:3], 0 offset:324
	buffer_store_dword v124, off, s[0:3], 0 offset:320
.LBB60_196:
	s_or_b64 exec, exec, s[10:11]
	buffer_load_dword v124, off, s[0:3], 0 offset:312
	buffer_load_dword v125, off, s[0:3], 0 offset:316
	v_cmp_lt_u32_e64 s[4:5], 39, v0
	s_waitcnt vmcnt(0)
	ds_write_b64 v126, v[124:125]
	s_waitcnt lgkmcnt(0)
	; wave barrier
	s_waitcnt lgkmcnt(0)
	s_and_saveexec_b64 s[10:11], s[4:5]
	s_cbranch_execz .LBB60_206
; %bb.197:
	s_andn2_b64 vcc, exec, s[8:9]
	s_cbranch_vccnz .LBB60_199
; %bb.198:
	buffer_load_dword v124, v127, s[0:3], 0 offen
	buffer_load_dword v125, v127, s[0:3], 0 offen offset:4
	ds_read_b64 v[168:169], v126
	s_waitcnt vmcnt(0) lgkmcnt(0)
	v_mul_f64 v[124:125], v[124:125], v[168:169]
	s_cbranch_execz .LBB60_200
	s_branch .LBB60_201
.LBB60_199:
                                        ; implicit-def: $vgpr124_vgpr125
.LBB60_200:
	ds_read_b64 v[124:125], v126
.LBB60_201:
	s_and_saveexec_b64 s[12:13], s[6:7]
	s_cbranch_execz .LBB60_205
; %bb.202:
	v_subrev_u32_e32 v168, 40, v0
	s_movk_i32 s14, 0x330
	s_mov_b64 s[6:7], 0
.LBB60_203:                             ; =>This Inner Loop Header: Depth=1
	buffer_load_dword v170, v167, s[0:3], 0 offen
	buffer_load_dword v171, v167, s[0:3], 0 offen offset:4
	v_mov_b32_e32 v169, s14
	ds_read_b64 v[172:173], v169
	v_add_u32_e32 v168, -1, v168
	s_add_i32 s14, s14, 8
	v_cmp_eq_u32_e32 vcc, 0, v168
	v_add_u32_e32 v167, 8, v167
	s_or_b64 s[6:7], vcc, s[6:7]
	s_waitcnt vmcnt(0) lgkmcnt(0)
	v_fmac_f64_e32 v[124:125], v[170:171], v[172:173]
	s_andn2_b64 exec, exec, s[6:7]
	s_cbranch_execnz .LBB60_203
; %bb.204:
	s_or_b64 exec, exec, s[6:7]
.LBB60_205:
	s_or_b64 exec, exec, s[12:13]
	v_mov_b32_e32 v167, 0
	ds_read_b64 v[168:169], v167 offset:312
	s_waitcnt lgkmcnt(0)
	v_mul_f64 v[124:125], v[124:125], v[168:169]
	buffer_store_dword v125, off, s[0:3], 0 offset:316
	buffer_store_dword v124, off, s[0:3], 0 offset:312
.LBB60_206:
	s_or_b64 exec, exec, s[10:11]
	buffer_load_dword v124, off, s[0:3], 0 offset:304
	buffer_load_dword v125, off, s[0:3], 0 offset:308
	v_cmp_lt_u32_e64 s[6:7], 38, v0
	s_waitcnt vmcnt(0)
	ds_write_b64 v126, v[124:125]
	s_waitcnt lgkmcnt(0)
	; wave barrier
	s_waitcnt lgkmcnt(0)
	s_and_saveexec_b64 s[10:11], s[6:7]
	s_cbranch_execz .LBB60_216
; %bb.207:
	s_andn2_b64 vcc, exec, s[8:9]
	s_cbranch_vccnz .LBB60_209
; %bb.208:
	buffer_load_dword v124, v127, s[0:3], 0 offen
	buffer_load_dword v125, v127, s[0:3], 0 offen offset:4
	ds_read_b64 v[168:169], v126
	s_waitcnt vmcnt(0) lgkmcnt(0)
	v_mul_f64 v[124:125], v[124:125], v[168:169]
	s_cbranch_execz .LBB60_210
	s_branch .LBB60_211
.LBB60_209:
                                        ; implicit-def: $vgpr124_vgpr125
.LBB60_210:
	ds_read_b64 v[124:125], v126
.LBB60_211:
	s_and_saveexec_b64 s[12:13], s[4:5]
	s_cbranch_execz .LBB60_215
; %bb.212:
	v_subrev_u32_e32 v167, 39, v0
	s_movk_i32 s14, 0x328
	s_mov_b64 s[4:5], 0
.LBB60_213:                             ; =>This Inner Loop Header: Depth=1
	buffer_load_dword v168, v166, s[0:3], 0 offen
	buffer_load_dword v169, v166, s[0:3], 0 offen offset:4
	v_mov_b32_e32 v170, s14
	ds_read_b64 v[170:171], v170
	v_add_u32_e32 v167, -1, v167
	s_add_i32 s14, s14, 8
	v_cmp_eq_u32_e32 vcc, 0, v167
	v_add_u32_e32 v166, 8, v166
	s_or_b64 s[4:5], vcc, s[4:5]
	s_waitcnt vmcnt(0) lgkmcnt(0)
	v_fmac_f64_e32 v[124:125], v[168:169], v[170:171]
	s_andn2_b64 exec, exec, s[4:5]
	s_cbranch_execnz .LBB60_213
; %bb.214:
	s_or_b64 exec, exec, s[4:5]
.LBB60_215:
	s_or_b64 exec, exec, s[12:13]
	v_mov_b32_e32 v166, 0
	ds_read_b64 v[166:167], v166 offset:304
	s_waitcnt lgkmcnt(0)
	v_mul_f64 v[124:125], v[124:125], v[166:167]
	buffer_store_dword v125, off, s[0:3], 0 offset:308
	buffer_store_dword v124, off, s[0:3], 0 offset:304
.LBB60_216:
	s_or_b64 exec, exec, s[10:11]
	buffer_load_dword v124, off, s[0:3], 0 offset:296
	buffer_load_dword v125, off, s[0:3], 0 offset:300
	v_cmp_lt_u32_e64 s[4:5], 37, v0
	s_waitcnt vmcnt(0)
	ds_write_b64 v126, v[124:125]
	s_waitcnt lgkmcnt(0)
	; wave barrier
	s_waitcnt lgkmcnt(0)
	s_and_saveexec_b64 s[10:11], s[4:5]
	s_cbranch_execz .LBB60_226
; %bb.217:
	s_andn2_b64 vcc, exec, s[8:9]
	s_cbranch_vccnz .LBB60_219
; %bb.218:
	buffer_load_dword v124, v127, s[0:3], 0 offen
	buffer_load_dword v125, v127, s[0:3], 0 offen offset:4
	ds_read_b64 v[166:167], v126
	s_waitcnt vmcnt(0) lgkmcnt(0)
	v_mul_f64 v[124:125], v[124:125], v[166:167]
	s_cbranch_execz .LBB60_220
	s_branch .LBB60_221
.LBB60_219:
                                        ; implicit-def: $vgpr124_vgpr125
.LBB60_220:
	ds_read_b64 v[124:125], v126
.LBB60_221:
	s_and_saveexec_b64 s[12:13], s[6:7]
	s_cbranch_execz .LBB60_225
; %bb.222:
	v_subrev_u32_e32 v166, 38, v0
	s_movk_i32 s14, 0x320
	s_mov_b64 s[6:7], 0
.LBB60_223:                             ; =>This Inner Loop Header: Depth=1
	buffer_load_dword v168, v165, s[0:3], 0 offen
	buffer_load_dword v169, v165, s[0:3], 0 offen offset:4
	v_mov_b32_e32 v167, s14
	ds_read_b64 v[170:171], v167
	v_add_u32_e32 v166, -1, v166
	s_add_i32 s14, s14, 8
	v_cmp_eq_u32_e32 vcc, 0, v166
	v_add_u32_e32 v165, 8, v165
	s_or_b64 s[6:7], vcc, s[6:7]
	s_waitcnt vmcnt(0) lgkmcnt(0)
	v_fmac_f64_e32 v[124:125], v[168:169], v[170:171]
	s_andn2_b64 exec, exec, s[6:7]
	s_cbranch_execnz .LBB60_223
; %bb.224:
	s_or_b64 exec, exec, s[6:7]
.LBB60_225:
	s_or_b64 exec, exec, s[12:13]
	v_mov_b32_e32 v165, 0
	ds_read_b64 v[166:167], v165 offset:296
	s_waitcnt lgkmcnt(0)
	v_mul_f64 v[124:125], v[124:125], v[166:167]
	buffer_store_dword v125, off, s[0:3], 0 offset:300
	buffer_store_dword v124, off, s[0:3], 0 offset:296
.LBB60_226:
	s_or_b64 exec, exec, s[10:11]
	buffer_load_dword v124, off, s[0:3], 0 offset:288
	buffer_load_dword v125, off, s[0:3], 0 offset:292
	v_cmp_lt_u32_e64 s[6:7], 36, v0
	s_waitcnt vmcnt(0)
	ds_write_b64 v126, v[124:125]
	s_waitcnt lgkmcnt(0)
	; wave barrier
	s_waitcnt lgkmcnt(0)
	s_and_saveexec_b64 s[10:11], s[6:7]
	s_cbranch_execz .LBB60_236
; %bb.227:
	s_andn2_b64 vcc, exec, s[8:9]
	s_cbranch_vccnz .LBB60_229
; %bb.228:
	buffer_load_dword v124, v127, s[0:3], 0 offen
	buffer_load_dword v125, v127, s[0:3], 0 offen offset:4
	ds_read_b64 v[166:167], v126
	s_waitcnt vmcnt(0) lgkmcnt(0)
	v_mul_f64 v[124:125], v[124:125], v[166:167]
	s_cbranch_execz .LBB60_230
	s_branch .LBB60_231
.LBB60_229:
                                        ; implicit-def: $vgpr124_vgpr125
.LBB60_230:
	ds_read_b64 v[124:125], v126
.LBB60_231:
	s_and_saveexec_b64 s[12:13], s[4:5]
	s_cbranch_execz .LBB60_235
; %bb.232:
	v_subrev_u32_e32 v165, 37, v0
	s_movk_i32 s14, 0x318
	s_mov_b64 s[4:5], 0
.LBB60_233:                             ; =>This Inner Loop Header: Depth=1
	buffer_load_dword v166, v164, s[0:3], 0 offen
	buffer_load_dword v167, v164, s[0:3], 0 offen offset:4
	v_mov_b32_e32 v168, s14
	ds_read_b64 v[168:169], v168
	v_add_u32_e32 v165, -1, v165
	s_add_i32 s14, s14, 8
	v_cmp_eq_u32_e32 vcc, 0, v165
	v_add_u32_e32 v164, 8, v164
	s_or_b64 s[4:5], vcc, s[4:5]
	s_waitcnt vmcnt(0) lgkmcnt(0)
	v_fmac_f64_e32 v[124:125], v[166:167], v[168:169]
	s_andn2_b64 exec, exec, s[4:5]
	s_cbranch_execnz .LBB60_233
; %bb.234:
	s_or_b64 exec, exec, s[4:5]
.LBB60_235:
	s_or_b64 exec, exec, s[12:13]
	v_mov_b32_e32 v164, 0
	ds_read_b64 v[164:165], v164 offset:288
	s_waitcnt lgkmcnt(0)
	v_mul_f64 v[124:125], v[124:125], v[164:165]
	buffer_store_dword v125, off, s[0:3], 0 offset:292
	buffer_store_dword v124, off, s[0:3], 0 offset:288
.LBB60_236:
	s_or_b64 exec, exec, s[10:11]
	buffer_load_dword v124, off, s[0:3], 0 offset:280
	buffer_load_dword v125, off, s[0:3], 0 offset:284
	v_cmp_lt_u32_e64 s[4:5], 35, v0
	s_waitcnt vmcnt(0)
	ds_write_b64 v126, v[124:125]
	s_waitcnt lgkmcnt(0)
	; wave barrier
	s_waitcnt lgkmcnt(0)
	s_and_saveexec_b64 s[10:11], s[4:5]
	s_cbranch_execz .LBB60_246
; %bb.237:
	s_andn2_b64 vcc, exec, s[8:9]
	s_cbranch_vccnz .LBB60_239
; %bb.238:
	buffer_load_dword v124, v127, s[0:3], 0 offen
	buffer_load_dword v125, v127, s[0:3], 0 offen offset:4
	ds_read_b64 v[164:165], v126
	s_waitcnt vmcnt(0) lgkmcnt(0)
	v_mul_f64 v[124:125], v[124:125], v[164:165]
	s_cbranch_execz .LBB60_240
	s_branch .LBB60_241
.LBB60_239:
                                        ; implicit-def: $vgpr124_vgpr125
.LBB60_240:
	ds_read_b64 v[124:125], v126
.LBB60_241:
	s_and_saveexec_b64 s[12:13], s[6:7]
	s_cbranch_execz .LBB60_245
; %bb.242:
	v_subrev_u32_e32 v164, 36, v0
	s_movk_i32 s14, 0x310
	s_mov_b64 s[6:7], 0
.LBB60_243:                             ; =>This Inner Loop Header: Depth=1
	buffer_load_dword v166, v163, s[0:3], 0 offen
	buffer_load_dword v167, v163, s[0:3], 0 offen offset:4
	v_mov_b32_e32 v165, s14
	ds_read_b64 v[168:169], v165
	v_add_u32_e32 v164, -1, v164
	s_add_i32 s14, s14, 8
	v_cmp_eq_u32_e32 vcc, 0, v164
	v_add_u32_e32 v163, 8, v163
	s_or_b64 s[6:7], vcc, s[6:7]
	s_waitcnt vmcnt(0) lgkmcnt(0)
	v_fmac_f64_e32 v[124:125], v[166:167], v[168:169]
	s_andn2_b64 exec, exec, s[6:7]
	s_cbranch_execnz .LBB60_243
; %bb.244:
	s_or_b64 exec, exec, s[6:7]
.LBB60_245:
	s_or_b64 exec, exec, s[12:13]
	v_mov_b32_e32 v163, 0
	ds_read_b64 v[164:165], v163 offset:280
	s_waitcnt lgkmcnt(0)
	v_mul_f64 v[124:125], v[124:125], v[164:165]
	buffer_store_dword v125, off, s[0:3], 0 offset:284
	buffer_store_dword v124, off, s[0:3], 0 offset:280
.LBB60_246:
	s_or_b64 exec, exec, s[10:11]
	buffer_load_dword v124, off, s[0:3], 0 offset:272
	buffer_load_dword v125, off, s[0:3], 0 offset:276
	v_cmp_lt_u32_e64 s[6:7], 34, v0
	s_waitcnt vmcnt(0)
	ds_write_b64 v126, v[124:125]
	s_waitcnt lgkmcnt(0)
	; wave barrier
	s_waitcnt lgkmcnt(0)
	s_and_saveexec_b64 s[10:11], s[6:7]
	s_cbranch_execz .LBB60_256
; %bb.247:
	s_andn2_b64 vcc, exec, s[8:9]
	s_cbranch_vccnz .LBB60_249
; %bb.248:
	buffer_load_dword v124, v127, s[0:3], 0 offen
	buffer_load_dword v125, v127, s[0:3], 0 offen offset:4
	ds_read_b64 v[164:165], v126
	s_waitcnt vmcnt(0) lgkmcnt(0)
	v_mul_f64 v[124:125], v[124:125], v[164:165]
	s_cbranch_execz .LBB60_250
	s_branch .LBB60_251
.LBB60_249:
                                        ; implicit-def: $vgpr124_vgpr125
.LBB60_250:
	ds_read_b64 v[124:125], v126
.LBB60_251:
	s_and_saveexec_b64 s[12:13], s[4:5]
	s_cbranch_execz .LBB60_255
; %bb.252:
	v_subrev_u32_e32 v163, 35, v0
	s_movk_i32 s14, 0x308
	s_mov_b64 s[4:5], 0
.LBB60_253:                             ; =>This Inner Loop Header: Depth=1
	buffer_load_dword v164, v162, s[0:3], 0 offen
	buffer_load_dword v165, v162, s[0:3], 0 offen offset:4
	v_mov_b32_e32 v166, s14
	ds_read_b64 v[166:167], v166
	v_add_u32_e32 v163, -1, v163
	s_add_i32 s14, s14, 8
	v_cmp_eq_u32_e32 vcc, 0, v163
	v_add_u32_e32 v162, 8, v162
	s_or_b64 s[4:5], vcc, s[4:5]
	s_waitcnt vmcnt(0) lgkmcnt(0)
	v_fmac_f64_e32 v[124:125], v[164:165], v[166:167]
	s_andn2_b64 exec, exec, s[4:5]
	s_cbranch_execnz .LBB60_253
; %bb.254:
	s_or_b64 exec, exec, s[4:5]
.LBB60_255:
	s_or_b64 exec, exec, s[12:13]
	v_mov_b32_e32 v162, 0
	ds_read_b64 v[162:163], v162 offset:272
	s_waitcnt lgkmcnt(0)
	v_mul_f64 v[124:125], v[124:125], v[162:163]
	buffer_store_dword v125, off, s[0:3], 0 offset:276
	buffer_store_dword v124, off, s[0:3], 0 offset:272
.LBB60_256:
	s_or_b64 exec, exec, s[10:11]
	buffer_load_dword v124, off, s[0:3], 0 offset:264
	buffer_load_dword v125, off, s[0:3], 0 offset:268
	v_cmp_lt_u32_e64 s[4:5], 33, v0
	s_waitcnt vmcnt(0)
	ds_write_b64 v126, v[124:125]
	s_waitcnt lgkmcnt(0)
	; wave barrier
	s_waitcnt lgkmcnt(0)
	s_and_saveexec_b64 s[10:11], s[4:5]
	s_cbranch_execz .LBB60_266
; %bb.257:
	s_andn2_b64 vcc, exec, s[8:9]
	s_cbranch_vccnz .LBB60_259
; %bb.258:
	buffer_load_dword v124, v127, s[0:3], 0 offen
	buffer_load_dword v125, v127, s[0:3], 0 offen offset:4
	ds_read_b64 v[162:163], v126
	s_waitcnt vmcnt(0) lgkmcnt(0)
	v_mul_f64 v[124:125], v[124:125], v[162:163]
	s_cbranch_execz .LBB60_260
	s_branch .LBB60_261
.LBB60_259:
                                        ; implicit-def: $vgpr124_vgpr125
.LBB60_260:
	ds_read_b64 v[124:125], v126
.LBB60_261:
	s_and_saveexec_b64 s[12:13], s[6:7]
	s_cbranch_execz .LBB60_265
; %bb.262:
	v_subrev_u32_e32 v162, 34, v0
	s_movk_i32 s14, 0x300
	s_mov_b64 s[6:7], 0
.LBB60_263:                             ; =>This Inner Loop Header: Depth=1
	buffer_load_dword v164, v161, s[0:3], 0 offen
	buffer_load_dword v165, v161, s[0:3], 0 offen offset:4
	v_mov_b32_e32 v163, s14
	ds_read_b64 v[166:167], v163
	v_add_u32_e32 v162, -1, v162
	s_add_i32 s14, s14, 8
	v_cmp_eq_u32_e32 vcc, 0, v162
	v_add_u32_e32 v161, 8, v161
	s_or_b64 s[6:7], vcc, s[6:7]
	s_waitcnt vmcnt(0) lgkmcnt(0)
	v_fmac_f64_e32 v[124:125], v[164:165], v[166:167]
	s_andn2_b64 exec, exec, s[6:7]
	s_cbranch_execnz .LBB60_263
; %bb.264:
	s_or_b64 exec, exec, s[6:7]
.LBB60_265:
	s_or_b64 exec, exec, s[12:13]
	v_mov_b32_e32 v161, 0
	ds_read_b64 v[162:163], v161 offset:264
	s_waitcnt lgkmcnt(0)
	v_mul_f64 v[124:125], v[124:125], v[162:163]
	buffer_store_dword v125, off, s[0:3], 0 offset:268
	buffer_store_dword v124, off, s[0:3], 0 offset:264
.LBB60_266:
	s_or_b64 exec, exec, s[10:11]
	buffer_load_dword v124, off, s[0:3], 0 offset:256
	buffer_load_dword v125, off, s[0:3], 0 offset:260
	v_cmp_lt_u32_e64 s[6:7], 32, v0
	s_waitcnt vmcnt(0)
	ds_write_b64 v126, v[124:125]
	s_waitcnt lgkmcnt(0)
	; wave barrier
	s_waitcnt lgkmcnt(0)
	s_and_saveexec_b64 s[10:11], s[6:7]
	s_cbranch_execz .LBB60_276
; %bb.267:
	s_andn2_b64 vcc, exec, s[8:9]
	s_cbranch_vccnz .LBB60_269
; %bb.268:
	buffer_load_dword v124, v127, s[0:3], 0 offen
	buffer_load_dword v125, v127, s[0:3], 0 offen offset:4
	ds_read_b64 v[162:163], v126
	s_waitcnt vmcnt(0) lgkmcnt(0)
	v_mul_f64 v[124:125], v[124:125], v[162:163]
	s_cbranch_execz .LBB60_270
	s_branch .LBB60_271
.LBB60_269:
                                        ; implicit-def: $vgpr124_vgpr125
.LBB60_270:
	ds_read_b64 v[124:125], v126
.LBB60_271:
	s_and_saveexec_b64 s[12:13], s[4:5]
	s_cbranch_execz .LBB60_275
; %bb.272:
	v_subrev_u32_e32 v161, 33, v0
	s_movk_i32 s14, 0x2f8
	s_mov_b64 s[4:5], 0
.LBB60_273:                             ; =>This Inner Loop Header: Depth=1
	buffer_load_dword v162, v160, s[0:3], 0 offen
	buffer_load_dword v163, v160, s[0:3], 0 offen offset:4
	v_mov_b32_e32 v164, s14
	ds_read_b64 v[164:165], v164
	v_add_u32_e32 v161, -1, v161
	s_add_i32 s14, s14, 8
	v_cmp_eq_u32_e32 vcc, 0, v161
	v_add_u32_e32 v160, 8, v160
	s_or_b64 s[4:5], vcc, s[4:5]
	s_waitcnt vmcnt(0) lgkmcnt(0)
	v_fmac_f64_e32 v[124:125], v[162:163], v[164:165]
	s_andn2_b64 exec, exec, s[4:5]
	s_cbranch_execnz .LBB60_273
; %bb.274:
	s_or_b64 exec, exec, s[4:5]
.LBB60_275:
	s_or_b64 exec, exec, s[12:13]
	v_mov_b32_e32 v160, 0
	ds_read_b64 v[160:161], v160 offset:256
	s_waitcnt lgkmcnt(0)
	v_mul_f64 v[124:125], v[124:125], v[160:161]
	buffer_store_dword v125, off, s[0:3], 0 offset:260
	buffer_store_dword v124, off, s[0:3], 0 offset:256
.LBB60_276:
	s_or_b64 exec, exec, s[10:11]
	buffer_load_dword v124, off, s[0:3], 0 offset:248
	buffer_load_dword v125, off, s[0:3], 0 offset:252
	v_cmp_lt_u32_e64 s[4:5], 31, v0
	s_waitcnt vmcnt(0)
	ds_write_b64 v126, v[124:125]
	s_waitcnt lgkmcnt(0)
	; wave barrier
	s_waitcnt lgkmcnt(0)
	s_and_saveexec_b64 s[10:11], s[4:5]
	s_cbranch_execz .LBB60_286
; %bb.277:
	s_andn2_b64 vcc, exec, s[8:9]
	s_cbranch_vccnz .LBB60_279
; %bb.278:
	buffer_load_dword v124, v127, s[0:3], 0 offen
	buffer_load_dword v125, v127, s[0:3], 0 offen offset:4
	ds_read_b64 v[160:161], v126
	s_waitcnt vmcnt(0) lgkmcnt(0)
	v_mul_f64 v[124:125], v[124:125], v[160:161]
	s_cbranch_execz .LBB60_280
	s_branch .LBB60_281
.LBB60_279:
                                        ; implicit-def: $vgpr124_vgpr125
.LBB60_280:
	ds_read_b64 v[124:125], v126
.LBB60_281:
	s_and_saveexec_b64 s[12:13], s[6:7]
	s_cbranch_execz .LBB60_285
; %bb.282:
	v_subrev_u32_e32 v160, 32, v0
	s_movk_i32 s14, 0x2f0
	s_mov_b64 s[6:7], 0
.LBB60_283:                             ; =>This Inner Loop Header: Depth=1
	buffer_load_dword v162, v159, s[0:3], 0 offen
	buffer_load_dword v163, v159, s[0:3], 0 offen offset:4
	v_mov_b32_e32 v161, s14
	ds_read_b64 v[164:165], v161
	v_add_u32_e32 v160, -1, v160
	s_add_i32 s14, s14, 8
	v_cmp_eq_u32_e32 vcc, 0, v160
	v_add_u32_e32 v159, 8, v159
	s_or_b64 s[6:7], vcc, s[6:7]
	s_waitcnt vmcnt(0) lgkmcnt(0)
	v_fmac_f64_e32 v[124:125], v[162:163], v[164:165]
	s_andn2_b64 exec, exec, s[6:7]
	s_cbranch_execnz .LBB60_283
; %bb.284:
	s_or_b64 exec, exec, s[6:7]
.LBB60_285:
	s_or_b64 exec, exec, s[12:13]
	v_mov_b32_e32 v159, 0
	ds_read_b64 v[160:161], v159 offset:248
	s_waitcnt lgkmcnt(0)
	v_mul_f64 v[124:125], v[124:125], v[160:161]
	buffer_store_dword v125, off, s[0:3], 0 offset:252
	buffer_store_dword v124, off, s[0:3], 0 offset:248
.LBB60_286:
	s_or_b64 exec, exec, s[10:11]
	buffer_load_dword v124, off, s[0:3], 0 offset:240
	buffer_load_dword v125, off, s[0:3], 0 offset:244
	v_cmp_lt_u32_e64 s[6:7], 30, v0
	s_waitcnt vmcnt(0)
	ds_write_b64 v126, v[124:125]
	s_waitcnt lgkmcnt(0)
	; wave barrier
	s_waitcnt lgkmcnt(0)
	s_and_saveexec_b64 s[10:11], s[6:7]
	s_cbranch_execz .LBB60_296
; %bb.287:
	s_andn2_b64 vcc, exec, s[8:9]
	s_cbranch_vccnz .LBB60_289
; %bb.288:
	buffer_load_dword v124, v127, s[0:3], 0 offen
	buffer_load_dword v125, v127, s[0:3], 0 offen offset:4
	ds_read_b64 v[160:161], v126
	s_waitcnt vmcnt(0) lgkmcnt(0)
	v_mul_f64 v[124:125], v[124:125], v[160:161]
	s_cbranch_execz .LBB60_290
	s_branch .LBB60_291
.LBB60_289:
                                        ; implicit-def: $vgpr124_vgpr125
.LBB60_290:
	ds_read_b64 v[124:125], v126
.LBB60_291:
	s_and_saveexec_b64 s[12:13], s[4:5]
	s_cbranch_execz .LBB60_295
; %bb.292:
	v_subrev_u32_e32 v159, 31, v0
	s_movk_i32 s14, 0x2e8
	s_mov_b64 s[4:5], 0
.LBB60_293:                             ; =>This Inner Loop Header: Depth=1
	buffer_load_dword v160, v158, s[0:3], 0 offen
	buffer_load_dword v161, v158, s[0:3], 0 offen offset:4
	v_mov_b32_e32 v162, s14
	ds_read_b64 v[162:163], v162
	v_add_u32_e32 v159, -1, v159
	s_add_i32 s14, s14, 8
	v_cmp_eq_u32_e32 vcc, 0, v159
	v_add_u32_e32 v158, 8, v158
	s_or_b64 s[4:5], vcc, s[4:5]
	s_waitcnt vmcnt(0) lgkmcnt(0)
	v_fmac_f64_e32 v[124:125], v[160:161], v[162:163]
	s_andn2_b64 exec, exec, s[4:5]
	s_cbranch_execnz .LBB60_293
; %bb.294:
	s_or_b64 exec, exec, s[4:5]
.LBB60_295:
	s_or_b64 exec, exec, s[12:13]
	v_mov_b32_e32 v158, 0
	ds_read_b64 v[158:159], v158 offset:240
	s_waitcnt lgkmcnt(0)
	v_mul_f64 v[124:125], v[124:125], v[158:159]
	buffer_store_dword v125, off, s[0:3], 0 offset:244
	buffer_store_dword v124, off, s[0:3], 0 offset:240
.LBB60_296:
	s_or_b64 exec, exec, s[10:11]
	buffer_load_dword v124, off, s[0:3], 0 offset:232
	buffer_load_dword v125, off, s[0:3], 0 offset:236
	v_cmp_lt_u32_e64 s[4:5], 29, v0
	s_waitcnt vmcnt(0)
	ds_write_b64 v126, v[124:125]
	s_waitcnt lgkmcnt(0)
	; wave barrier
	s_waitcnt lgkmcnt(0)
	s_and_saveexec_b64 s[10:11], s[4:5]
	s_cbranch_execz .LBB60_306
; %bb.297:
	s_andn2_b64 vcc, exec, s[8:9]
	s_cbranch_vccnz .LBB60_299
; %bb.298:
	buffer_load_dword v124, v127, s[0:3], 0 offen
	buffer_load_dword v125, v127, s[0:3], 0 offen offset:4
	ds_read_b64 v[158:159], v126
	s_waitcnt vmcnt(0) lgkmcnt(0)
	v_mul_f64 v[124:125], v[124:125], v[158:159]
	s_cbranch_execz .LBB60_300
	s_branch .LBB60_301
.LBB60_299:
                                        ; implicit-def: $vgpr124_vgpr125
.LBB60_300:
	ds_read_b64 v[124:125], v126
.LBB60_301:
	s_and_saveexec_b64 s[12:13], s[6:7]
	s_cbranch_execz .LBB60_305
; %bb.302:
	v_subrev_u32_e32 v158, 30, v0
	s_movk_i32 s14, 0x2e0
	s_mov_b64 s[6:7], 0
.LBB60_303:                             ; =>This Inner Loop Header: Depth=1
	buffer_load_dword v160, v157, s[0:3], 0 offen
	buffer_load_dword v161, v157, s[0:3], 0 offen offset:4
	v_mov_b32_e32 v159, s14
	ds_read_b64 v[162:163], v159
	v_add_u32_e32 v158, -1, v158
	s_add_i32 s14, s14, 8
	v_cmp_eq_u32_e32 vcc, 0, v158
	v_add_u32_e32 v157, 8, v157
	s_or_b64 s[6:7], vcc, s[6:7]
	s_waitcnt vmcnt(0) lgkmcnt(0)
	v_fmac_f64_e32 v[124:125], v[160:161], v[162:163]
	s_andn2_b64 exec, exec, s[6:7]
	s_cbranch_execnz .LBB60_303
; %bb.304:
	s_or_b64 exec, exec, s[6:7]
.LBB60_305:
	s_or_b64 exec, exec, s[12:13]
	v_mov_b32_e32 v157, 0
	ds_read_b64 v[158:159], v157 offset:232
	s_waitcnt lgkmcnt(0)
	v_mul_f64 v[124:125], v[124:125], v[158:159]
	buffer_store_dword v125, off, s[0:3], 0 offset:236
	buffer_store_dword v124, off, s[0:3], 0 offset:232
.LBB60_306:
	s_or_b64 exec, exec, s[10:11]
	buffer_load_dword v124, off, s[0:3], 0 offset:224
	buffer_load_dword v125, off, s[0:3], 0 offset:228
	v_cmp_lt_u32_e64 s[6:7], 28, v0
	s_waitcnt vmcnt(0)
	ds_write_b64 v126, v[124:125]
	s_waitcnt lgkmcnt(0)
	; wave barrier
	s_waitcnt lgkmcnt(0)
	s_and_saveexec_b64 s[10:11], s[6:7]
	s_cbranch_execz .LBB60_316
; %bb.307:
	s_andn2_b64 vcc, exec, s[8:9]
	s_cbranch_vccnz .LBB60_309
; %bb.308:
	buffer_load_dword v124, v127, s[0:3], 0 offen
	buffer_load_dword v125, v127, s[0:3], 0 offen offset:4
	ds_read_b64 v[158:159], v126
	s_waitcnt vmcnt(0) lgkmcnt(0)
	v_mul_f64 v[124:125], v[124:125], v[158:159]
	s_cbranch_execz .LBB60_310
	s_branch .LBB60_311
.LBB60_309:
                                        ; implicit-def: $vgpr124_vgpr125
.LBB60_310:
	ds_read_b64 v[124:125], v126
.LBB60_311:
	s_and_saveexec_b64 s[12:13], s[4:5]
	s_cbranch_execz .LBB60_315
; %bb.312:
	v_subrev_u32_e32 v157, 29, v0
	s_movk_i32 s14, 0x2d8
	s_mov_b64 s[4:5], 0
.LBB60_313:                             ; =>This Inner Loop Header: Depth=1
	buffer_load_dword v158, v156, s[0:3], 0 offen
	buffer_load_dword v159, v156, s[0:3], 0 offen offset:4
	v_mov_b32_e32 v160, s14
	ds_read_b64 v[160:161], v160
	v_add_u32_e32 v157, -1, v157
	s_add_i32 s14, s14, 8
	v_cmp_eq_u32_e32 vcc, 0, v157
	v_add_u32_e32 v156, 8, v156
	s_or_b64 s[4:5], vcc, s[4:5]
	s_waitcnt vmcnt(0) lgkmcnt(0)
	v_fmac_f64_e32 v[124:125], v[158:159], v[160:161]
	s_andn2_b64 exec, exec, s[4:5]
	s_cbranch_execnz .LBB60_313
; %bb.314:
	s_or_b64 exec, exec, s[4:5]
.LBB60_315:
	s_or_b64 exec, exec, s[12:13]
	v_mov_b32_e32 v156, 0
	ds_read_b64 v[156:157], v156 offset:224
	s_waitcnt lgkmcnt(0)
	v_mul_f64 v[124:125], v[124:125], v[156:157]
	buffer_store_dword v125, off, s[0:3], 0 offset:228
	buffer_store_dword v124, off, s[0:3], 0 offset:224
.LBB60_316:
	s_or_b64 exec, exec, s[10:11]
	buffer_load_dword v124, off, s[0:3], 0 offset:216
	buffer_load_dword v125, off, s[0:3], 0 offset:220
	v_cmp_lt_u32_e64 s[4:5], 27, v0
	s_waitcnt vmcnt(0)
	ds_write_b64 v126, v[124:125]
	s_waitcnt lgkmcnt(0)
	; wave barrier
	s_waitcnt lgkmcnt(0)
	s_and_saveexec_b64 s[10:11], s[4:5]
	s_cbranch_execz .LBB60_326
; %bb.317:
	s_andn2_b64 vcc, exec, s[8:9]
	s_cbranch_vccnz .LBB60_319
; %bb.318:
	buffer_load_dword v124, v127, s[0:3], 0 offen
	buffer_load_dword v125, v127, s[0:3], 0 offen offset:4
	ds_read_b64 v[156:157], v126
	s_waitcnt vmcnt(0) lgkmcnt(0)
	v_mul_f64 v[124:125], v[124:125], v[156:157]
	s_cbranch_execz .LBB60_320
	s_branch .LBB60_321
.LBB60_319:
                                        ; implicit-def: $vgpr124_vgpr125
.LBB60_320:
	ds_read_b64 v[124:125], v126
.LBB60_321:
	s_and_saveexec_b64 s[12:13], s[6:7]
	s_cbranch_execz .LBB60_325
; %bb.322:
	v_subrev_u32_e32 v156, 28, v0
	s_movk_i32 s14, 0x2d0
	s_mov_b64 s[6:7], 0
.LBB60_323:                             ; =>This Inner Loop Header: Depth=1
	buffer_load_dword v158, v155, s[0:3], 0 offen
	buffer_load_dword v159, v155, s[0:3], 0 offen offset:4
	v_mov_b32_e32 v157, s14
	ds_read_b64 v[160:161], v157
	v_add_u32_e32 v156, -1, v156
	s_add_i32 s14, s14, 8
	v_cmp_eq_u32_e32 vcc, 0, v156
	v_add_u32_e32 v155, 8, v155
	s_or_b64 s[6:7], vcc, s[6:7]
	s_waitcnt vmcnt(0) lgkmcnt(0)
	v_fmac_f64_e32 v[124:125], v[158:159], v[160:161]
	s_andn2_b64 exec, exec, s[6:7]
	s_cbranch_execnz .LBB60_323
; %bb.324:
	s_or_b64 exec, exec, s[6:7]
.LBB60_325:
	s_or_b64 exec, exec, s[12:13]
	v_mov_b32_e32 v155, 0
	ds_read_b64 v[156:157], v155 offset:216
	s_waitcnt lgkmcnt(0)
	v_mul_f64 v[124:125], v[124:125], v[156:157]
	buffer_store_dword v125, off, s[0:3], 0 offset:220
	buffer_store_dword v124, off, s[0:3], 0 offset:216
.LBB60_326:
	s_or_b64 exec, exec, s[10:11]
	buffer_load_dword v124, off, s[0:3], 0 offset:208
	buffer_load_dword v125, off, s[0:3], 0 offset:212
	v_cmp_lt_u32_e64 s[6:7], 26, v0
	s_waitcnt vmcnt(0)
	ds_write_b64 v126, v[124:125]
	s_waitcnt lgkmcnt(0)
	; wave barrier
	s_waitcnt lgkmcnt(0)
	s_and_saveexec_b64 s[10:11], s[6:7]
	s_cbranch_execz .LBB60_336
; %bb.327:
	s_andn2_b64 vcc, exec, s[8:9]
	s_cbranch_vccnz .LBB60_329
; %bb.328:
	buffer_load_dword v124, v127, s[0:3], 0 offen
	buffer_load_dword v125, v127, s[0:3], 0 offen offset:4
	ds_read_b64 v[156:157], v126
	s_waitcnt vmcnt(0) lgkmcnt(0)
	v_mul_f64 v[124:125], v[124:125], v[156:157]
	s_cbranch_execz .LBB60_330
	s_branch .LBB60_331
.LBB60_329:
                                        ; implicit-def: $vgpr124_vgpr125
.LBB60_330:
	ds_read_b64 v[124:125], v126
.LBB60_331:
	s_and_saveexec_b64 s[12:13], s[4:5]
	s_cbranch_execz .LBB60_335
; %bb.332:
	v_subrev_u32_e32 v155, 27, v0
	s_movk_i32 s14, 0x2c8
	s_mov_b64 s[4:5], 0
.LBB60_333:                             ; =>This Inner Loop Header: Depth=1
	buffer_load_dword v156, v154, s[0:3], 0 offen
	buffer_load_dword v157, v154, s[0:3], 0 offen offset:4
	v_mov_b32_e32 v158, s14
	ds_read_b64 v[158:159], v158
	v_add_u32_e32 v155, -1, v155
	s_add_i32 s14, s14, 8
	v_cmp_eq_u32_e32 vcc, 0, v155
	v_add_u32_e32 v154, 8, v154
	s_or_b64 s[4:5], vcc, s[4:5]
	s_waitcnt vmcnt(0) lgkmcnt(0)
	v_fmac_f64_e32 v[124:125], v[156:157], v[158:159]
	s_andn2_b64 exec, exec, s[4:5]
	s_cbranch_execnz .LBB60_333
; %bb.334:
	s_or_b64 exec, exec, s[4:5]
.LBB60_335:
	s_or_b64 exec, exec, s[12:13]
	v_mov_b32_e32 v154, 0
	ds_read_b64 v[154:155], v154 offset:208
	s_waitcnt lgkmcnt(0)
	v_mul_f64 v[124:125], v[124:125], v[154:155]
	buffer_store_dword v125, off, s[0:3], 0 offset:212
	buffer_store_dword v124, off, s[0:3], 0 offset:208
.LBB60_336:
	s_or_b64 exec, exec, s[10:11]
	buffer_load_dword v124, off, s[0:3], 0 offset:200
	buffer_load_dword v125, off, s[0:3], 0 offset:204
	v_cmp_lt_u32_e64 s[4:5], 25, v0
	s_waitcnt vmcnt(0)
	ds_write_b64 v126, v[124:125]
	s_waitcnt lgkmcnt(0)
	; wave barrier
	s_waitcnt lgkmcnt(0)
	s_and_saveexec_b64 s[10:11], s[4:5]
	s_cbranch_execz .LBB60_346
; %bb.337:
	s_andn2_b64 vcc, exec, s[8:9]
	s_cbranch_vccnz .LBB60_339
; %bb.338:
	buffer_load_dword v124, v127, s[0:3], 0 offen
	buffer_load_dword v125, v127, s[0:3], 0 offen offset:4
	ds_read_b64 v[154:155], v126
	s_waitcnt vmcnt(0) lgkmcnt(0)
	v_mul_f64 v[124:125], v[124:125], v[154:155]
	s_cbranch_execz .LBB60_340
	s_branch .LBB60_341
.LBB60_339:
                                        ; implicit-def: $vgpr124_vgpr125
.LBB60_340:
	ds_read_b64 v[124:125], v126
.LBB60_341:
	s_and_saveexec_b64 s[12:13], s[6:7]
	s_cbranch_execz .LBB60_345
; %bb.342:
	v_subrev_u32_e32 v154, 26, v0
	s_movk_i32 s14, 0x2c0
	s_mov_b64 s[6:7], 0
.LBB60_343:                             ; =>This Inner Loop Header: Depth=1
	buffer_load_dword v156, v153, s[0:3], 0 offen
	buffer_load_dword v157, v153, s[0:3], 0 offen offset:4
	v_mov_b32_e32 v155, s14
	ds_read_b64 v[158:159], v155
	v_add_u32_e32 v154, -1, v154
	s_add_i32 s14, s14, 8
	v_cmp_eq_u32_e32 vcc, 0, v154
	v_add_u32_e32 v153, 8, v153
	s_or_b64 s[6:7], vcc, s[6:7]
	s_waitcnt vmcnt(0) lgkmcnt(0)
	v_fmac_f64_e32 v[124:125], v[156:157], v[158:159]
	s_andn2_b64 exec, exec, s[6:7]
	s_cbranch_execnz .LBB60_343
; %bb.344:
	s_or_b64 exec, exec, s[6:7]
.LBB60_345:
	s_or_b64 exec, exec, s[12:13]
	v_mov_b32_e32 v153, 0
	ds_read_b64 v[154:155], v153 offset:200
	s_waitcnt lgkmcnt(0)
	v_mul_f64 v[124:125], v[124:125], v[154:155]
	buffer_store_dword v125, off, s[0:3], 0 offset:204
	buffer_store_dword v124, off, s[0:3], 0 offset:200
.LBB60_346:
	s_or_b64 exec, exec, s[10:11]
	buffer_load_dword v124, off, s[0:3], 0 offset:192
	buffer_load_dword v125, off, s[0:3], 0 offset:196
	v_cmp_lt_u32_e64 s[6:7], 24, v0
	s_waitcnt vmcnt(0)
	ds_write_b64 v126, v[124:125]
	s_waitcnt lgkmcnt(0)
	; wave barrier
	s_waitcnt lgkmcnt(0)
	s_and_saveexec_b64 s[10:11], s[6:7]
	s_cbranch_execz .LBB60_356
; %bb.347:
	s_andn2_b64 vcc, exec, s[8:9]
	s_cbranch_vccnz .LBB60_349
; %bb.348:
	buffer_load_dword v124, v127, s[0:3], 0 offen
	buffer_load_dword v125, v127, s[0:3], 0 offen offset:4
	ds_read_b64 v[154:155], v126
	s_waitcnt vmcnt(0) lgkmcnt(0)
	v_mul_f64 v[124:125], v[124:125], v[154:155]
	s_cbranch_execz .LBB60_350
	s_branch .LBB60_351
.LBB60_349:
                                        ; implicit-def: $vgpr124_vgpr125
.LBB60_350:
	ds_read_b64 v[124:125], v126
.LBB60_351:
	s_and_saveexec_b64 s[12:13], s[4:5]
	s_cbranch_execz .LBB60_355
; %bb.352:
	v_subrev_u32_e32 v153, 25, v0
	s_movk_i32 s14, 0x2b8
	s_mov_b64 s[4:5], 0
.LBB60_353:                             ; =>This Inner Loop Header: Depth=1
	buffer_load_dword v154, v152, s[0:3], 0 offen
	buffer_load_dword v155, v152, s[0:3], 0 offen offset:4
	v_mov_b32_e32 v156, s14
	ds_read_b64 v[156:157], v156
	v_add_u32_e32 v153, -1, v153
	s_add_i32 s14, s14, 8
	v_cmp_eq_u32_e32 vcc, 0, v153
	v_add_u32_e32 v152, 8, v152
	s_or_b64 s[4:5], vcc, s[4:5]
	s_waitcnt vmcnt(0) lgkmcnt(0)
	v_fmac_f64_e32 v[124:125], v[154:155], v[156:157]
	s_andn2_b64 exec, exec, s[4:5]
	s_cbranch_execnz .LBB60_353
; %bb.354:
	s_or_b64 exec, exec, s[4:5]
.LBB60_355:
	s_or_b64 exec, exec, s[12:13]
	v_mov_b32_e32 v152, 0
	ds_read_b64 v[152:153], v152 offset:192
	s_waitcnt lgkmcnt(0)
	v_mul_f64 v[124:125], v[124:125], v[152:153]
	buffer_store_dword v125, off, s[0:3], 0 offset:196
	buffer_store_dword v124, off, s[0:3], 0 offset:192
.LBB60_356:
	s_or_b64 exec, exec, s[10:11]
	buffer_load_dword v124, off, s[0:3], 0 offset:184
	buffer_load_dword v125, off, s[0:3], 0 offset:188
	v_cmp_lt_u32_e64 s[4:5], 23, v0
	s_waitcnt vmcnt(0)
	ds_write_b64 v126, v[124:125]
	s_waitcnt lgkmcnt(0)
	; wave barrier
	s_waitcnt lgkmcnt(0)
	s_and_saveexec_b64 s[10:11], s[4:5]
	s_cbranch_execz .LBB60_366
; %bb.357:
	s_andn2_b64 vcc, exec, s[8:9]
	s_cbranch_vccnz .LBB60_359
; %bb.358:
	buffer_load_dword v124, v127, s[0:3], 0 offen
	buffer_load_dword v125, v127, s[0:3], 0 offen offset:4
	ds_read_b64 v[152:153], v126
	s_waitcnt vmcnt(0) lgkmcnt(0)
	v_mul_f64 v[124:125], v[124:125], v[152:153]
	s_cbranch_execz .LBB60_360
	s_branch .LBB60_361
.LBB60_359:
                                        ; implicit-def: $vgpr124_vgpr125
.LBB60_360:
	ds_read_b64 v[124:125], v126
.LBB60_361:
	s_and_saveexec_b64 s[12:13], s[6:7]
	s_cbranch_execz .LBB60_365
; %bb.362:
	v_subrev_u32_e32 v152, 24, v0
	s_movk_i32 s14, 0x2b0
	s_mov_b64 s[6:7], 0
.LBB60_363:                             ; =>This Inner Loop Header: Depth=1
	buffer_load_dword v154, v151, s[0:3], 0 offen
	buffer_load_dword v155, v151, s[0:3], 0 offen offset:4
	v_mov_b32_e32 v153, s14
	ds_read_b64 v[156:157], v153
	v_add_u32_e32 v152, -1, v152
	s_add_i32 s14, s14, 8
	v_cmp_eq_u32_e32 vcc, 0, v152
	v_add_u32_e32 v151, 8, v151
	s_or_b64 s[6:7], vcc, s[6:7]
	s_waitcnt vmcnt(0) lgkmcnt(0)
	v_fmac_f64_e32 v[124:125], v[154:155], v[156:157]
	s_andn2_b64 exec, exec, s[6:7]
	s_cbranch_execnz .LBB60_363
; %bb.364:
	s_or_b64 exec, exec, s[6:7]
.LBB60_365:
	s_or_b64 exec, exec, s[12:13]
	v_mov_b32_e32 v151, 0
	ds_read_b64 v[152:153], v151 offset:184
	s_waitcnt lgkmcnt(0)
	v_mul_f64 v[124:125], v[124:125], v[152:153]
	buffer_store_dword v125, off, s[0:3], 0 offset:188
	buffer_store_dword v124, off, s[0:3], 0 offset:184
.LBB60_366:
	s_or_b64 exec, exec, s[10:11]
	buffer_load_dword v124, off, s[0:3], 0 offset:176
	buffer_load_dword v125, off, s[0:3], 0 offset:180
	v_cmp_lt_u32_e64 s[6:7], 22, v0
	s_waitcnt vmcnt(0)
	ds_write_b64 v126, v[124:125]
	s_waitcnt lgkmcnt(0)
	; wave barrier
	s_waitcnt lgkmcnt(0)
	s_and_saveexec_b64 s[10:11], s[6:7]
	s_cbranch_execz .LBB60_376
; %bb.367:
	s_andn2_b64 vcc, exec, s[8:9]
	s_cbranch_vccnz .LBB60_369
; %bb.368:
	buffer_load_dword v124, v127, s[0:3], 0 offen
	buffer_load_dword v125, v127, s[0:3], 0 offen offset:4
	ds_read_b64 v[152:153], v126
	s_waitcnt vmcnt(0) lgkmcnt(0)
	v_mul_f64 v[124:125], v[124:125], v[152:153]
	s_cbranch_execz .LBB60_370
	s_branch .LBB60_371
.LBB60_369:
                                        ; implicit-def: $vgpr124_vgpr125
.LBB60_370:
	ds_read_b64 v[124:125], v126
.LBB60_371:
	s_and_saveexec_b64 s[12:13], s[4:5]
	s_cbranch_execz .LBB60_375
; %bb.372:
	v_subrev_u32_e32 v151, 23, v0
	s_movk_i32 s14, 0x2a8
	s_mov_b64 s[4:5], 0
.LBB60_373:                             ; =>This Inner Loop Header: Depth=1
	buffer_load_dword v152, v150, s[0:3], 0 offen
	buffer_load_dword v153, v150, s[0:3], 0 offen offset:4
	v_mov_b32_e32 v154, s14
	ds_read_b64 v[154:155], v154
	v_add_u32_e32 v151, -1, v151
	s_add_i32 s14, s14, 8
	v_cmp_eq_u32_e32 vcc, 0, v151
	v_add_u32_e32 v150, 8, v150
	s_or_b64 s[4:5], vcc, s[4:5]
	s_waitcnt vmcnt(0) lgkmcnt(0)
	v_fmac_f64_e32 v[124:125], v[152:153], v[154:155]
	s_andn2_b64 exec, exec, s[4:5]
	s_cbranch_execnz .LBB60_373
; %bb.374:
	s_or_b64 exec, exec, s[4:5]
.LBB60_375:
	s_or_b64 exec, exec, s[12:13]
	v_mov_b32_e32 v150, 0
	ds_read_b64 v[150:151], v150 offset:176
	s_waitcnt lgkmcnt(0)
	v_mul_f64 v[124:125], v[124:125], v[150:151]
	buffer_store_dword v125, off, s[0:3], 0 offset:180
	buffer_store_dword v124, off, s[0:3], 0 offset:176
.LBB60_376:
	s_or_b64 exec, exec, s[10:11]
	buffer_load_dword v124, off, s[0:3], 0 offset:168
	buffer_load_dword v125, off, s[0:3], 0 offset:172
	v_cmp_lt_u32_e64 s[4:5], 21, v0
	s_waitcnt vmcnt(0)
	ds_write_b64 v126, v[124:125]
	s_waitcnt lgkmcnt(0)
	; wave barrier
	s_waitcnt lgkmcnt(0)
	s_and_saveexec_b64 s[10:11], s[4:5]
	s_cbranch_execz .LBB60_386
; %bb.377:
	s_andn2_b64 vcc, exec, s[8:9]
	s_cbranch_vccnz .LBB60_379
; %bb.378:
	buffer_load_dword v124, v127, s[0:3], 0 offen
	buffer_load_dword v125, v127, s[0:3], 0 offen offset:4
	ds_read_b64 v[150:151], v126
	s_waitcnt vmcnt(0) lgkmcnt(0)
	v_mul_f64 v[124:125], v[124:125], v[150:151]
	s_cbranch_execz .LBB60_380
	s_branch .LBB60_381
.LBB60_379:
                                        ; implicit-def: $vgpr124_vgpr125
.LBB60_380:
	ds_read_b64 v[124:125], v126
.LBB60_381:
	s_and_saveexec_b64 s[12:13], s[6:7]
	s_cbranch_execz .LBB60_385
; %bb.382:
	v_subrev_u32_e32 v150, 22, v0
	s_movk_i32 s14, 0x2a0
	s_mov_b64 s[6:7], 0
.LBB60_383:                             ; =>This Inner Loop Header: Depth=1
	buffer_load_dword v152, v149, s[0:3], 0 offen
	buffer_load_dword v153, v149, s[0:3], 0 offen offset:4
	v_mov_b32_e32 v151, s14
	ds_read_b64 v[154:155], v151
	v_add_u32_e32 v150, -1, v150
	s_add_i32 s14, s14, 8
	v_cmp_eq_u32_e32 vcc, 0, v150
	v_add_u32_e32 v149, 8, v149
	s_or_b64 s[6:7], vcc, s[6:7]
	s_waitcnt vmcnt(0) lgkmcnt(0)
	v_fmac_f64_e32 v[124:125], v[152:153], v[154:155]
	s_andn2_b64 exec, exec, s[6:7]
	s_cbranch_execnz .LBB60_383
; %bb.384:
	s_or_b64 exec, exec, s[6:7]
.LBB60_385:
	s_or_b64 exec, exec, s[12:13]
	v_mov_b32_e32 v149, 0
	ds_read_b64 v[150:151], v149 offset:168
	s_waitcnt lgkmcnt(0)
	v_mul_f64 v[124:125], v[124:125], v[150:151]
	buffer_store_dword v125, off, s[0:3], 0 offset:172
	buffer_store_dword v124, off, s[0:3], 0 offset:168
.LBB60_386:
	s_or_b64 exec, exec, s[10:11]
	buffer_load_dword v124, off, s[0:3], 0 offset:160
	buffer_load_dword v125, off, s[0:3], 0 offset:164
	v_cmp_lt_u32_e64 s[6:7], 20, v0
	s_waitcnt vmcnt(0)
	ds_write_b64 v126, v[124:125]
	s_waitcnt lgkmcnt(0)
	; wave barrier
	s_waitcnt lgkmcnt(0)
	s_and_saveexec_b64 s[10:11], s[6:7]
	s_cbranch_execz .LBB60_396
; %bb.387:
	s_andn2_b64 vcc, exec, s[8:9]
	s_cbranch_vccnz .LBB60_389
; %bb.388:
	buffer_load_dword v124, v127, s[0:3], 0 offen
	buffer_load_dword v125, v127, s[0:3], 0 offen offset:4
	ds_read_b64 v[150:151], v126
	s_waitcnt vmcnt(0) lgkmcnt(0)
	v_mul_f64 v[124:125], v[124:125], v[150:151]
	s_cbranch_execz .LBB60_390
	s_branch .LBB60_391
.LBB60_389:
                                        ; implicit-def: $vgpr124_vgpr125
.LBB60_390:
	ds_read_b64 v[124:125], v126
.LBB60_391:
	s_and_saveexec_b64 s[12:13], s[4:5]
	s_cbranch_execz .LBB60_395
; %bb.392:
	v_subrev_u32_e32 v149, 21, v0
	s_movk_i32 s14, 0x298
	s_mov_b64 s[4:5], 0
.LBB60_393:                             ; =>This Inner Loop Header: Depth=1
	buffer_load_dword v150, v148, s[0:3], 0 offen
	buffer_load_dword v151, v148, s[0:3], 0 offen offset:4
	v_mov_b32_e32 v152, s14
	ds_read_b64 v[152:153], v152
	v_add_u32_e32 v149, -1, v149
	s_add_i32 s14, s14, 8
	v_cmp_eq_u32_e32 vcc, 0, v149
	v_add_u32_e32 v148, 8, v148
	s_or_b64 s[4:5], vcc, s[4:5]
	s_waitcnt vmcnt(0) lgkmcnt(0)
	v_fmac_f64_e32 v[124:125], v[150:151], v[152:153]
	s_andn2_b64 exec, exec, s[4:5]
	s_cbranch_execnz .LBB60_393
; %bb.394:
	s_or_b64 exec, exec, s[4:5]
.LBB60_395:
	s_or_b64 exec, exec, s[12:13]
	v_mov_b32_e32 v148, 0
	ds_read_b64 v[148:149], v148 offset:160
	s_waitcnt lgkmcnt(0)
	v_mul_f64 v[124:125], v[124:125], v[148:149]
	buffer_store_dword v125, off, s[0:3], 0 offset:164
	buffer_store_dword v124, off, s[0:3], 0 offset:160
.LBB60_396:
	s_or_b64 exec, exec, s[10:11]
	buffer_load_dword v124, off, s[0:3], 0 offset:152
	buffer_load_dword v125, off, s[0:3], 0 offset:156
	v_cmp_lt_u32_e64 s[4:5], 19, v0
	s_waitcnt vmcnt(0)
	ds_write_b64 v126, v[124:125]
	s_waitcnt lgkmcnt(0)
	; wave barrier
	s_waitcnt lgkmcnt(0)
	s_and_saveexec_b64 s[10:11], s[4:5]
	s_cbranch_execz .LBB60_406
; %bb.397:
	s_andn2_b64 vcc, exec, s[8:9]
	s_cbranch_vccnz .LBB60_399
; %bb.398:
	buffer_load_dword v124, v127, s[0:3], 0 offen
	buffer_load_dword v125, v127, s[0:3], 0 offen offset:4
	ds_read_b64 v[148:149], v126
	s_waitcnt vmcnt(0) lgkmcnt(0)
	v_mul_f64 v[124:125], v[124:125], v[148:149]
	s_cbranch_execz .LBB60_400
	s_branch .LBB60_401
.LBB60_399:
                                        ; implicit-def: $vgpr124_vgpr125
.LBB60_400:
	ds_read_b64 v[124:125], v126
.LBB60_401:
	s_and_saveexec_b64 s[12:13], s[6:7]
	s_cbranch_execz .LBB60_405
; %bb.402:
	v_subrev_u32_e32 v148, 20, v0
	s_movk_i32 s14, 0x290
	s_mov_b64 s[6:7], 0
.LBB60_403:                             ; =>This Inner Loop Header: Depth=1
	buffer_load_dword v150, v147, s[0:3], 0 offen
	buffer_load_dword v151, v147, s[0:3], 0 offen offset:4
	v_mov_b32_e32 v149, s14
	ds_read_b64 v[152:153], v149
	v_add_u32_e32 v148, -1, v148
	s_add_i32 s14, s14, 8
	v_cmp_eq_u32_e32 vcc, 0, v148
	v_add_u32_e32 v147, 8, v147
	s_or_b64 s[6:7], vcc, s[6:7]
	s_waitcnt vmcnt(0) lgkmcnt(0)
	v_fmac_f64_e32 v[124:125], v[150:151], v[152:153]
	s_andn2_b64 exec, exec, s[6:7]
	s_cbranch_execnz .LBB60_403
; %bb.404:
	s_or_b64 exec, exec, s[6:7]
.LBB60_405:
	s_or_b64 exec, exec, s[12:13]
	v_mov_b32_e32 v147, 0
	ds_read_b64 v[148:149], v147 offset:152
	s_waitcnt lgkmcnt(0)
	v_mul_f64 v[124:125], v[124:125], v[148:149]
	buffer_store_dword v125, off, s[0:3], 0 offset:156
	buffer_store_dword v124, off, s[0:3], 0 offset:152
.LBB60_406:
	s_or_b64 exec, exec, s[10:11]
	buffer_load_dword v124, off, s[0:3], 0 offset:144
	buffer_load_dword v125, off, s[0:3], 0 offset:148
	v_cmp_lt_u32_e64 s[6:7], 18, v0
	s_waitcnt vmcnt(0)
	ds_write_b64 v126, v[124:125]
	s_waitcnt lgkmcnt(0)
	; wave barrier
	s_waitcnt lgkmcnt(0)
	s_and_saveexec_b64 s[10:11], s[6:7]
	s_cbranch_execz .LBB60_416
; %bb.407:
	s_andn2_b64 vcc, exec, s[8:9]
	s_cbranch_vccnz .LBB60_409
; %bb.408:
	buffer_load_dword v124, v127, s[0:3], 0 offen
	buffer_load_dword v125, v127, s[0:3], 0 offen offset:4
	ds_read_b64 v[148:149], v126
	s_waitcnt vmcnt(0) lgkmcnt(0)
	v_mul_f64 v[124:125], v[124:125], v[148:149]
	s_cbranch_execz .LBB60_410
	s_branch .LBB60_411
.LBB60_409:
                                        ; implicit-def: $vgpr124_vgpr125
.LBB60_410:
	ds_read_b64 v[124:125], v126
.LBB60_411:
	s_and_saveexec_b64 s[12:13], s[4:5]
	s_cbranch_execz .LBB60_415
; %bb.412:
	v_subrev_u32_e32 v147, 19, v0
	s_movk_i32 s14, 0x288
	s_mov_b64 s[4:5], 0
.LBB60_413:                             ; =>This Inner Loop Header: Depth=1
	buffer_load_dword v148, v146, s[0:3], 0 offen
	buffer_load_dword v149, v146, s[0:3], 0 offen offset:4
	v_mov_b32_e32 v150, s14
	ds_read_b64 v[150:151], v150
	v_add_u32_e32 v147, -1, v147
	s_add_i32 s14, s14, 8
	v_cmp_eq_u32_e32 vcc, 0, v147
	v_add_u32_e32 v146, 8, v146
	s_or_b64 s[4:5], vcc, s[4:5]
	s_waitcnt vmcnt(0) lgkmcnt(0)
	v_fmac_f64_e32 v[124:125], v[148:149], v[150:151]
	s_andn2_b64 exec, exec, s[4:5]
	s_cbranch_execnz .LBB60_413
; %bb.414:
	s_or_b64 exec, exec, s[4:5]
.LBB60_415:
	s_or_b64 exec, exec, s[12:13]
	v_mov_b32_e32 v146, 0
	ds_read_b64 v[146:147], v146 offset:144
	s_waitcnt lgkmcnt(0)
	v_mul_f64 v[124:125], v[124:125], v[146:147]
	buffer_store_dword v125, off, s[0:3], 0 offset:148
	buffer_store_dword v124, off, s[0:3], 0 offset:144
.LBB60_416:
	s_or_b64 exec, exec, s[10:11]
	buffer_load_dword v124, off, s[0:3], 0 offset:136
	buffer_load_dword v125, off, s[0:3], 0 offset:140
	v_cmp_lt_u32_e64 s[4:5], 17, v0
	s_waitcnt vmcnt(0)
	ds_write_b64 v126, v[124:125]
	s_waitcnt lgkmcnt(0)
	; wave barrier
	s_waitcnt lgkmcnt(0)
	s_and_saveexec_b64 s[10:11], s[4:5]
	s_cbranch_execz .LBB60_426
; %bb.417:
	s_andn2_b64 vcc, exec, s[8:9]
	s_cbranch_vccnz .LBB60_419
; %bb.418:
	buffer_load_dword v124, v127, s[0:3], 0 offen
	buffer_load_dword v125, v127, s[0:3], 0 offen offset:4
	ds_read_b64 v[146:147], v126
	s_waitcnt vmcnt(0) lgkmcnt(0)
	v_mul_f64 v[124:125], v[124:125], v[146:147]
	s_cbranch_execz .LBB60_420
	s_branch .LBB60_421
.LBB60_419:
                                        ; implicit-def: $vgpr124_vgpr125
.LBB60_420:
	ds_read_b64 v[124:125], v126
.LBB60_421:
	s_and_saveexec_b64 s[12:13], s[6:7]
	s_cbranch_execz .LBB60_425
; %bb.422:
	v_subrev_u32_e32 v146, 18, v0
	s_movk_i32 s14, 0x280
	s_mov_b64 s[6:7], 0
.LBB60_423:                             ; =>This Inner Loop Header: Depth=1
	buffer_load_dword v148, v145, s[0:3], 0 offen
	buffer_load_dword v149, v145, s[0:3], 0 offen offset:4
	v_mov_b32_e32 v147, s14
	ds_read_b64 v[150:151], v147
	v_add_u32_e32 v146, -1, v146
	s_add_i32 s14, s14, 8
	v_cmp_eq_u32_e32 vcc, 0, v146
	v_add_u32_e32 v145, 8, v145
	s_or_b64 s[6:7], vcc, s[6:7]
	s_waitcnt vmcnt(0) lgkmcnt(0)
	v_fmac_f64_e32 v[124:125], v[148:149], v[150:151]
	s_andn2_b64 exec, exec, s[6:7]
	s_cbranch_execnz .LBB60_423
; %bb.424:
	s_or_b64 exec, exec, s[6:7]
.LBB60_425:
	s_or_b64 exec, exec, s[12:13]
	v_mov_b32_e32 v145, 0
	ds_read_b64 v[146:147], v145 offset:136
	s_waitcnt lgkmcnt(0)
	v_mul_f64 v[124:125], v[124:125], v[146:147]
	buffer_store_dword v125, off, s[0:3], 0 offset:140
	buffer_store_dword v124, off, s[0:3], 0 offset:136
.LBB60_426:
	s_or_b64 exec, exec, s[10:11]
	buffer_load_dword v124, off, s[0:3], 0 offset:128
	buffer_load_dword v125, off, s[0:3], 0 offset:132
	v_cmp_lt_u32_e64 s[6:7], 16, v0
	s_waitcnt vmcnt(0)
	ds_write_b64 v126, v[124:125]
	s_waitcnt lgkmcnt(0)
	; wave barrier
	s_waitcnt lgkmcnt(0)
	s_and_saveexec_b64 s[10:11], s[6:7]
	s_cbranch_execz .LBB60_436
; %bb.427:
	s_andn2_b64 vcc, exec, s[8:9]
	s_cbranch_vccnz .LBB60_429
; %bb.428:
	buffer_load_dword v124, v127, s[0:3], 0 offen
	buffer_load_dword v125, v127, s[0:3], 0 offen offset:4
	ds_read_b64 v[146:147], v126
	s_waitcnt vmcnt(0) lgkmcnt(0)
	v_mul_f64 v[124:125], v[124:125], v[146:147]
	s_cbranch_execz .LBB60_430
	s_branch .LBB60_431
.LBB60_429:
                                        ; implicit-def: $vgpr124_vgpr125
.LBB60_430:
	ds_read_b64 v[124:125], v126
.LBB60_431:
	s_and_saveexec_b64 s[12:13], s[4:5]
	s_cbranch_execz .LBB60_435
; %bb.432:
	v_subrev_u32_e32 v145, 17, v0
	s_movk_i32 s14, 0x278
	s_mov_b64 s[4:5], 0
.LBB60_433:                             ; =>This Inner Loop Header: Depth=1
	buffer_load_dword v146, v144, s[0:3], 0 offen
	buffer_load_dword v147, v144, s[0:3], 0 offen offset:4
	v_mov_b32_e32 v148, s14
	ds_read_b64 v[148:149], v148
	v_add_u32_e32 v145, -1, v145
	s_add_i32 s14, s14, 8
	v_cmp_eq_u32_e32 vcc, 0, v145
	v_add_u32_e32 v144, 8, v144
	s_or_b64 s[4:5], vcc, s[4:5]
	s_waitcnt vmcnt(0) lgkmcnt(0)
	v_fmac_f64_e32 v[124:125], v[146:147], v[148:149]
	s_andn2_b64 exec, exec, s[4:5]
	s_cbranch_execnz .LBB60_433
; %bb.434:
	s_or_b64 exec, exec, s[4:5]
.LBB60_435:
	s_or_b64 exec, exec, s[12:13]
	v_mov_b32_e32 v144, 0
	ds_read_b64 v[144:145], v144 offset:128
	s_waitcnt lgkmcnt(0)
	v_mul_f64 v[124:125], v[124:125], v[144:145]
	buffer_store_dword v125, off, s[0:3], 0 offset:132
	buffer_store_dword v124, off, s[0:3], 0 offset:128
.LBB60_436:
	s_or_b64 exec, exec, s[10:11]
	buffer_load_dword v124, off, s[0:3], 0 offset:120
	buffer_load_dword v125, off, s[0:3], 0 offset:124
	v_cmp_lt_u32_e64 s[4:5], 15, v0
	s_waitcnt vmcnt(0)
	ds_write_b64 v126, v[124:125]
	s_waitcnt lgkmcnt(0)
	; wave barrier
	s_waitcnt lgkmcnt(0)
	s_and_saveexec_b64 s[10:11], s[4:5]
	s_cbranch_execz .LBB60_446
; %bb.437:
	s_andn2_b64 vcc, exec, s[8:9]
	s_cbranch_vccnz .LBB60_439
; %bb.438:
	buffer_load_dword v124, v127, s[0:3], 0 offen
	buffer_load_dword v125, v127, s[0:3], 0 offen offset:4
	ds_read_b64 v[144:145], v126
	s_waitcnt vmcnt(0) lgkmcnt(0)
	v_mul_f64 v[124:125], v[124:125], v[144:145]
	s_cbranch_execz .LBB60_440
	s_branch .LBB60_441
.LBB60_439:
                                        ; implicit-def: $vgpr124_vgpr125
.LBB60_440:
	ds_read_b64 v[124:125], v126
.LBB60_441:
	s_and_saveexec_b64 s[12:13], s[6:7]
	s_cbranch_execz .LBB60_445
; %bb.442:
	v_add_u32_e32 v144, -16, v0
	s_movk_i32 s14, 0x270
	s_mov_b64 s[6:7], 0
.LBB60_443:                             ; =>This Inner Loop Header: Depth=1
	buffer_load_dword v146, v143, s[0:3], 0 offen
	buffer_load_dword v147, v143, s[0:3], 0 offen offset:4
	v_mov_b32_e32 v145, s14
	ds_read_b64 v[148:149], v145
	v_add_u32_e32 v144, -1, v144
	s_add_i32 s14, s14, 8
	v_cmp_eq_u32_e32 vcc, 0, v144
	v_add_u32_e32 v143, 8, v143
	s_or_b64 s[6:7], vcc, s[6:7]
	s_waitcnt vmcnt(0) lgkmcnt(0)
	v_fmac_f64_e32 v[124:125], v[146:147], v[148:149]
	s_andn2_b64 exec, exec, s[6:7]
	s_cbranch_execnz .LBB60_443
; %bb.444:
	s_or_b64 exec, exec, s[6:7]
.LBB60_445:
	s_or_b64 exec, exec, s[12:13]
	v_mov_b32_e32 v143, 0
	ds_read_b64 v[144:145], v143 offset:120
	s_waitcnt lgkmcnt(0)
	v_mul_f64 v[124:125], v[124:125], v[144:145]
	buffer_store_dword v125, off, s[0:3], 0 offset:124
	buffer_store_dword v124, off, s[0:3], 0 offset:120
.LBB60_446:
	s_or_b64 exec, exec, s[10:11]
	buffer_load_dword v124, off, s[0:3], 0 offset:112
	buffer_load_dword v125, off, s[0:3], 0 offset:116
	v_cmp_lt_u32_e64 s[6:7], 14, v0
	s_waitcnt vmcnt(0)
	ds_write_b64 v126, v[124:125]
	s_waitcnt lgkmcnt(0)
	; wave barrier
	s_waitcnt lgkmcnt(0)
	s_and_saveexec_b64 s[10:11], s[6:7]
	s_cbranch_execz .LBB60_456
; %bb.447:
	s_andn2_b64 vcc, exec, s[8:9]
	s_cbranch_vccnz .LBB60_449
; %bb.448:
	buffer_load_dword v124, v127, s[0:3], 0 offen
	buffer_load_dword v125, v127, s[0:3], 0 offen offset:4
	ds_read_b64 v[144:145], v126
	s_waitcnt vmcnt(0) lgkmcnt(0)
	v_mul_f64 v[124:125], v[124:125], v[144:145]
	s_cbranch_execz .LBB60_450
	s_branch .LBB60_451
.LBB60_449:
                                        ; implicit-def: $vgpr124_vgpr125
.LBB60_450:
	ds_read_b64 v[124:125], v126
.LBB60_451:
	s_and_saveexec_b64 s[12:13], s[4:5]
	s_cbranch_execz .LBB60_455
; %bb.452:
	v_add_u32_e32 v143, -15, v0
	s_movk_i32 s14, 0x268
	s_mov_b64 s[4:5], 0
.LBB60_453:                             ; =>This Inner Loop Header: Depth=1
	buffer_load_dword v144, v142, s[0:3], 0 offen
	buffer_load_dword v145, v142, s[0:3], 0 offen offset:4
	v_mov_b32_e32 v146, s14
	ds_read_b64 v[146:147], v146
	v_add_u32_e32 v143, -1, v143
	s_add_i32 s14, s14, 8
	v_cmp_eq_u32_e32 vcc, 0, v143
	v_add_u32_e32 v142, 8, v142
	s_or_b64 s[4:5], vcc, s[4:5]
	s_waitcnt vmcnt(0) lgkmcnt(0)
	v_fmac_f64_e32 v[124:125], v[144:145], v[146:147]
	s_andn2_b64 exec, exec, s[4:5]
	s_cbranch_execnz .LBB60_453
; %bb.454:
	s_or_b64 exec, exec, s[4:5]
.LBB60_455:
	s_or_b64 exec, exec, s[12:13]
	v_mov_b32_e32 v142, 0
	ds_read_b64 v[142:143], v142 offset:112
	s_waitcnt lgkmcnt(0)
	v_mul_f64 v[124:125], v[124:125], v[142:143]
	buffer_store_dword v125, off, s[0:3], 0 offset:116
	buffer_store_dword v124, off, s[0:3], 0 offset:112
.LBB60_456:
	s_or_b64 exec, exec, s[10:11]
	buffer_load_dword v124, off, s[0:3], 0 offset:104
	buffer_load_dword v125, off, s[0:3], 0 offset:108
	v_cmp_lt_u32_e64 s[4:5], 13, v0
	s_waitcnt vmcnt(0)
	ds_write_b64 v126, v[124:125]
	s_waitcnt lgkmcnt(0)
	; wave barrier
	s_waitcnt lgkmcnt(0)
	s_and_saveexec_b64 s[10:11], s[4:5]
	s_cbranch_execz .LBB60_466
; %bb.457:
	s_andn2_b64 vcc, exec, s[8:9]
	s_cbranch_vccnz .LBB60_459
; %bb.458:
	buffer_load_dword v124, v127, s[0:3], 0 offen
	buffer_load_dword v125, v127, s[0:3], 0 offen offset:4
	ds_read_b64 v[142:143], v126
	s_waitcnt vmcnt(0) lgkmcnt(0)
	v_mul_f64 v[124:125], v[124:125], v[142:143]
	s_cbranch_execz .LBB60_460
	s_branch .LBB60_461
.LBB60_459:
                                        ; implicit-def: $vgpr124_vgpr125
.LBB60_460:
	ds_read_b64 v[124:125], v126
.LBB60_461:
	s_and_saveexec_b64 s[12:13], s[6:7]
	s_cbranch_execz .LBB60_465
; %bb.462:
	v_add_u32_e32 v142, -14, v0
	s_movk_i32 s14, 0x260
	s_mov_b64 s[6:7], 0
.LBB60_463:                             ; =>This Inner Loop Header: Depth=1
	buffer_load_dword v144, v141, s[0:3], 0 offen
	buffer_load_dword v145, v141, s[0:3], 0 offen offset:4
	v_mov_b32_e32 v143, s14
	ds_read_b64 v[146:147], v143
	v_add_u32_e32 v142, -1, v142
	s_add_i32 s14, s14, 8
	v_cmp_eq_u32_e32 vcc, 0, v142
	v_add_u32_e32 v141, 8, v141
	s_or_b64 s[6:7], vcc, s[6:7]
	s_waitcnt vmcnt(0) lgkmcnt(0)
	v_fmac_f64_e32 v[124:125], v[144:145], v[146:147]
	s_andn2_b64 exec, exec, s[6:7]
	s_cbranch_execnz .LBB60_463
; %bb.464:
	s_or_b64 exec, exec, s[6:7]
.LBB60_465:
	s_or_b64 exec, exec, s[12:13]
	v_mov_b32_e32 v141, 0
	ds_read_b64 v[142:143], v141 offset:104
	s_waitcnt lgkmcnt(0)
	v_mul_f64 v[124:125], v[124:125], v[142:143]
	buffer_store_dword v125, off, s[0:3], 0 offset:108
	buffer_store_dword v124, off, s[0:3], 0 offset:104
.LBB60_466:
	s_or_b64 exec, exec, s[10:11]
	buffer_load_dword v124, off, s[0:3], 0 offset:96
	buffer_load_dword v125, off, s[0:3], 0 offset:100
	v_cmp_lt_u32_e64 s[6:7], 12, v0
	s_waitcnt vmcnt(0)
	ds_write_b64 v126, v[124:125]
	s_waitcnt lgkmcnt(0)
	; wave barrier
	s_waitcnt lgkmcnt(0)
	s_and_saveexec_b64 s[10:11], s[6:7]
	s_cbranch_execz .LBB60_476
; %bb.467:
	s_andn2_b64 vcc, exec, s[8:9]
	s_cbranch_vccnz .LBB60_469
; %bb.468:
	buffer_load_dword v124, v127, s[0:3], 0 offen
	buffer_load_dword v125, v127, s[0:3], 0 offen offset:4
	ds_read_b64 v[142:143], v126
	s_waitcnt vmcnt(0) lgkmcnt(0)
	v_mul_f64 v[124:125], v[124:125], v[142:143]
	s_cbranch_execz .LBB60_470
	s_branch .LBB60_471
.LBB60_469:
                                        ; implicit-def: $vgpr124_vgpr125
.LBB60_470:
	ds_read_b64 v[124:125], v126
.LBB60_471:
	s_and_saveexec_b64 s[12:13], s[4:5]
	s_cbranch_execz .LBB60_475
; %bb.472:
	v_add_u32_e32 v141, -13, v0
	s_movk_i32 s14, 0x258
	s_mov_b64 s[4:5], 0
.LBB60_473:                             ; =>This Inner Loop Header: Depth=1
	buffer_load_dword v142, v140, s[0:3], 0 offen
	buffer_load_dword v143, v140, s[0:3], 0 offen offset:4
	v_mov_b32_e32 v144, s14
	ds_read_b64 v[144:145], v144
	v_add_u32_e32 v141, -1, v141
	s_add_i32 s14, s14, 8
	v_cmp_eq_u32_e32 vcc, 0, v141
	v_add_u32_e32 v140, 8, v140
	s_or_b64 s[4:5], vcc, s[4:5]
	s_waitcnt vmcnt(0) lgkmcnt(0)
	v_fmac_f64_e32 v[124:125], v[142:143], v[144:145]
	s_andn2_b64 exec, exec, s[4:5]
	s_cbranch_execnz .LBB60_473
; %bb.474:
	s_or_b64 exec, exec, s[4:5]
.LBB60_475:
	s_or_b64 exec, exec, s[12:13]
	v_mov_b32_e32 v140, 0
	ds_read_b64 v[140:141], v140 offset:96
	s_waitcnt lgkmcnt(0)
	v_mul_f64 v[124:125], v[124:125], v[140:141]
	buffer_store_dword v125, off, s[0:3], 0 offset:100
	buffer_store_dword v124, off, s[0:3], 0 offset:96
.LBB60_476:
	s_or_b64 exec, exec, s[10:11]
	buffer_load_dword v124, off, s[0:3], 0 offset:88
	buffer_load_dword v125, off, s[0:3], 0 offset:92
	v_cmp_lt_u32_e64 s[4:5], 11, v0
	s_waitcnt vmcnt(0)
	ds_write_b64 v126, v[124:125]
	s_waitcnt lgkmcnt(0)
	; wave barrier
	s_waitcnt lgkmcnt(0)
	s_and_saveexec_b64 s[10:11], s[4:5]
	s_cbranch_execz .LBB60_486
; %bb.477:
	s_andn2_b64 vcc, exec, s[8:9]
	s_cbranch_vccnz .LBB60_479
; %bb.478:
	buffer_load_dword v124, v127, s[0:3], 0 offen
	buffer_load_dword v125, v127, s[0:3], 0 offen offset:4
	ds_read_b64 v[140:141], v126
	s_waitcnt vmcnt(0) lgkmcnt(0)
	v_mul_f64 v[124:125], v[124:125], v[140:141]
	s_cbranch_execz .LBB60_480
	s_branch .LBB60_481
.LBB60_479:
                                        ; implicit-def: $vgpr124_vgpr125
.LBB60_480:
	ds_read_b64 v[124:125], v126
.LBB60_481:
	s_and_saveexec_b64 s[12:13], s[6:7]
	s_cbranch_execz .LBB60_485
; %bb.482:
	v_add_u32_e32 v140, -12, v0
	s_movk_i32 s14, 0x250
	s_mov_b64 s[6:7], 0
.LBB60_483:                             ; =>This Inner Loop Header: Depth=1
	buffer_load_dword v142, v139, s[0:3], 0 offen
	buffer_load_dword v143, v139, s[0:3], 0 offen offset:4
	v_mov_b32_e32 v141, s14
	ds_read_b64 v[144:145], v141
	v_add_u32_e32 v140, -1, v140
	s_add_i32 s14, s14, 8
	v_cmp_eq_u32_e32 vcc, 0, v140
	v_add_u32_e32 v139, 8, v139
	s_or_b64 s[6:7], vcc, s[6:7]
	s_waitcnt vmcnt(0) lgkmcnt(0)
	v_fmac_f64_e32 v[124:125], v[142:143], v[144:145]
	s_andn2_b64 exec, exec, s[6:7]
	s_cbranch_execnz .LBB60_483
; %bb.484:
	s_or_b64 exec, exec, s[6:7]
.LBB60_485:
	s_or_b64 exec, exec, s[12:13]
	v_mov_b32_e32 v139, 0
	ds_read_b64 v[140:141], v139 offset:88
	s_waitcnt lgkmcnt(0)
	v_mul_f64 v[124:125], v[124:125], v[140:141]
	buffer_store_dword v125, off, s[0:3], 0 offset:92
	buffer_store_dword v124, off, s[0:3], 0 offset:88
.LBB60_486:
	s_or_b64 exec, exec, s[10:11]
	buffer_load_dword v124, off, s[0:3], 0 offset:80
	buffer_load_dword v125, off, s[0:3], 0 offset:84
	v_cmp_lt_u32_e64 s[6:7], 10, v0
	s_waitcnt vmcnt(0)
	ds_write_b64 v126, v[124:125]
	s_waitcnt lgkmcnt(0)
	; wave barrier
	s_waitcnt lgkmcnt(0)
	s_and_saveexec_b64 s[10:11], s[6:7]
	s_cbranch_execz .LBB60_496
; %bb.487:
	s_andn2_b64 vcc, exec, s[8:9]
	s_cbranch_vccnz .LBB60_489
; %bb.488:
	buffer_load_dword v124, v127, s[0:3], 0 offen
	buffer_load_dword v125, v127, s[0:3], 0 offen offset:4
	ds_read_b64 v[140:141], v126
	s_waitcnt vmcnt(0) lgkmcnt(0)
	v_mul_f64 v[124:125], v[124:125], v[140:141]
	s_cbranch_execz .LBB60_490
	s_branch .LBB60_491
.LBB60_489:
                                        ; implicit-def: $vgpr124_vgpr125
.LBB60_490:
	ds_read_b64 v[124:125], v126
.LBB60_491:
	s_and_saveexec_b64 s[12:13], s[4:5]
	s_cbranch_execz .LBB60_495
; %bb.492:
	v_add_u32_e32 v139, -11, v0
	s_movk_i32 s14, 0x248
	s_mov_b64 s[4:5], 0
.LBB60_493:                             ; =>This Inner Loop Header: Depth=1
	buffer_load_dword v140, v138, s[0:3], 0 offen
	buffer_load_dword v141, v138, s[0:3], 0 offen offset:4
	v_mov_b32_e32 v142, s14
	ds_read_b64 v[142:143], v142
	v_add_u32_e32 v139, -1, v139
	s_add_i32 s14, s14, 8
	v_cmp_eq_u32_e32 vcc, 0, v139
	v_add_u32_e32 v138, 8, v138
	s_or_b64 s[4:5], vcc, s[4:5]
	s_waitcnt vmcnt(0) lgkmcnt(0)
	v_fmac_f64_e32 v[124:125], v[140:141], v[142:143]
	s_andn2_b64 exec, exec, s[4:5]
	s_cbranch_execnz .LBB60_493
; %bb.494:
	s_or_b64 exec, exec, s[4:5]
.LBB60_495:
	s_or_b64 exec, exec, s[12:13]
	v_mov_b32_e32 v138, 0
	ds_read_b64 v[138:139], v138 offset:80
	s_waitcnt lgkmcnt(0)
	v_mul_f64 v[124:125], v[124:125], v[138:139]
	buffer_store_dword v125, off, s[0:3], 0 offset:84
	buffer_store_dword v124, off, s[0:3], 0 offset:80
.LBB60_496:
	s_or_b64 exec, exec, s[10:11]
	buffer_load_dword v124, off, s[0:3], 0 offset:72
	buffer_load_dword v125, off, s[0:3], 0 offset:76
	v_cmp_lt_u32_e64 s[4:5], 9, v0
	s_waitcnt vmcnt(0)
	ds_write_b64 v126, v[124:125]
	s_waitcnt lgkmcnt(0)
	; wave barrier
	s_waitcnt lgkmcnt(0)
	s_and_saveexec_b64 s[10:11], s[4:5]
	s_cbranch_execz .LBB60_506
; %bb.497:
	s_andn2_b64 vcc, exec, s[8:9]
	s_cbranch_vccnz .LBB60_499
; %bb.498:
	buffer_load_dword v124, v127, s[0:3], 0 offen
	buffer_load_dword v125, v127, s[0:3], 0 offen offset:4
	ds_read_b64 v[138:139], v126
	s_waitcnt vmcnt(0) lgkmcnt(0)
	v_mul_f64 v[124:125], v[124:125], v[138:139]
	s_cbranch_execz .LBB60_500
	s_branch .LBB60_501
.LBB60_499:
                                        ; implicit-def: $vgpr124_vgpr125
.LBB60_500:
	ds_read_b64 v[124:125], v126
.LBB60_501:
	s_and_saveexec_b64 s[12:13], s[6:7]
	s_cbranch_execz .LBB60_505
; %bb.502:
	v_add_u32_e32 v138, -10, v0
	s_movk_i32 s14, 0x240
	s_mov_b64 s[6:7], 0
.LBB60_503:                             ; =>This Inner Loop Header: Depth=1
	buffer_load_dword v140, v137, s[0:3], 0 offen
	buffer_load_dword v141, v137, s[0:3], 0 offen offset:4
	v_mov_b32_e32 v139, s14
	ds_read_b64 v[142:143], v139
	v_add_u32_e32 v138, -1, v138
	s_add_i32 s14, s14, 8
	v_cmp_eq_u32_e32 vcc, 0, v138
	v_add_u32_e32 v137, 8, v137
	s_or_b64 s[6:7], vcc, s[6:7]
	s_waitcnt vmcnt(0) lgkmcnt(0)
	v_fmac_f64_e32 v[124:125], v[140:141], v[142:143]
	s_andn2_b64 exec, exec, s[6:7]
	s_cbranch_execnz .LBB60_503
; %bb.504:
	s_or_b64 exec, exec, s[6:7]
.LBB60_505:
	s_or_b64 exec, exec, s[12:13]
	v_mov_b32_e32 v137, 0
	ds_read_b64 v[138:139], v137 offset:72
	s_waitcnt lgkmcnt(0)
	v_mul_f64 v[124:125], v[124:125], v[138:139]
	buffer_store_dword v125, off, s[0:3], 0 offset:76
	buffer_store_dword v124, off, s[0:3], 0 offset:72
.LBB60_506:
	s_or_b64 exec, exec, s[10:11]
	buffer_load_dword v124, off, s[0:3], 0 offset:64
	buffer_load_dword v125, off, s[0:3], 0 offset:68
	v_cmp_lt_u32_e64 s[6:7], 8, v0
	s_waitcnt vmcnt(0)
	ds_write_b64 v126, v[124:125]
	s_waitcnt lgkmcnt(0)
	; wave barrier
	s_waitcnt lgkmcnt(0)
	s_and_saveexec_b64 s[10:11], s[6:7]
	s_cbranch_execz .LBB60_516
; %bb.507:
	s_andn2_b64 vcc, exec, s[8:9]
	s_cbranch_vccnz .LBB60_509
; %bb.508:
	buffer_load_dword v124, v127, s[0:3], 0 offen
	buffer_load_dword v125, v127, s[0:3], 0 offen offset:4
	ds_read_b64 v[138:139], v126
	s_waitcnt vmcnt(0) lgkmcnt(0)
	v_mul_f64 v[124:125], v[124:125], v[138:139]
	s_cbranch_execz .LBB60_510
	s_branch .LBB60_511
.LBB60_509:
                                        ; implicit-def: $vgpr124_vgpr125
.LBB60_510:
	ds_read_b64 v[124:125], v126
.LBB60_511:
	s_and_saveexec_b64 s[12:13], s[4:5]
	s_cbranch_execz .LBB60_515
; %bb.512:
	v_add_u32_e32 v137, -9, v0
	s_movk_i32 s14, 0x238
	s_mov_b64 s[4:5], 0
.LBB60_513:                             ; =>This Inner Loop Header: Depth=1
	buffer_load_dword v138, v136, s[0:3], 0 offen
	buffer_load_dword v139, v136, s[0:3], 0 offen offset:4
	v_mov_b32_e32 v140, s14
	ds_read_b64 v[140:141], v140
	v_add_u32_e32 v137, -1, v137
	s_add_i32 s14, s14, 8
	v_cmp_eq_u32_e32 vcc, 0, v137
	v_add_u32_e32 v136, 8, v136
	s_or_b64 s[4:5], vcc, s[4:5]
	s_waitcnt vmcnt(0) lgkmcnt(0)
	v_fmac_f64_e32 v[124:125], v[138:139], v[140:141]
	s_andn2_b64 exec, exec, s[4:5]
	s_cbranch_execnz .LBB60_513
; %bb.514:
	s_or_b64 exec, exec, s[4:5]
.LBB60_515:
	s_or_b64 exec, exec, s[12:13]
	v_mov_b32_e32 v136, 0
	ds_read_b64 v[136:137], v136 offset:64
	s_waitcnt lgkmcnt(0)
	v_mul_f64 v[124:125], v[124:125], v[136:137]
	buffer_store_dword v125, off, s[0:3], 0 offset:68
	buffer_store_dword v124, off, s[0:3], 0 offset:64
.LBB60_516:
	s_or_b64 exec, exec, s[10:11]
	buffer_load_dword v124, off, s[0:3], 0 offset:56
	buffer_load_dword v125, off, s[0:3], 0 offset:60
	v_cmp_lt_u32_e64 s[4:5], 7, v0
	s_waitcnt vmcnt(0)
	ds_write_b64 v126, v[124:125]
	s_waitcnt lgkmcnt(0)
	; wave barrier
	s_waitcnt lgkmcnt(0)
	s_and_saveexec_b64 s[10:11], s[4:5]
	s_cbranch_execz .LBB60_526
; %bb.517:
	s_andn2_b64 vcc, exec, s[8:9]
	s_cbranch_vccnz .LBB60_519
; %bb.518:
	buffer_load_dword v124, v127, s[0:3], 0 offen
	buffer_load_dword v125, v127, s[0:3], 0 offen offset:4
	ds_read_b64 v[136:137], v126
	s_waitcnt vmcnt(0) lgkmcnt(0)
	v_mul_f64 v[124:125], v[124:125], v[136:137]
	s_cbranch_execz .LBB60_520
	s_branch .LBB60_521
.LBB60_519:
                                        ; implicit-def: $vgpr124_vgpr125
.LBB60_520:
	ds_read_b64 v[124:125], v126
.LBB60_521:
	s_and_saveexec_b64 s[12:13], s[6:7]
	s_cbranch_execz .LBB60_525
; %bb.522:
	v_add_u32_e32 v136, -8, v0
	s_movk_i32 s14, 0x230
	s_mov_b64 s[6:7], 0
.LBB60_523:                             ; =>This Inner Loop Header: Depth=1
	buffer_load_dword v138, v135, s[0:3], 0 offen
	buffer_load_dword v139, v135, s[0:3], 0 offen offset:4
	v_mov_b32_e32 v137, s14
	ds_read_b64 v[140:141], v137
	v_add_u32_e32 v136, -1, v136
	s_add_i32 s14, s14, 8
	v_cmp_eq_u32_e32 vcc, 0, v136
	v_add_u32_e32 v135, 8, v135
	s_or_b64 s[6:7], vcc, s[6:7]
	s_waitcnt vmcnt(0) lgkmcnt(0)
	v_fmac_f64_e32 v[124:125], v[138:139], v[140:141]
	s_andn2_b64 exec, exec, s[6:7]
	s_cbranch_execnz .LBB60_523
; %bb.524:
	s_or_b64 exec, exec, s[6:7]
.LBB60_525:
	s_or_b64 exec, exec, s[12:13]
	v_mov_b32_e32 v135, 0
	ds_read_b64 v[136:137], v135 offset:56
	s_waitcnt lgkmcnt(0)
	v_mul_f64 v[124:125], v[124:125], v[136:137]
	buffer_store_dword v125, off, s[0:3], 0 offset:60
	buffer_store_dword v124, off, s[0:3], 0 offset:56
.LBB60_526:
	s_or_b64 exec, exec, s[10:11]
	buffer_load_dword v124, off, s[0:3], 0 offset:48
	buffer_load_dword v125, off, s[0:3], 0 offset:52
	v_cmp_lt_u32_e64 s[6:7], 6, v0
	s_waitcnt vmcnt(0)
	ds_write_b64 v126, v[124:125]
	s_waitcnt lgkmcnt(0)
	; wave barrier
	s_waitcnt lgkmcnt(0)
	s_and_saveexec_b64 s[10:11], s[6:7]
	s_cbranch_execz .LBB60_536
; %bb.527:
	s_andn2_b64 vcc, exec, s[8:9]
	s_cbranch_vccnz .LBB60_529
; %bb.528:
	buffer_load_dword v124, v127, s[0:3], 0 offen
	buffer_load_dword v125, v127, s[0:3], 0 offen offset:4
	ds_read_b64 v[136:137], v126
	s_waitcnt vmcnt(0) lgkmcnt(0)
	v_mul_f64 v[124:125], v[124:125], v[136:137]
	s_cbranch_execz .LBB60_530
	s_branch .LBB60_531
.LBB60_529:
                                        ; implicit-def: $vgpr124_vgpr125
.LBB60_530:
	ds_read_b64 v[124:125], v126
.LBB60_531:
	s_and_saveexec_b64 s[12:13], s[4:5]
	s_cbranch_execz .LBB60_535
; %bb.532:
	v_add_u32_e32 v135, -7, v0
	s_movk_i32 s14, 0x228
	s_mov_b64 s[4:5], 0
.LBB60_533:                             ; =>This Inner Loop Header: Depth=1
	buffer_load_dword v136, v134, s[0:3], 0 offen
	buffer_load_dword v137, v134, s[0:3], 0 offen offset:4
	v_mov_b32_e32 v138, s14
	ds_read_b64 v[138:139], v138
	v_add_u32_e32 v135, -1, v135
	s_add_i32 s14, s14, 8
	v_cmp_eq_u32_e32 vcc, 0, v135
	v_add_u32_e32 v134, 8, v134
	s_or_b64 s[4:5], vcc, s[4:5]
	s_waitcnt vmcnt(0) lgkmcnt(0)
	v_fmac_f64_e32 v[124:125], v[136:137], v[138:139]
	s_andn2_b64 exec, exec, s[4:5]
	s_cbranch_execnz .LBB60_533
; %bb.534:
	s_or_b64 exec, exec, s[4:5]
.LBB60_535:
	s_or_b64 exec, exec, s[12:13]
	v_mov_b32_e32 v134, 0
	ds_read_b64 v[134:135], v134 offset:48
	s_waitcnt lgkmcnt(0)
	v_mul_f64 v[124:125], v[124:125], v[134:135]
	buffer_store_dword v125, off, s[0:3], 0 offset:52
	buffer_store_dword v124, off, s[0:3], 0 offset:48
.LBB60_536:
	s_or_b64 exec, exec, s[10:11]
	buffer_load_dword v124, off, s[0:3], 0 offset:40
	buffer_load_dword v125, off, s[0:3], 0 offset:44
	v_cmp_lt_u32_e64 s[4:5], 5, v0
	s_waitcnt vmcnt(0)
	ds_write_b64 v126, v[124:125]
	s_waitcnt lgkmcnt(0)
	; wave barrier
	s_waitcnt lgkmcnt(0)
	s_and_saveexec_b64 s[10:11], s[4:5]
	s_cbranch_execz .LBB60_546
; %bb.537:
	s_andn2_b64 vcc, exec, s[8:9]
	s_cbranch_vccnz .LBB60_539
; %bb.538:
	buffer_load_dword v124, v127, s[0:3], 0 offen
	buffer_load_dword v125, v127, s[0:3], 0 offen offset:4
	ds_read_b64 v[134:135], v126
	s_waitcnt vmcnt(0) lgkmcnt(0)
	v_mul_f64 v[124:125], v[124:125], v[134:135]
	s_cbranch_execz .LBB60_540
	s_branch .LBB60_541
.LBB60_539:
                                        ; implicit-def: $vgpr124_vgpr125
.LBB60_540:
	ds_read_b64 v[124:125], v126
.LBB60_541:
	s_and_saveexec_b64 s[12:13], s[6:7]
	s_cbranch_execz .LBB60_545
; %bb.542:
	v_add_u32_e32 v134, -6, v0
	s_movk_i32 s14, 0x220
	s_mov_b64 s[6:7], 0
.LBB60_543:                             ; =>This Inner Loop Header: Depth=1
	buffer_load_dword v136, v133, s[0:3], 0 offen
	buffer_load_dword v137, v133, s[0:3], 0 offen offset:4
	v_mov_b32_e32 v135, s14
	ds_read_b64 v[138:139], v135
	v_add_u32_e32 v134, -1, v134
	s_add_i32 s14, s14, 8
	v_cmp_eq_u32_e32 vcc, 0, v134
	v_add_u32_e32 v133, 8, v133
	s_or_b64 s[6:7], vcc, s[6:7]
	s_waitcnt vmcnt(0) lgkmcnt(0)
	v_fmac_f64_e32 v[124:125], v[136:137], v[138:139]
	s_andn2_b64 exec, exec, s[6:7]
	s_cbranch_execnz .LBB60_543
; %bb.544:
	s_or_b64 exec, exec, s[6:7]
.LBB60_545:
	s_or_b64 exec, exec, s[12:13]
	v_mov_b32_e32 v133, 0
	ds_read_b64 v[134:135], v133 offset:40
	s_waitcnt lgkmcnt(0)
	v_mul_f64 v[124:125], v[124:125], v[134:135]
	buffer_store_dword v125, off, s[0:3], 0 offset:44
	buffer_store_dword v124, off, s[0:3], 0 offset:40
.LBB60_546:
	s_or_b64 exec, exec, s[10:11]
	buffer_load_dword v124, off, s[0:3], 0 offset:32
	buffer_load_dword v125, off, s[0:3], 0 offset:36
	v_cmp_lt_u32_e64 s[6:7], 4, v0
	s_waitcnt vmcnt(0)
	ds_write_b64 v126, v[124:125]
	s_waitcnt lgkmcnt(0)
	; wave barrier
	s_waitcnt lgkmcnt(0)
	s_and_saveexec_b64 s[10:11], s[6:7]
	s_cbranch_execz .LBB60_556
; %bb.547:
	s_andn2_b64 vcc, exec, s[8:9]
	s_cbranch_vccnz .LBB60_549
; %bb.548:
	buffer_load_dword v124, v127, s[0:3], 0 offen
	buffer_load_dword v125, v127, s[0:3], 0 offen offset:4
	ds_read_b64 v[134:135], v126
	s_waitcnt vmcnt(0) lgkmcnt(0)
	v_mul_f64 v[124:125], v[124:125], v[134:135]
	s_cbranch_execz .LBB60_550
	s_branch .LBB60_551
.LBB60_549:
                                        ; implicit-def: $vgpr124_vgpr125
.LBB60_550:
	ds_read_b64 v[124:125], v126
.LBB60_551:
	s_and_saveexec_b64 s[12:13], s[4:5]
	s_cbranch_execz .LBB60_555
; %bb.552:
	v_add_u32_e32 v133, -5, v0
	s_movk_i32 s14, 0x218
	s_mov_b64 s[4:5], 0
.LBB60_553:                             ; =>This Inner Loop Header: Depth=1
	buffer_load_dword v134, v132, s[0:3], 0 offen
	buffer_load_dword v135, v132, s[0:3], 0 offen offset:4
	v_mov_b32_e32 v136, s14
	ds_read_b64 v[136:137], v136
	v_add_u32_e32 v133, -1, v133
	s_add_i32 s14, s14, 8
	v_cmp_eq_u32_e32 vcc, 0, v133
	v_add_u32_e32 v132, 8, v132
	s_or_b64 s[4:5], vcc, s[4:5]
	s_waitcnt vmcnt(0) lgkmcnt(0)
	v_fmac_f64_e32 v[124:125], v[134:135], v[136:137]
	s_andn2_b64 exec, exec, s[4:5]
	s_cbranch_execnz .LBB60_553
; %bb.554:
	s_or_b64 exec, exec, s[4:5]
.LBB60_555:
	s_or_b64 exec, exec, s[12:13]
	v_mov_b32_e32 v132, 0
	ds_read_b64 v[132:133], v132 offset:32
	s_waitcnt lgkmcnt(0)
	v_mul_f64 v[124:125], v[124:125], v[132:133]
	buffer_store_dword v125, off, s[0:3], 0 offset:36
	buffer_store_dword v124, off, s[0:3], 0 offset:32
.LBB60_556:
	s_or_b64 exec, exec, s[10:11]
	buffer_load_dword v124, off, s[0:3], 0 offset:24
	buffer_load_dword v125, off, s[0:3], 0 offset:28
	v_cmp_lt_u32_e64 s[4:5], 3, v0
	s_waitcnt vmcnt(0)
	ds_write_b64 v126, v[124:125]
	s_waitcnt lgkmcnt(0)
	; wave barrier
	s_waitcnt lgkmcnt(0)
	s_and_saveexec_b64 s[10:11], s[4:5]
	s_cbranch_execz .LBB60_566
; %bb.557:
	s_andn2_b64 vcc, exec, s[8:9]
	s_cbranch_vccnz .LBB60_559
; %bb.558:
	buffer_load_dword v124, v127, s[0:3], 0 offen
	buffer_load_dword v125, v127, s[0:3], 0 offen offset:4
	ds_read_b64 v[132:133], v126
	s_waitcnt vmcnt(0) lgkmcnt(0)
	v_mul_f64 v[124:125], v[124:125], v[132:133]
	s_cbranch_execz .LBB60_560
	s_branch .LBB60_561
.LBB60_559:
                                        ; implicit-def: $vgpr124_vgpr125
.LBB60_560:
	ds_read_b64 v[124:125], v126
.LBB60_561:
	s_and_saveexec_b64 s[12:13], s[6:7]
	s_cbranch_execz .LBB60_565
; %bb.562:
	v_add_u32_e32 v132, -4, v0
	s_movk_i32 s14, 0x210
	s_mov_b64 s[6:7], 0
.LBB60_563:                             ; =>This Inner Loop Header: Depth=1
	buffer_load_dword v134, v131, s[0:3], 0 offen
	buffer_load_dword v135, v131, s[0:3], 0 offen offset:4
	v_mov_b32_e32 v133, s14
	ds_read_b64 v[136:137], v133
	v_add_u32_e32 v132, -1, v132
	s_add_i32 s14, s14, 8
	v_cmp_eq_u32_e32 vcc, 0, v132
	v_add_u32_e32 v131, 8, v131
	s_or_b64 s[6:7], vcc, s[6:7]
	s_waitcnt vmcnt(0) lgkmcnt(0)
	v_fmac_f64_e32 v[124:125], v[134:135], v[136:137]
	s_andn2_b64 exec, exec, s[6:7]
	s_cbranch_execnz .LBB60_563
; %bb.564:
	s_or_b64 exec, exec, s[6:7]
.LBB60_565:
	s_or_b64 exec, exec, s[12:13]
	v_mov_b32_e32 v131, 0
	ds_read_b64 v[132:133], v131 offset:24
	s_waitcnt lgkmcnt(0)
	v_mul_f64 v[124:125], v[124:125], v[132:133]
	buffer_store_dword v125, off, s[0:3], 0 offset:28
	buffer_store_dword v124, off, s[0:3], 0 offset:24
.LBB60_566:
	s_or_b64 exec, exec, s[10:11]
	buffer_load_dword v124, off, s[0:3], 0 offset:16
	buffer_load_dword v125, off, s[0:3], 0 offset:20
	v_cmp_lt_u32_e64 s[6:7], 2, v0
	s_waitcnt vmcnt(0)
	ds_write_b64 v126, v[124:125]
	s_waitcnt lgkmcnt(0)
	; wave barrier
	s_waitcnt lgkmcnt(0)
	s_and_saveexec_b64 s[10:11], s[6:7]
	s_cbranch_execz .LBB60_576
; %bb.567:
	s_andn2_b64 vcc, exec, s[8:9]
	s_cbranch_vccnz .LBB60_569
; %bb.568:
	buffer_load_dword v124, v127, s[0:3], 0 offen
	buffer_load_dword v125, v127, s[0:3], 0 offen offset:4
	ds_read_b64 v[132:133], v126
	s_waitcnt vmcnt(0) lgkmcnt(0)
	v_mul_f64 v[124:125], v[124:125], v[132:133]
	s_cbranch_execz .LBB60_570
	s_branch .LBB60_571
.LBB60_569:
                                        ; implicit-def: $vgpr124_vgpr125
.LBB60_570:
	ds_read_b64 v[124:125], v126
.LBB60_571:
	s_and_saveexec_b64 s[12:13], s[4:5]
	s_cbranch_execz .LBB60_575
; %bb.572:
	v_add_u32_e32 v131, -3, v0
	s_movk_i32 s14, 0x208
	s_mov_b64 s[4:5], 0
.LBB60_573:                             ; =>This Inner Loop Header: Depth=1
	buffer_load_dword v132, v130, s[0:3], 0 offen
	buffer_load_dword v133, v130, s[0:3], 0 offen offset:4
	v_mov_b32_e32 v134, s14
	ds_read_b64 v[134:135], v134
	v_add_u32_e32 v131, -1, v131
	s_add_i32 s14, s14, 8
	v_cmp_eq_u32_e32 vcc, 0, v131
	v_add_u32_e32 v130, 8, v130
	s_or_b64 s[4:5], vcc, s[4:5]
	s_waitcnt vmcnt(0) lgkmcnt(0)
	v_fmac_f64_e32 v[124:125], v[132:133], v[134:135]
	s_andn2_b64 exec, exec, s[4:5]
	s_cbranch_execnz .LBB60_573
; %bb.574:
	s_or_b64 exec, exec, s[4:5]
.LBB60_575:
	s_or_b64 exec, exec, s[12:13]
	v_mov_b32_e32 v130, 0
	ds_read_b64 v[130:131], v130 offset:16
	s_waitcnt lgkmcnt(0)
	v_mul_f64 v[124:125], v[124:125], v[130:131]
	buffer_store_dword v125, off, s[0:3], 0 offset:20
	buffer_store_dword v124, off, s[0:3], 0 offset:16
.LBB60_576:
	s_or_b64 exec, exec, s[10:11]
	buffer_load_dword v124, off, s[0:3], 0 offset:8
	buffer_load_dword v125, off, s[0:3], 0 offset:12
	v_cmp_lt_u32_e64 s[4:5], 1, v0
	s_waitcnt vmcnt(0)
	ds_write_b64 v126, v[124:125]
	s_waitcnt lgkmcnt(0)
	; wave barrier
	s_waitcnt lgkmcnt(0)
	s_and_saveexec_b64 s[10:11], s[4:5]
	s_cbranch_execz .LBB60_586
; %bb.577:
	s_andn2_b64 vcc, exec, s[8:9]
	s_cbranch_vccnz .LBB60_579
; %bb.578:
	buffer_load_dword v124, v127, s[0:3], 0 offen
	buffer_load_dword v125, v127, s[0:3], 0 offen offset:4
	ds_read_b64 v[130:131], v126
	s_waitcnt vmcnt(0) lgkmcnt(0)
	v_mul_f64 v[124:125], v[124:125], v[130:131]
	s_cbranch_execz .LBB60_580
	s_branch .LBB60_581
.LBB60_579:
                                        ; implicit-def: $vgpr124_vgpr125
.LBB60_580:
	ds_read_b64 v[124:125], v126
.LBB60_581:
	s_and_saveexec_b64 s[12:13], s[6:7]
	s_cbranch_execz .LBB60_585
; %bb.582:
	v_add_u32_e32 v130, -2, v0
	s_movk_i32 s14, 0x200
	s_mov_b64 s[6:7], 0
.LBB60_583:                             ; =>This Inner Loop Header: Depth=1
	buffer_load_dword v132, v129, s[0:3], 0 offen
	buffer_load_dword v133, v129, s[0:3], 0 offen offset:4
	v_mov_b32_e32 v131, s14
	ds_read_b64 v[134:135], v131
	v_add_u32_e32 v130, -1, v130
	s_add_i32 s14, s14, 8
	v_cmp_eq_u32_e32 vcc, 0, v130
	v_add_u32_e32 v129, 8, v129
	s_or_b64 s[6:7], vcc, s[6:7]
	s_waitcnt vmcnt(0) lgkmcnt(0)
	v_fmac_f64_e32 v[124:125], v[132:133], v[134:135]
	s_andn2_b64 exec, exec, s[6:7]
	s_cbranch_execnz .LBB60_583
; %bb.584:
	s_or_b64 exec, exec, s[6:7]
.LBB60_585:
	s_or_b64 exec, exec, s[12:13]
	v_mov_b32_e32 v129, 0
	ds_read_b64 v[130:131], v129 offset:8
	s_waitcnt lgkmcnt(0)
	v_mul_f64 v[124:125], v[124:125], v[130:131]
	buffer_store_dword v125, off, s[0:3], 0 offset:12
	buffer_store_dword v124, off, s[0:3], 0 offset:8
.LBB60_586:
	s_or_b64 exec, exec, s[10:11]
	buffer_load_dword v124, off, s[0:3], 0
	buffer_load_dword v125, off, s[0:3], 0 offset:4
	v_cmp_ne_u32_e32 vcc, 0, v0
	s_waitcnt vmcnt(0)
	ds_write_b64 v126, v[124:125]
	s_waitcnt lgkmcnt(0)
	; wave barrier
	s_waitcnt lgkmcnt(0)
	s_and_saveexec_b64 s[6:7], vcc
	s_cbranch_execz .LBB60_596
; %bb.587:
	s_andn2_b64 vcc, exec, s[8:9]
	s_cbranch_vccnz .LBB60_589
; %bb.588:
	buffer_load_dword v124, v127, s[0:3], 0 offen
	buffer_load_dword v125, v127, s[0:3], 0 offen offset:4
	ds_read_b64 v[130:131], v126
	s_waitcnt vmcnt(0) lgkmcnt(0)
	v_mul_f64 v[124:125], v[124:125], v[130:131]
	s_cbranch_execz .LBB60_590
	s_branch .LBB60_591
.LBB60_589:
                                        ; implicit-def: $vgpr124_vgpr125
.LBB60_590:
	ds_read_b64 v[124:125], v126
.LBB60_591:
	s_and_saveexec_b64 s[10:11], s[4:5]
	s_cbranch_execz .LBB60_595
; %bb.592:
	v_add_u32_e32 v129, -1, v0
	s_movk_i32 s12, 0x1f8
	s_mov_b64 s[4:5], 0
.LBB60_593:                             ; =>This Inner Loop Header: Depth=1
	buffer_load_dword v130, v128, s[0:3], 0 offen
	buffer_load_dword v131, v128, s[0:3], 0 offen offset:4
	v_mov_b32_e32 v132, s12
	ds_read_b64 v[132:133], v132
	v_add_u32_e32 v129, -1, v129
	s_add_i32 s12, s12, 8
	v_cmp_eq_u32_e32 vcc, 0, v129
	v_add_u32_e32 v128, 8, v128
	s_or_b64 s[4:5], vcc, s[4:5]
	s_waitcnt vmcnt(0) lgkmcnt(0)
	v_fmac_f64_e32 v[124:125], v[130:131], v[132:133]
	s_andn2_b64 exec, exec, s[4:5]
	s_cbranch_execnz .LBB60_593
; %bb.594:
	s_or_b64 exec, exec, s[4:5]
.LBB60_595:
	s_or_b64 exec, exec, s[10:11]
	v_mov_b32_e32 v128, 0
	ds_read_b64 v[128:129], v128
	s_waitcnt lgkmcnt(0)
	v_mul_f64 v[124:125], v[124:125], v[128:129]
	buffer_store_dword v125, off, s[0:3], 0 offset:4
	buffer_store_dword v124, off, s[0:3], 0
.LBB60_596:
	s_or_b64 exec, exec, s[6:7]
	s_mov_b64 s[4:5], 0
.LBB60_597:
	s_and_b64 vcc, exec, s[4:5]
	s_cbranch_vccz .LBB60_1191
; %bb.598:
	buffer_load_dword v124, off, s[0:3], 0 offset:8
	buffer_load_dword v125, off, s[0:3], 0 offset:12
	v_cmp_eq_u32_e64 s[6:7], 0, v0
	s_waitcnt vmcnt(0)
	ds_write_b64 v126, v[124:125]
	s_waitcnt lgkmcnt(0)
	; wave barrier
	s_waitcnt lgkmcnt(0)
	s_and_saveexec_b64 s[4:5], s[6:7]
	s_cbranch_execz .LBB60_604
; %bb.599:
	s_and_b64 vcc, exec, s[8:9]
	s_cbranch_vccz .LBB60_601
; %bb.600:
	buffer_load_dword v124, v127, s[0:3], 0 offen
	buffer_load_dword v125, v127, s[0:3], 0 offen offset:4
	ds_read_b64 v[128:129], v126
	s_waitcnt vmcnt(0) lgkmcnt(0)
	v_mul_f64 v[124:125], v[124:125], v[128:129]
	s_cbranch_execz .LBB60_602
	s_branch .LBB60_603
.LBB60_601:
                                        ; implicit-def: $vgpr124_vgpr125
.LBB60_602:
	ds_read_b64 v[124:125], v126
.LBB60_603:
	v_mov_b32_e32 v128, 0
	ds_read_b64 v[128:129], v128 offset:8
	s_waitcnt lgkmcnt(0)
	v_mul_f64 v[124:125], v[124:125], v[128:129]
	buffer_store_dword v125, off, s[0:3], 0 offset:12
	buffer_store_dword v124, off, s[0:3], 0 offset:8
.LBB60_604:
	s_or_b64 exec, exec, s[4:5]
	buffer_load_dword v124, off, s[0:3], 0 offset:16
	buffer_load_dword v125, off, s[0:3], 0 offset:20
	v_cndmask_b32_e64 v128, 0, 1, s[8:9]
	v_cmp_gt_u32_e32 vcc, 2, v0
	v_cmp_ne_u32_e64 s[4:5], 1, v128
	s_waitcnt vmcnt(0)
	ds_write_b64 v126, v[124:125]
	s_waitcnt lgkmcnt(0)
	; wave barrier
	s_waitcnt lgkmcnt(0)
	s_and_saveexec_b64 s[8:9], vcc
	s_cbranch_execz .LBB60_612
; %bb.605:
	s_and_b64 vcc, exec, s[4:5]
	s_cbranch_vccnz .LBB60_607
; %bb.606:
	buffer_load_dword v124, v127, s[0:3], 0 offen
	buffer_load_dword v125, v127, s[0:3], 0 offen offset:4
	ds_read_b64 v[128:129], v126
	s_waitcnt vmcnt(0) lgkmcnt(0)
	v_mul_f64 v[124:125], v[124:125], v[128:129]
	s_cbranch_execz .LBB60_608
	s_branch .LBB60_609
.LBB60_607:
                                        ; implicit-def: $vgpr124_vgpr125
.LBB60_608:
	ds_read_b64 v[124:125], v126
.LBB60_609:
	s_and_saveexec_b64 s[10:11], s[6:7]
	s_cbranch_execz .LBB60_611
; %bb.610:
	buffer_load_dword v128, v127, s[0:3], 0 offen offset:8
	buffer_load_dword v129, v127, s[0:3], 0 offen offset:12
	ds_read_b64 v[130:131], v126 offset:8
	s_waitcnt vmcnt(0) lgkmcnt(0)
	v_fmac_f64_e32 v[124:125], v[128:129], v[130:131]
.LBB60_611:
	s_or_b64 exec, exec, s[10:11]
	v_mov_b32_e32 v128, 0
	ds_read_b64 v[128:129], v128 offset:16
	s_waitcnt lgkmcnt(0)
	v_mul_f64 v[124:125], v[124:125], v[128:129]
	buffer_store_dword v125, off, s[0:3], 0 offset:20
	buffer_store_dword v124, off, s[0:3], 0 offset:16
.LBB60_612:
	s_or_b64 exec, exec, s[8:9]
	buffer_load_dword v124, off, s[0:3], 0 offset:24
	buffer_load_dword v125, off, s[0:3], 0 offset:28
	v_cmp_gt_u32_e32 vcc, 3, v0
	s_waitcnt vmcnt(0)
	ds_write_b64 v126, v[124:125]
	s_waitcnt lgkmcnt(0)
	; wave barrier
	s_waitcnt lgkmcnt(0)
	s_and_saveexec_b64 s[8:9], vcc
	s_cbranch_execz .LBB60_620
; %bb.613:
	s_and_b64 vcc, exec, s[4:5]
	s_cbranch_vccnz .LBB60_615
; %bb.614:
	buffer_load_dword v124, v127, s[0:3], 0 offen
	buffer_load_dword v125, v127, s[0:3], 0 offen offset:4
	ds_read_b64 v[128:129], v126
	s_waitcnt vmcnt(0) lgkmcnt(0)
	v_mul_f64 v[124:125], v[124:125], v[128:129]
	s_cbranch_execz .LBB60_616
	s_branch .LBB60_617
.LBB60_615:
                                        ; implicit-def: $vgpr124_vgpr125
.LBB60_616:
	ds_read_b64 v[124:125], v126
.LBB60_617:
	v_cmp_ne_u32_e32 vcc, 2, v0
	s_and_saveexec_b64 s[10:11], vcc
	s_cbranch_execz .LBB60_619
; %bb.618:
	buffer_load_dword v129, v127, s[0:3], 0 offen offset:12
	buffer_load_dword v130, off, s[0:3], 0 offset:16
	buffer_load_dword v128, v127, s[0:3], 0 offen offset:8
	buffer_load_dword v131, off, s[0:3], 0 offset:20
	v_mov_b32_e32 v134, 0
	ds_read_b64 v[132:133], v126 offset:8
	ds_read_b64 v[134:135], v134 offset:512
	s_waitcnt vmcnt(1) lgkmcnt(1)
	v_fmac_f64_e32 v[124:125], v[128:129], v[132:133]
	s_waitcnt vmcnt(0) lgkmcnt(0)
	v_fma_f64 v[128:129], v[130:131], v[134:135], v[124:125]
	v_cndmask_b32_e64 v125, v125, v129, s[6:7]
	v_cndmask_b32_e64 v124, v124, v128, s[6:7]
.LBB60_619:
	s_or_b64 exec, exec, s[10:11]
	v_mov_b32_e32 v128, 0
	ds_read_b64 v[128:129], v128 offset:24
	s_waitcnt lgkmcnt(0)
	v_mul_f64 v[124:125], v[124:125], v[128:129]
	buffer_store_dword v125, off, s[0:3], 0 offset:28
	buffer_store_dword v124, off, s[0:3], 0 offset:24
.LBB60_620:
	s_or_b64 exec, exec, s[8:9]
	buffer_load_dword v124, off, s[0:3], 0 offset:32
	buffer_load_dword v125, off, s[0:3], 0 offset:36
	v_cmp_gt_u32_e32 vcc, 4, v0
	s_waitcnt vmcnt(0)
	ds_write_b64 v126, v[124:125]
	s_waitcnt lgkmcnt(0)
	; wave barrier
	s_waitcnt lgkmcnt(0)
	s_and_saveexec_b64 s[6:7], vcc
	s_cbranch_execz .LBB60_630
; %bb.621:
	s_and_b64 vcc, exec, s[4:5]
	s_cbranch_vccnz .LBB60_623
; %bb.622:
	buffer_load_dword v124, v127, s[0:3], 0 offen
	buffer_load_dword v125, v127, s[0:3], 0 offen offset:4
	ds_read_b64 v[128:129], v126
	s_waitcnt vmcnt(0) lgkmcnt(0)
	v_mul_f64 v[124:125], v[124:125], v[128:129]
	s_cbranch_execz .LBB60_624
	s_branch .LBB60_625
.LBB60_623:
                                        ; implicit-def: $vgpr124_vgpr125
.LBB60_624:
	ds_read_b64 v[124:125], v126
.LBB60_625:
	v_cmp_ne_u32_e32 vcc, 3, v0
	s_and_saveexec_b64 s[8:9], vcc
	s_cbranch_execz .LBB60_629
; %bb.626:
	v_mov_b32_e32 v129, 0
	v_add_u32_e32 v128, 0x1f8, v1
	v_add3_u32 v129, v1, v129, 8
	s_mov_b64 s[10:11], 0
	v_mov_b32_e32 v130, v0
.LBB60_627:                             ; =>This Inner Loop Header: Depth=1
	buffer_load_dword v132, v129, s[0:3], 0 offen
	buffer_load_dword v133, v129, s[0:3], 0 offen offset:4
	ds_read_b64 v[134:135], v128
	v_add_u32_e32 v130, 1, v130
	v_cmp_lt_u32_e32 vcc, 2, v130
	v_add_u32_e32 v128, 8, v128
	v_add_u32_e32 v129, 8, v129
	s_or_b64 s[10:11], vcc, s[10:11]
	s_waitcnt vmcnt(0) lgkmcnt(0)
	v_fmac_f64_e32 v[124:125], v[132:133], v[134:135]
	s_andn2_b64 exec, exec, s[10:11]
	s_cbranch_execnz .LBB60_627
; %bb.628:
	s_or_b64 exec, exec, s[10:11]
.LBB60_629:
	s_or_b64 exec, exec, s[8:9]
	v_mov_b32_e32 v128, 0
	ds_read_b64 v[128:129], v128 offset:32
	s_waitcnt lgkmcnt(0)
	v_mul_f64 v[124:125], v[124:125], v[128:129]
	buffer_store_dword v125, off, s[0:3], 0 offset:36
	buffer_store_dword v124, off, s[0:3], 0 offset:32
.LBB60_630:
	s_or_b64 exec, exec, s[6:7]
	buffer_load_dword v124, off, s[0:3], 0 offset:40
	buffer_load_dword v125, off, s[0:3], 0 offset:44
	v_cmp_gt_u32_e32 vcc, 5, v0
	s_waitcnt vmcnt(0)
	ds_write_b64 v126, v[124:125]
	s_waitcnt lgkmcnt(0)
	; wave barrier
	s_waitcnt lgkmcnt(0)
	s_and_saveexec_b64 s[6:7], vcc
	s_cbranch_execz .LBB60_640
; %bb.631:
	s_and_b64 vcc, exec, s[4:5]
	s_cbranch_vccnz .LBB60_633
; %bb.632:
	buffer_load_dword v124, v127, s[0:3], 0 offen
	buffer_load_dword v125, v127, s[0:3], 0 offen offset:4
	ds_read_b64 v[128:129], v126
	s_waitcnt vmcnt(0) lgkmcnt(0)
	v_mul_f64 v[124:125], v[124:125], v[128:129]
	s_cbranch_execz .LBB60_634
	s_branch .LBB60_635
.LBB60_633:
                                        ; implicit-def: $vgpr124_vgpr125
.LBB60_634:
	ds_read_b64 v[124:125], v126
.LBB60_635:
	v_cmp_ne_u32_e32 vcc, 4, v0
	s_and_saveexec_b64 s[8:9], vcc
	s_cbranch_execz .LBB60_639
; %bb.636:
	v_mov_b32_e32 v129, 0
	v_add_u32_e32 v128, 0x1f8, v1
	v_add3_u32 v129, v1, v129, 8
	s_mov_b64 s[10:11], 0
	v_mov_b32_e32 v130, v0
.LBB60_637:                             ; =>This Inner Loop Header: Depth=1
	buffer_load_dword v132, v129, s[0:3], 0 offen
	buffer_load_dword v133, v129, s[0:3], 0 offen offset:4
	ds_read_b64 v[134:135], v128
	v_add_u32_e32 v130, 1, v130
	v_cmp_lt_u32_e32 vcc, 3, v130
	v_add_u32_e32 v128, 8, v128
	v_add_u32_e32 v129, 8, v129
	s_or_b64 s[10:11], vcc, s[10:11]
	s_waitcnt vmcnt(0) lgkmcnt(0)
	v_fmac_f64_e32 v[124:125], v[132:133], v[134:135]
	s_andn2_b64 exec, exec, s[10:11]
	s_cbranch_execnz .LBB60_637
; %bb.638:
	s_or_b64 exec, exec, s[10:11]
.LBB60_639:
	s_or_b64 exec, exec, s[8:9]
	v_mov_b32_e32 v128, 0
	ds_read_b64 v[128:129], v128 offset:40
	s_waitcnt lgkmcnt(0)
	v_mul_f64 v[124:125], v[124:125], v[128:129]
	buffer_store_dword v125, off, s[0:3], 0 offset:44
	buffer_store_dword v124, off, s[0:3], 0 offset:40
.LBB60_640:
	;; [unrolled: 60-line block ×38, first 2 shown]
	s_or_b64 exec, exec, s[6:7]
	buffer_load_dword v124, off, s[0:3], 0 offset:336
	buffer_load_dword v125, off, s[0:3], 0 offset:340
	v_cmp_gt_u32_e32 vcc, 42, v0
	s_waitcnt vmcnt(0)
	ds_write_b64 v126, v[124:125]
	s_waitcnt lgkmcnt(0)
	; wave barrier
	s_waitcnt lgkmcnt(0)
	s_and_saveexec_b64 s[6:7], vcc
	s_cbranch_execz .LBB60_1010
; %bb.1001:
	s_and_b64 vcc, exec, s[4:5]
	s_cbranch_vccnz .LBB60_1003
; %bb.1002:
	buffer_load_dword v124, v127, s[0:3], 0 offen
	buffer_load_dword v125, v127, s[0:3], 0 offen offset:4
	ds_read_b64 v[128:129], v126
	s_waitcnt vmcnt(0) lgkmcnt(0)
	v_mul_f64 v[124:125], v[124:125], v[128:129]
	s_cbranch_execz .LBB60_1004
	s_branch .LBB60_1005
.LBB60_1003:
                                        ; implicit-def: $vgpr124_vgpr125
.LBB60_1004:
	ds_read_b64 v[124:125], v126
.LBB60_1005:
	v_cmp_ne_u32_e32 vcc, 41, v0
	s_and_saveexec_b64 s[8:9], vcc
	s_cbranch_execz .LBB60_1009
; %bb.1006:
	v_mov_b32_e32 v129, 0
	v_add_u32_e32 v128, 0x1f8, v1
	v_add3_u32 v129, v1, v129, 8
	s_mov_b64 s[10:11], 0
	v_mov_b32_e32 v130, v0
.LBB60_1007:                            ; =>This Inner Loop Header: Depth=1
	buffer_load_dword v132, v129, s[0:3], 0 offen
	buffer_load_dword v133, v129, s[0:3], 0 offen offset:4
	ds_read_b64 v[134:135], v128
	v_add_u32_e32 v130, 1, v130
	v_cmp_lt_u32_e32 vcc, 40, v130
	v_add_u32_e32 v128, 8, v128
	v_add_u32_e32 v129, 8, v129
	s_or_b64 s[10:11], vcc, s[10:11]
	s_waitcnt vmcnt(0) lgkmcnt(0)
	v_fmac_f64_e32 v[124:125], v[132:133], v[134:135]
	s_andn2_b64 exec, exec, s[10:11]
	s_cbranch_execnz .LBB60_1007
; %bb.1008:
	s_or_b64 exec, exec, s[10:11]
.LBB60_1009:
	s_or_b64 exec, exec, s[8:9]
	v_mov_b32_e32 v128, 0
	ds_read_b64 v[128:129], v128 offset:336
	s_waitcnt lgkmcnt(0)
	v_mul_f64 v[124:125], v[124:125], v[128:129]
	buffer_store_dword v125, off, s[0:3], 0 offset:340
	buffer_store_dword v124, off, s[0:3], 0 offset:336
.LBB60_1010:
	s_or_b64 exec, exec, s[6:7]
	buffer_load_dword v124, off, s[0:3], 0 offset:344
	buffer_load_dword v125, off, s[0:3], 0 offset:348
	v_cmp_gt_u32_e32 vcc, 43, v0
	s_waitcnt vmcnt(0)
	ds_write_b64 v126, v[124:125]
	s_waitcnt lgkmcnt(0)
	; wave barrier
	s_waitcnt lgkmcnt(0)
	s_and_saveexec_b64 s[6:7], vcc
	s_cbranch_execz .LBB60_1020
; %bb.1011:
	s_and_b64 vcc, exec, s[4:5]
	s_cbranch_vccnz .LBB60_1013
; %bb.1012:
	buffer_load_dword v124, v127, s[0:3], 0 offen
	buffer_load_dword v125, v127, s[0:3], 0 offen offset:4
	ds_read_b64 v[128:129], v126
	s_waitcnt vmcnt(0) lgkmcnt(0)
	v_mul_f64 v[124:125], v[124:125], v[128:129]
	s_cbranch_execz .LBB60_1014
	s_branch .LBB60_1015
.LBB60_1013:
                                        ; implicit-def: $vgpr124_vgpr125
.LBB60_1014:
	ds_read_b64 v[124:125], v126
.LBB60_1015:
	v_cmp_ne_u32_e32 vcc, 42, v0
	s_and_saveexec_b64 s[8:9], vcc
	s_cbranch_execz .LBB60_1019
; %bb.1016:
	v_mov_b32_e32 v129, 0
	v_add_u32_e32 v128, 0x1f8, v1
	v_add3_u32 v129, v1, v129, 8
	s_mov_b64 s[10:11], 0
	v_mov_b32_e32 v130, v0
.LBB60_1017:                            ; =>This Inner Loop Header: Depth=1
	buffer_load_dword v132, v129, s[0:3], 0 offen
	buffer_load_dword v133, v129, s[0:3], 0 offen offset:4
	ds_read_b64 v[134:135], v128
	v_add_u32_e32 v130, 1, v130
	v_cmp_lt_u32_e32 vcc, 41, v130
	v_add_u32_e32 v128, 8, v128
	v_add_u32_e32 v129, 8, v129
	s_or_b64 s[10:11], vcc, s[10:11]
	s_waitcnt vmcnt(0) lgkmcnt(0)
	v_fmac_f64_e32 v[124:125], v[132:133], v[134:135]
	s_andn2_b64 exec, exec, s[10:11]
	s_cbranch_execnz .LBB60_1017
; %bb.1018:
	s_or_b64 exec, exec, s[10:11]
.LBB60_1019:
	s_or_b64 exec, exec, s[8:9]
	v_mov_b32_e32 v128, 0
	ds_read_b64 v[128:129], v128 offset:344
	s_waitcnt lgkmcnt(0)
	v_mul_f64 v[124:125], v[124:125], v[128:129]
	buffer_store_dword v125, off, s[0:3], 0 offset:348
	buffer_store_dword v124, off, s[0:3], 0 offset:344
.LBB60_1020:
	s_or_b64 exec, exec, s[6:7]
	buffer_load_dword v124, off, s[0:3], 0 offset:352
	buffer_load_dword v125, off, s[0:3], 0 offset:356
	v_cmp_gt_u32_e32 vcc, 44, v0
	s_waitcnt vmcnt(0)
	ds_write_b64 v126, v[124:125]
	s_waitcnt lgkmcnt(0)
	; wave barrier
	s_waitcnt lgkmcnt(0)
	s_and_saveexec_b64 s[6:7], vcc
	s_cbranch_execz .LBB60_1030
; %bb.1021:
	s_and_b64 vcc, exec, s[4:5]
	s_cbranch_vccnz .LBB60_1023
; %bb.1022:
	buffer_load_dword v124, v127, s[0:3], 0 offen
	buffer_load_dword v125, v127, s[0:3], 0 offen offset:4
	ds_read_b64 v[128:129], v126
	s_waitcnt vmcnt(0) lgkmcnt(0)
	v_mul_f64 v[124:125], v[124:125], v[128:129]
	s_cbranch_execz .LBB60_1024
	s_branch .LBB60_1025
.LBB60_1023:
                                        ; implicit-def: $vgpr124_vgpr125
.LBB60_1024:
	ds_read_b64 v[124:125], v126
.LBB60_1025:
	v_cmp_ne_u32_e32 vcc, 43, v0
	s_and_saveexec_b64 s[8:9], vcc
	s_cbranch_execz .LBB60_1029
; %bb.1026:
	v_mov_b32_e32 v129, 0
	v_add_u32_e32 v128, 0x1f8, v1
	v_add3_u32 v129, v1, v129, 8
	s_mov_b64 s[10:11], 0
	v_mov_b32_e32 v130, v0
.LBB60_1027:                            ; =>This Inner Loop Header: Depth=1
	buffer_load_dword v132, v129, s[0:3], 0 offen
	buffer_load_dword v133, v129, s[0:3], 0 offen offset:4
	ds_read_b64 v[134:135], v128
	v_add_u32_e32 v130, 1, v130
	v_cmp_lt_u32_e32 vcc, 42, v130
	v_add_u32_e32 v128, 8, v128
	v_add_u32_e32 v129, 8, v129
	s_or_b64 s[10:11], vcc, s[10:11]
	s_waitcnt vmcnt(0) lgkmcnt(0)
	v_fmac_f64_e32 v[124:125], v[132:133], v[134:135]
	s_andn2_b64 exec, exec, s[10:11]
	s_cbranch_execnz .LBB60_1027
; %bb.1028:
	s_or_b64 exec, exec, s[10:11]
.LBB60_1029:
	s_or_b64 exec, exec, s[8:9]
	v_mov_b32_e32 v128, 0
	ds_read_b64 v[128:129], v128 offset:352
	s_waitcnt lgkmcnt(0)
	v_mul_f64 v[124:125], v[124:125], v[128:129]
	buffer_store_dword v125, off, s[0:3], 0 offset:356
	buffer_store_dword v124, off, s[0:3], 0 offset:352
.LBB60_1030:
	s_or_b64 exec, exec, s[6:7]
	buffer_load_dword v124, off, s[0:3], 0 offset:360
	buffer_load_dword v125, off, s[0:3], 0 offset:364
	v_cmp_gt_u32_e32 vcc, 45, v0
	s_waitcnt vmcnt(0)
	ds_write_b64 v126, v[124:125]
	s_waitcnt lgkmcnt(0)
	; wave barrier
	s_waitcnt lgkmcnt(0)
	s_and_saveexec_b64 s[6:7], vcc
	s_cbranch_execz .LBB60_1040
; %bb.1031:
	s_and_b64 vcc, exec, s[4:5]
	s_cbranch_vccnz .LBB60_1033
; %bb.1032:
	buffer_load_dword v124, v127, s[0:3], 0 offen
	buffer_load_dword v125, v127, s[0:3], 0 offen offset:4
	ds_read_b64 v[128:129], v126
	s_waitcnt vmcnt(0) lgkmcnt(0)
	v_mul_f64 v[124:125], v[124:125], v[128:129]
	s_cbranch_execz .LBB60_1034
	s_branch .LBB60_1035
.LBB60_1033:
                                        ; implicit-def: $vgpr124_vgpr125
.LBB60_1034:
	ds_read_b64 v[124:125], v126
.LBB60_1035:
	v_cmp_ne_u32_e32 vcc, 44, v0
	s_and_saveexec_b64 s[8:9], vcc
	s_cbranch_execz .LBB60_1039
; %bb.1036:
	v_mov_b32_e32 v129, 0
	v_add_u32_e32 v128, 0x1f8, v1
	v_add3_u32 v129, v1, v129, 8
	s_mov_b64 s[10:11], 0
	v_mov_b32_e32 v130, v0
.LBB60_1037:                            ; =>This Inner Loop Header: Depth=1
	buffer_load_dword v132, v129, s[0:3], 0 offen
	buffer_load_dword v133, v129, s[0:3], 0 offen offset:4
	ds_read_b64 v[134:135], v128
	v_add_u32_e32 v130, 1, v130
	v_cmp_lt_u32_e32 vcc, 43, v130
	v_add_u32_e32 v128, 8, v128
	v_add_u32_e32 v129, 8, v129
	s_or_b64 s[10:11], vcc, s[10:11]
	s_waitcnt vmcnt(0) lgkmcnt(0)
	v_fmac_f64_e32 v[124:125], v[132:133], v[134:135]
	s_andn2_b64 exec, exec, s[10:11]
	s_cbranch_execnz .LBB60_1037
; %bb.1038:
	s_or_b64 exec, exec, s[10:11]
.LBB60_1039:
	s_or_b64 exec, exec, s[8:9]
	v_mov_b32_e32 v128, 0
	ds_read_b64 v[128:129], v128 offset:360
	s_waitcnt lgkmcnt(0)
	v_mul_f64 v[124:125], v[124:125], v[128:129]
	buffer_store_dword v125, off, s[0:3], 0 offset:364
	buffer_store_dword v124, off, s[0:3], 0 offset:360
.LBB60_1040:
	s_or_b64 exec, exec, s[6:7]
	buffer_load_dword v124, off, s[0:3], 0 offset:368
	buffer_load_dword v125, off, s[0:3], 0 offset:372
	v_cmp_gt_u32_e32 vcc, 46, v0
	s_waitcnt vmcnt(0)
	ds_write_b64 v126, v[124:125]
	s_waitcnt lgkmcnt(0)
	; wave barrier
	s_waitcnt lgkmcnt(0)
	s_and_saveexec_b64 s[6:7], vcc
	s_cbranch_execz .LBB60_1050
; %bb.1041:
	s_and_b64 vcc, exec, s[4:5]
	s_cbranch_vccnz .LBB60_1043
; %bb.1042:
	buffer_load_dword v124, v127, s[0:3], 0 offen
	buffer_load_dword v125, v127, s[0:3], 0 offen offset:4
	ds_read_b64 v[128:129], v126
	s_waitcnt vmcnt(0) lgkmcnt(0)
	v_mul_f64 v[124:125], v[124:125], v[128:129]
	s_cbranch_execz .LBB60_1044
	s_branch .LBB60_1045
.LBB60_1043:
                                        ; implicit-def: $vgpr124_vgpr125
.LBB60_1044:
	ds_read_b64 v[124:125], v126
.LBB60_1045:
	v_cmp_ne_u32_e32 vcc, 45, v0
	s_and_saveexec_b64 s[8:9], vcc
	s_cbranch_execz .LBB60_1049
; %bb.1046:
	v_mov_b32_e32 v129, 0
	v_add_u32_e32 v128, 0x1f8, v1
	v_add3_u32 v129, v1, v129, 8
	s_mov_b64 s[10:11], 0
	v_mov_b32_e32 v130, v0
.LBB60_1047:                            ; =>This Inner Loop Header: Depth=1
	buffer_load_dword v132, v129, s[0:3], 0 offen
	buffer_load_dword v133, v129, s[0:3], 0 offen offset:4
	ds_read_b64 v[134:135], v128
	v_add_u32_e32 v130, 1, v130
	v_cmp_lt_u32_e32 vcc, 44, v130
	v_add_u32_e32 v128, 8, v128
	v_add_u32_e32 v129, 8, v129
	s_or_b64 s[10:11], vcc, s[10:11]
	s_waitcnt vmcnt(0) lgkmcnt(0)
	v_fmac_f64_e32 v[124:125], v[132:133], v[134:135]
	s_andn2_b64 exec, exec, s[10:11]
	s_cbranch_execnz .LBB60_1047
; %bb.1048:
	s_or_b64 exec, exec, s[10:11]
.LBB60_1049:
	s_or_b64 exec, exec, s[8:9]
	v_mov_b32_e32 v128, 0
	ds_read_b64 v[128:129], v128 offset:368
	s_waitcnt lgkmcnt(0)
	v_mul_f64 v[124:125], v[124:125], v[128:129]
	buffer_store_dword v125, off, s[0:3], 0 offset:372
	buffer_store_dword v124, off, s[0:3], 0 offset:368
.LBB60_1050:
	s_or_b64 exec, exec, s[6:7]
	buffer_load_dword v124, off, s[0:3], 0 offset:376
	buffer_load_dword v125, off, s[0:3], 0 offset:380
	v_cmp_gt_u32_e32 vcc, 47, v0
	s_waitcnt vmcnt(0)
	ds_write_b64 v126, v[124:125]
	s_waitcnt lgkmcnt(0)
	; wave barrier
	s_waitcnt lgkmcnt(0)
	s_and_saveexec_b64 s[6:7], vcc
	s_cbranch_execz .LBB60_1060
; %bb.1051:
	s_and_b64 vcc, exec, s[4:5]
	s_cbranch_vccnz .LBB60_1053
; %bb.1052:
	buffer_load_dword v124, v127, s[0:3], 0 offen
	buffer_load_dword v125, v127, s[0:3], 0 offen offset:4
	ds_read_b64 v[128:129], v126
	s_waitcnt vmcnt(0) lgkmcnt(0)
	v_mul_f64 v[124:125], v[124:125], v[128:129]
	s_cbranch_execz .LBB60_1054
	s_branch .LBB60_1055
.LBB60_1053:
                                        ; implicit-def: $vgpr124_vgpr125
.LBB60_1054:
	ds_read_b64 v[124:125], v126
.LBB60_1055:
	v_cmp_ne_u32_e32 vcc, 46, v0
	s_and_saveexec_b64 s[8:9], vcc
	s_cbranch_execz .LBB60_1059
; %bb.1056:
	v_mov_b32_e32 v129, 0
	v_add_u32_e32 v128, 0x1f8, v1
	v_add3_u32 v129, v1, v129, 8
	s_mov_b64 s[10:11], 0
	v_mov_b32_e32 v130, v0
.LBB60_1057:                            ; =>This Inner Loop Header: Depth=1
	buffer_load_dword v132, v129, s[0:3], 0 offen
	buffer_load_dword v133, v129, s[0:3], 0 offen offset:4
	ds_read_b64 v[134:135], v128
	v_add_u32_e32 v130, 1, v130
	v_cmp_lt_u32_e32 vcc, 45, v130
	v_add_u32_e32 v128, 8, v128
	v_add_u32_e32 v129, 8, v129
	s_or_b64 s[10:11], vcc, s[10:11]
	s_waitcnt vmcnt(0) lgkmcnt(0)
	v_fmac_f64_e32 v[124:125], v[132:133], v[134:135]
	s_andn2_b64 exec, exec, s[10:11]
	s_cbranch_execnz .LBB60_1057
; %bb.1058:
	s_or_b64 exec, exec, s[10:11]
.LBB60_1059:
	s_or_b64 exec, exec, s[8:9]
	v_mov_b32_e32 v128, 0
	ds_read_b64 v[128:129], v128 offset:376
	s_waitcnt lgkmcnt(0)
	v_mul_f64 v[124:125], v[124:125], v[128:129]
	buffer_store_dword v125, off, s[0:3], 0 offset:380
	buffer_store_dword v124, off, s[0:3], 0 offset:376
.LBB60_1060:
	s_or_b64 exec, exec, s[6:7]
	buffer_load_dword v124, off, s[0:3], 0 offset:384
	buffer_load_dword v125, off, s[0:3], 0 offset:388
	v_cmp_gt_u32_e32 vcc, 48, v0
	s_waitcnt vmcnt(0)
	ds_write_b64 v126, v[124:125]
	s_waitcnt lgkmcnt(0)
	; wave barrier
	s_waitcnt lgkmcnt(0)
	s_and_saveexec_b64 s[6:7], vcc
	s_cbranch_execz .LBB60_1070
; %bb.1061:
	s_and_b64 vcc, exec, s[4:5]
	s_cbranch_vccnz .LBB60_1063
; %bb.1062:
	buffer_load_dword v124, v127, s[0:3], 0 offen
	buffer_load_dword v125, v127, s[0:3], 0 offen offset:4
	ds_read_b64 v[128:129], v126
	s_waitcnt vmcnt(0) lgkmcnt(0)
	v_mul_f64 v[124:125], v[124:125], v[128:129]
	s_cbranch_execz .LBB60_1064
	s_branch .LBB60_1065
.LBB60_1063:
                                        ; implicit-def: $vgpr124_vgpr125
.LBB60_1064:
	ds_read_b64 v[124:125], v126
.LBB60_1065:
	v_cmp_ne_u32_e32 vcc, 47, v0
	s_and_saveexec_b64 s[8:9], vcc
	s_cbranch_execz .LBB60_1069
; %bb.1066:
	v_mov_b32_e32 v129, 0
	v_add_u32_e32 v128, 0x1f8, v1
	v_add3_u32 v129, v1, v129, 8
	s_mov_b64 s[10:11], 0
	v_mov_b32_e32 v130, v0
.LBB60_1067:                            ; =>This Inner Loop Header: Depth=1
	buffer_load_dword v132, v129, s[0:3], 0 offen
	buffer_load_dword v133, v129, s[0:3], 0 offen offset:4
	ds_read_b64 v[134:135], v128
	v_add_u32_e32 v130, 1, v130
	v_cmp_lt_u32_e32 vcc, 46, v130
	v_add_u32_e32 v128, 8, v128
	v_add_u32_e32 v129, 8, v129
	s_or_b64 s[10:11], vcc, s[10:11]
	s_waitcnt vmcnt(0) lgkmcnt(0)
	v_fmac_f64_e32 v[124:125], v[132:133], v[134:135]
	s_andn2_b64 exec, exec, s[10:11]
	s_cbranch_execnz .LBB60_1067
; %bb.1068:
	s_or_b64 exec, exec, s[10:11]
.LBB60_1069:
	s_or_b64 exec, exec, s[8:9]
	v_mov_b32_e32 v128, 0
	ds_read_b64 v[128:129], v128 offset:384
	s_waitcnt lgkmcnt(0)
	v_mul_f64 v[124:125], v[124:125], v[128:129]
	buffer_store_dword v125, off, s[0:3], 0 offset:388
	buffer_store_dword v124, off, s[0:3], 0 offset:384
.LBB60_1070:
	s_or_b64 exec, exec, s[6:7]
	buffer_load_dword v124, off, s[0:3], 0 offset:392
	buffer_load_dword v125, off, s[0:3], 0 offset:396
	v_cmp_gt_u32_e32 vcc, 49, v0
	s_waitcnt vmcnt(0)
	ds_write_b64 v126, v[124:125]
	s_waitcnt lgkmcnt(0)
	; wave barrier
	s_waitcnt lgkmcnt(0)
	s_and_saveexec_b64 s[6:7], vcc
	s_cbranch_execz .LBB60_1080
; %bb.1071:
	s_and_b64 vcc, exec, s[4:5]
	s_cbranch_vccnz .LBB60_1073
; %bb.1072:
	buffer_load_dword v124, v127, s[0:3], 0 offen
	buffer_load_dword v125, v127, s[0:3], 0 offen offset:4
	ds_read_b64 v[128:129], v126
	s_waitcnt vmcnt(0) lgkmcnt(0)
	v_mul_f64 v[124:125], v[124:125], v[128:129]
	s_cbranch_execz .LBB60_1074
	s_branch .LBB60_1075
.LBB60_1073:
                                        ; implicit-def: $vgpr124_vgpr125
.LBB60_1074:
	ds_read_b64 v[124:125], v126
.LBB60_1075:
	v_cmp_ne_u32_e32 vcc, 48, v0
	s_and_saveexec_b64 s[8:9], vcc
	s_cbranch_execz .LBB60_1079
; %bb.1076:
	v_mov_b32_e32 v129, 0
	v_add_u32_e32 v128, 0x1f8, v1
	v_add3_u32 v129, v1, v129, 8
	s_mov_b64 s[10:11], 0
	v_mov_b32_e32 v130, v0
.LBB60_1077:                            ; =>This Inner Loop Header: Depth=1
	buffer_load_dword v132, v129, s[0:3], 0 offen
	buffer_load_dword v133, v129, s[0:3], 0 offen offset:4
	ds_read_b64 v[134:135], v128
	v_add_u32_e32 v130, 1, v130
	v_cmp_lt_u32_e32 vcc, 47, v130
	v_add_u32_e32 v128, 8, v128
	v_add_u32_e32 v129, 8, v129
	s_or_b64 s[10:11], vcc, s[10:11]
	s_waitcnt vmcnt(0) lgkmcnt(0)
	v_fmac_f64_e32 v[124:125], v[132:133], v[134:135]
	s_andn2_b64 exec, exec, s[10:11]
	s_cbranch_execnz .LBB60_1077
; %bb.1078:
	s_or_b64 exec, exec, s[10:11]
.LBB60_1079:
	s_or_b64 exec, exec, s[8:9]
	v_mov_b32_e32 v128, 0
	ds_read_b64 v[128:129], v128 offset:392
	s_waitcnt lgkmcnt(0)
	v_mul_f64 v[124:125], v[124:125], v[128:129]
	buffer_store_dword v125, off, s[0:3], 0 offset:396
	buffer_store_dword v124, off, s[0:3], 0 offset:392
.LBB60_1080:
	s_or_b64 exec, exec, s[6:7]
	buffer_load_dword v124, off, s[0:3], 0 offset:400
	buffer_load_dword v125, off, s[0:3], 0 offset:404
	v_cmp_gt_u32_e32 vcc, 50, v0
	s_waitcnt vmcnt(0)
	ds_write_b64 v126, v[124:125]
	s_waitcnt lgkmcnt(0)
	; wave barrier
	s_waitcnt lgkmcnt(0)
	s_and_saveexec_b64 s[6:7], vcc
	s_cbranch_execz .LBB60_1090
; %bb.1081:
	s_and_b64 vcc, exec, s[4:5]
	s_cbranch_vccnz .LBB60_1083
; %bb.1082:
	buffer_load_dword v124, v127, s[0:3], 0 offen
	buffer_load_dword v125, v127, s[0:3], 0 offen offset:4
	ds_read_b64 v[128:129], v126
	s_waitcnt vmcnt(0) lgkmcnt(0)
	v_mul_f64 v[124:125], v[124:125], v[128:129]
	s_cbranch_execz .LBB60_1084
	s_branch .LBB60_1085
.LBB60_1083:
                                        ; implicit-def: $vgpr124_vgpr125
.LBB60_1084:
	ds_read_b64 v[124:125], v126
.LBB60_1085:
	v_cmp_ne_u32_e32 vcc, 49, v0
	s_and_saveexec_b64 s[8:9], vcc
	s_cbranch_execz .LBB60_1089
; %bb.1086:
	v_mov_b32_e32 v129, 0
	v_add_u32_e32 v128, 0x1f8, v1
	v_add3_u32 v129, v1, v129, 8
	s_mov_b64 s[10:11], 0
	v_mov_b32_e32 v130, v0
.LBB60_1087:                            ; =>This Inner Loop Header: Depth=1
	buffer_load_dword v132, v129, s[0:3], 0 offen
	buffer_load_dword v133, v129, s[0:3], 0 offen offset:4
	ds_read_b64 v[134:135], v128
	v_add_u32_e32 v130, 1, v130
	v_cmp_lt_u32_e32 vcc, 48, v130
	v_add_u32_e32 v128, 8, v128
	v_add_u32_e32 v129, 8, v129
	s_or_b64 s[10:11], vcc, s[10:11]
	s_waitcnt vmcnt(0) lgkmcnt(0)
	v_fmac_f64_e32 v[124:125], v[132:133], v[134:135]
	s_andn2_b64 exec, exec, s[10:11]
	s_cbranch_execnz .LBB60_1087
; %bb.1088:
	s_or_b64 exec, exec, s[10:11]
.LBB60_1089:
	s_or_b64 exec, exec, s[8:9]
	v_mov_b32_e32 v128, 0
	ds_read_b64 v[128:129], v128 offset:400
	s_waitcnt lgkmcnt(0)
	v_mul_f64 v[124:125], v[124:125], v[128:129]
	buffer_store_dword v125, off, s[0:3], 0 offset:404
	buffer_store_dword v124, off, s[0:3], 0 offset:400
.LBB60_1090:
	s_or_b64 exec, exec, s[6:7]
	buffer_load_dword v124, off, s[0:3], 0 offset:408
	buffer_load_dword v125, off, s[0:3], 0 offset:412
	v_cmp_gt_u32_e32 vcc, 51, v0
	s_waitcnt vmcnt(0)
	ds_write_b64 v126, v[124:125]
	s_waitcnt lgkmcnt(0)
	; wave barrier
	s_waitcnt lgkmcnt(0)
	s_and_saveexec_b64 s[6:7], vcc
	s_cbranch_execz .LBB60_1100
; %bb.1091:
	s_and_b64 vcc, exec, s[4:5]
	s_cbranch_vccnz .LBB60_1093
; %bb.1092:
	buffer_load_dword v124, v127, s[0:3], 0 offen
	buffer_load_dword v125, v127, s[0:3], 0 offen offset:4
	ds_read_b64 v[128:129], v126
	s_waitcnt vmcnt(0) lgkmcnt(0)
	v_mul_f64 v[124:125], v[124:125], v[128:129]
	s_cbranch_execz .LBB60_1094
	s_branch .LBB60_1095
.LBB60_1093:
                                        ; implicit-def: $vgpr124_vgpr125
.LBB60_1094:
	ds_read_b64 v[124:125], v126
.LBB60_1095:
	v_cmp_ne_u32_e32 vcc, 50, v0
	s_and_saveexec_b64 s[8:9], vcc
	s_cbranch_execz .LBB60_1099
; %bb.1096:
	v_mov_b32_e32 v129, 0
	v_add_u32_e32 v128, 0x1f8, v1
	v_add3_u32 v129, v1, v129, 8
	s_mov_b64 s[10:11], 0
	v_mov_b32_e32 v130, v0
.LBB60_1097:                            ; =>This Inner Loop Header: Depth=1
	buffer_load_dword v132, v129, s[0:3], 0 offen
	buffer_load_dword v133, v129, s[0:3], 0 offen offset:4
	ds_read_b64 v[134:135], v128
	v_add_u32_e32 v130, 1, v130
	v_cmp_lt_u32_e32 vcc, 49, v130
	v_add_u32_e32 v128, 8, v128
	v_add_u32_e32 v129, 8, v129
	s_or_b64 s[10:11], vcc, s[10:11]
	s_waitcnt vmcnt(0) lgkmcnt(0)
	v_fmac_f64_e32 v[124:125], v[132:133], v[134:135]
	s_andn2_b64 exec, exec, s[10:11]
	s_cbranch_execnz .LBB60_1097
; %bb.1098:
	s_or_b64 exec, exec, s[10:11]
.LBB60_1099:
	s_or_b64 exec, exec, s[8:9]
	v_mov_b32_e32 v128, 0
	ds_read_b64 v[128:129], v128 offset:408
	s_waitcnt lgkmcnt(0)
	v_mul_f64 v[124:125], v[124:125], v[128:129]
	buffer_store_dword v125, off, s[0:3], 0 offset:412
	buffer_store_dword v124, off, s[0:3], 0 offset:408
.LBB60_1100:
	s_or_b64 exec, exec, s[6:7]
	buffer_load_dword v124, off, s[0:3], 0 offset:416
	buffer_load_dword v125, off, s[0:3], 0 offset:420
	v_cmp_gt_u32_e32 vcc, 52, v0
	s_waitcnt vmcnt(0)
	ds_write_b64 v126, v[124:125]
	s_waitcnt lgkmcnt(0)
	; wave barrier
	s_waitcnt lgkmcnt(0)
	s_and_saveexec_b64 s[6:7], vcc
	s_cbranch_execz .LBB60_1110
; %bb.1101:
	s_and_b64 vcc, exec, s[4:5]
	s_cbranch_vccnz .LBB60_1103
; %bb.1102:
	buffer_load_dword v124, v127, s[0:3], 0 offen
	buffer_load_dword v125, v127, s[0:3], 0 offen offset:4
	ds_read_b64 v[128:129], v126
	s_waitcnt vmcnt(0) lgkmcnt(0)
	v_mul_f64 v[124:125], v[124:125], v[128:129]
	s_cbranch_execz .LBB60_1104
	s_branch .LBB60_1105
.LBB60_1103:
                                        ; implicit-def: $vgpr124_vgpr125
.LBB60_1104:
	ds_read_b64 v[124:125], v126
.LBB60_1105:
	v_cmp_ne_u32_e32 vcc, 51, v0
	s_and_saveexec_b64 s[8:9], vcc
	s_cbranch_execz .LBB60_1109
; %bb.1106:
	v_mov_b32_e32 v129, 0
	v_add_u32_e32 v128, 0x1f8, v1
	v_add3_u32 v129, v1, v129, 8
	s_mov_b64 s[10:11], 0
	v_mov_b32_e32 v130, v0
.LBB60_1107:                            ; =>This Inner Loop Header: Depth=1
	buffer_load_dword v132, v129, s[0:3], 0 offen
	buffer_load_dword v133, v129, s[0:3], 0 offen offset:4
	ds_read_b64 v[134:135], v128
	v_add_u32_e32 v130, 1, v130
	v_cmp_lt_u32_e32 vcc, 50, v130
	v_add_u32_e32 v128, 8, v128
	v_add_u32_e32 v129, 8, v129
	s_or_b64 s[10:11], vcc, s[10:11]
	s_waitcnt vmcnt(0) lgkmcnt(0)
	v_fmac_f64_e32 v[124:125], v[132:133], v[134:135]
	s_andn2_b64 exec, exec, s[10:11]
	s_cbranch_execnz .LBB60_1107
; %bb.1108:
	s_or_b64 exec, exec, s[10:11]
.LBB60_1109:
	s_or_b64 exec, exec, s[8:9]
	v_mov_b32_e32 v128, 0
	ds_read_b64 v[128:129], v128 offset:416
	s_waitcnt lgkmcnt(0)
	v_mul_f64 v[124:125], v[124:125], v[128:129]
	buffer_store_dword v125, off, s[0:3], 0 offset:420
	buffer_store_dword v124, off, s[0:3], 0 offset:416
.LBB60_1110:
	s_or_b64 exec, exec, s[6:7]
	buffer_load_dword v124, off, s[0:3], 0 offset:424
	buffer_load_dword v125, off, s[0:3], 0 offset:428
	v_cmp_gt_u32_e32 vcc, 53, v0
	s_waitcnt vmcnt(0)
	ds_write_b64 v126, v[124:125]
	s_waitcnt lgkmcnt(0)
	; wave barrier
	s_waitcnt lgkmcnt(0)
	s_and_saveexec_b64 s[6:7], vcc
	s_cbranch_execz .LBB60_1120
; %bb.1111:
	s_and_b64 vcc, exec, s[4:5]
	s_cbranch_vccnz .LBB60_1113
; %bb.1112:
	buffer_load_dword v124, v127, s[0:3], 0 offen
	buffer_load_dword v125, v127, s[0:3], 0 offen offset:4
	ds_read_b64 v[128:129], v126
	s_waitcnt vmcnt(0) lgkmcnt(0)
	v_mul_f64 v[124:125], v[124:125], v[128:129]
	s_cbranch_execz .LBB60_1114
	s_branch .LBB60_1115
.LBB60_1113:
                                        ; implicit-def: $vgpr124_vgpr125
.LBB60_1114:
	ds_read_b64 v[124:125], v126
.LBB60_1115:
	v_cmp_ne_u32_e32 vcc, 52, v0
	s_and_saveexec_b64 s[8:9], vcc
	s_cbranch_execz .LBB60_1119
; %bb.1116:
	v_mov_b32_e32 v129, 0
	v_add_u32_e32 v128, 0x1f8, v1
	v_add3_u32 v129, v1, v129, 8
	s_mov_b64 s[10:11], 0
	v_mov_b32_e32 v130, v0
.LBB60_1117:                            ; =>This Inner Loop Header: Depth=1
	buffer_load_dword v132, v129, s[0:3], 0 offen
	buffer_load_dword v133, v129, s[0:3], 0 offen offset:4
	ds_read_b64 v[134:135], v128
	v_add_u32_e32 v130, 1, v130
	v_cmp_lt_u32_e32 vcc, 51, v130
	v_add_u32_e32 v128, 8, v128
	v_add_u32_e32 v129, 8, v129
	s_or_b64 s[10:11], vcc, s[10:11]
	s_waitcnt vmcnt(0) lgkmcnt(0)
	v_fmac_f64_e32 v[124:125], v[132:133], v[134:135]
	s_andn2_b64 exec, exec, s[10:11]
	s_cbranch_execnz .LBB60_1117
; %bb.1118:
	s_or_b64 exec, exec, s[10:11]
.LBB60_1119:
	s_or_b64 exec, exec, s[8:9]
	v_mov_b32_e32 v128, 0
	ds_read_b64 v[128:129], v128 offset:424
	s_waitcnt lgkmcnt(0)
	v_mul_f64 v[124:125], v[124:125], v[128:129]
	buffer_store_dword v125, off, s[0:3], 0 offset:428
	buffer_store_dword v124, off, s[0:3], 0 offset:424
.LBB60_1120:
	s_or_b64 exec, exec, s[6:7]
	buffer_load_dword v124, off, s[0:3], 0 offset:432
	buffer_load_dword v125, off, s[0:3], 0 offset:436
	v_cmp_gt_u32_e32 vcc, 54, v0
	s_waitcnt vmcnt(0)
	ds_write_b64 v126, v[124:125]
	s_waitcnt lgkmcnt(0)
	; wave barrier
	s_waitcnt lgkmcnt(0)
	s_and_saveexec_b64 s[6:7], vcc
	s_cbranch_execz .LBB60_1130
; %bb.1121:
	s_and_b64 vcc, exec, s[4:5]
	s_cbranch_vccnz .LBB60_1123
; %bb.1122:
	buffer_load_dword v124, v127, s[0:3], 0 offen
	buffer_load_dword v125, v127, s[0:3], 0 offen offset:4
	ds_read_b64 v[128:129], v126
	s_waitcnt vmcnt(0) lgkmcnt(0)
	v_mul_f64 v[124:125], v[124:125], v[128:129]
	s_cbranch_execz .LBB60_1124
	s_branch .LBB60_1125
.LBB60_1123:
                                        ; implicit-def: $vgpr124_vgpr125
.LBB60_1124:
	ds_read_b64 v[124:125], v126
.LBB60_1125:
	v_cmp_ne_u32_e32 vcc, 53, v0
	s_and_saveexec_b64 s[8:9], vcc
	s_cbranch_execz .LBB60_1129
; %bb.1126:
	v_mov_b32_e32 v129, 0
	v_add_u32_e32 v128, 0x1f8, v1
	v_add3_u32 v129, v1, v129, 8
	s_mov_b64 s[10:11], 0
	v_mov_b32_e32 v130, v0
.LBB60_1127:                            ; =>This Inner Loop Header: Depth=1
	buffer_load_dword v132, v129, s[0:3], 0 offen
	buffer_load_dword v133, v129, s[0:3], 0 offen offset:4
	ds_read_b64 v[134:135], v128
	v_add_u32_e32 v130, 1, v130
	v_cmp_lt_u32_e32 vcc, 52, v130
	v_add_u32_e32 v128, 8, v128
	v_add_u32_e32 v129, 8, v129
	s_or_b64 s[10:11], vcc, s[10:11]
	s_waitcnt vmcnt(0) lgkmcnt(0)
	v_fmac_f64_e32 v[124:125], v[132:133], v[134:135]
	s_andn2_b64 exec, exec, s[10:11]
	s_cbranch_execnz .LBB60_1127
; %bb.1128:
	s_or_b64 exec, exec, s[10:11]
.LBB60_1129:
	s_or_b64 exec, exec, s[8:9]
	v_mov_b32_e32 v128, 0
	ds_read_b64 v[128:129], v128 offset:432
	s_waitcnt lgkmcnt(0)
	v_mul_f64 v[124:125], v[124:125], v[128:129]
	buffer_store_dword v125, off, s[0:3], 0 offset:436
	buffer_store_dword v124, off, s[0:3], 0 offset:432
.LBB60_1130:
	s_or_b64 exec, exec, s[6:7]
	buffer_load_dword v124, off, s[0:3], 0 offset:440
	buffer_load_dword v125, off, s[0:3], 0 offset:444
	v_cmp_gt_u32_e32 vcc, 55, v0
	s_waitcnt vmcnt(0)
	ds_write_b64 v126, v[124:125]
	s_waitcnt lgkmcnt(0)
	; wave barrier
	s_waitcnt lgkmcnt(0)
	s_and_saveexec_b64 s[6:7], vcc
	s_cbranch_execz .LBB60_1140
; %bb.1131:
	s_and_b64 vcc, exec, s[4:5]
	s_cbranch_vccnz .LBB60_1133
; %bb.1132:
	buffer_load_dword v124, v127, s[0:3], 0 offen
	buffer_load_dword v125, v127, s[0:3], 0 offen offset:4
	ds_read_b64 v[128:129], v126
	s_waitcnt vmcnt(0) lgkmcnt(0)
	v_mul_f64 v[124:125], v[124:125], v[128:129]
	s_cbranch_execz .LBB60_1134
	s_branch .LBB60_1135
.LBB60_1133:
                                        ; implicit-def: $vgpr124_vgpr125
.LBB60_1134:
	ds_read_b64 v[124:125], v126
.LBB60_1135:
	v_cmp_ne_u32_e32 vcc, 54, v0
	s_and_saveexec_b64 s[8:9], vcc
	s_cbranch_execz .LBB60_1139
; %bb.1136:
	v_mov_b32_e32 v129, 0
	v_add_u32_e32 v128, 0x1f8, v1
	v_add3_u32 v129, v1, v129, 8
	s_mov_b64 s[10:11], 0
	v_mov_b32_e32 v130, v0
.LBB60_1137:                            ; =>This Inner Loop Header: Depth=1
	buffer_load_dword v132, v129, s[0:3], 0 offen
	buffer_load_dword v133, v129, s[0:3], 0 offen offset:4
	ds_read_b64 v[134:135], v128
	v_add_u32_e32 v130, 1, v130
	v_cmp_lt_u32_e32 vcc, 53, v130
	v_add_u32_e32 v128, 8, v128
	v_add_u32_e32 v129, 8, v129
	s_or_b64 s[10:11], vcc, s[10:11]
	s_waitcnt vmcnt(0) lgkmcnt(0)
	v_fmac_f64_e32 v[124:125], v[132:133], v[134:135]
	s_andn2_b64 exec, exec, s[10:11]
	s_cbranch_execnz .LBB60_1137
; %bb.1138:
	s_or_b64 exec, exec, s[10:11]
.LBB60_1139:
	s_or_b64 exec, exec, s[8:9]
	v_mov_b32_e32 v128, 0
	ds_read_b64 v[128:129], v128 offset:440
	s_waitcnt lgkmcnt(0)
	v_mul_f64 v[124:125], v[124:125], v[128:129]
	buffer_store_dword v125, off, s[0:3], 0 offset:444
	buffer_store_dword v124, off, s[0:3], 0 offset:440
.LBB60_1140:
	s_or_b64 exec, exec, s[6:7]
	buffer_load_dword v124, off, s[0:3], 0 offset:448
	buffer_load_dword v125, off, s[0:3], 0 offset:452
	v_cmp_gt_u32_e32 vcc, 56, v0
	s_waitcnt vmcnt(0)
	ds_write_b64 v126, v[124:125]
	s_waitcnt lgkmcnt(0)
	; wave barrier
	s_waitcnt lgkmcnt(0)
	s_and_saveexec_b64 s[6:7], vcc
	s_cbranch_execz .LBB60_1150
; %bb.1141:
	s_and_b64 vcc, exec, s[4:5]
	s_cbranch_vccnz .LBB60_1143
; %bb.1142:
	buffer_load_dword v124, v127, s[0:3], 0 offen
	buffer_load_dword v125, v127, s[0:3], 0 offen offset:4
	ds_read_b64 v[128:129], v126
	s_waitcnt vmcnt(0) lgkmcnt(0)
	v_mul_f64 v[124:125], v[124:125], v[128:129]
	s_cbranch_execz .LBB60_1144
	s_branch .LBB60_1145
.LBB60_1143:
                                        ; implicit-def: $vgpr124_vgpr125
.LBB60_1144:
	ds_read_b64 v[124:125], v126
.LBB60_1145:
	v_cmp_ne_u32_e32 vcc, 55, v0
	s_and_saveexec_b64 s[8:9], vcc
	s_cbranch_execz .LBB60_1149
; %bb.1146:
	v_mov_b32_e32 v129, 0
	v_add_u32_e32 v128, 0x1f8, v1
	v_add3_u32 v129, v1, v129, 8
	s_mov_b64 s[10:11], 0
	v_mov_b32_e32 v130, v0
.LBB60_1147:                            ; =>This Inner Loop Header: Depth=1
	buffer_load_dword v132, v129, s[0:3], 0 offen
	buffer_load_dword v133, v129, s[0:3], 0 offen offset:4
	ds_read_b64 v[134:135], v128
	v_add_u32_e32 v130, 1, v130
	v_cmp_lt_u32_e32 vcc, 54, v130
	v_add_u32_e32 v128, 8, v128
	v_add_u32_e32 v129, 8, v129
	s_or_b64 s[10:11], vcc, s[10:11]
	s_waitcnt vmcnt(0) lgkmcnt(0)
	v_fmac_f64_e32 v[124:125], v[132:133], v[134:135]
	s_andn2_b64 exec, exec, s[10:11]
	s_cbranch_execnz .LBB60_1147
; %bb.1148:
	s_or_b64 exec, exec, s[10:11]
.LBB60_1149:
	s_or_b64 exec, exec, s[8:9]
	v_mov_b32_e32 v128, 0
	ds_read_b64 v[128:129], v128 offset:448
	s_waitcnt lgkmcnt(0)
	v_mul_f64 v[124:125], v[124:125], v[128:129]
	buffer_store_dword v125, off, s[0:3], 0 offset:452
	buffer_store_dword v124, off, s[0:3], 0 offset:448
.LBB60_1150:
	s_or_b64 exec, exec, s[6:7]
	buffer_load_dword v124, off, s[0:3], 0 offset:456
	buffer_load_dword v125, off, s[0:3], 0 offset:460
	v_cmp_gt_u32_e32 vcc, 57, v0
	s_waitcnt vmcnt(0)
	ds_write_b64 v126, v[124:125]
	s_waitcnt lgkmcnt(0)
	; wave barrier
	s_waitcnt lgkmcnt(0)
	s_and_saveexec_b64 s[6:7], vcc
	s_cbranch_execz .LBB60_1160
; %bb.1151:
	s_and_b64 vcc, exec, s[4:5]
	s_cbranch_vccnz .LBB60_1153
; %bb.1152:
	buffer_load_dword v124, v127, s[0:3], 0 offen
	buffer_load_dword v125, v127, s[0:3], 0 offen offset:4
	ds_read_b64 v[128:129], v126
	s_waitcnt vmcnt(0) lgkmcnt(0)
	v_mul_f64 v[124:125], v[124:125], v[128:129]
	s_cbranch_execz .LBB60_1154
	s_branch .LBB60_1155
.LBB60_1153:
                                        ; implicit-def: $vgpr124_vgpr125
.LBB60_1154:
	ds_read_b64 v[124:125], v126
.LBB60_1155:
	v_cmp_ne_u32_e32 vcc, 56, v0
	s_and_saveexec_b64 s[8:9], vcc
	s_cbranch_execz .LBB60_1159
; %bb.1156:
	v_mov_b32_e32 v129, 0
	v_add_u32_e32 v128, 0x1f8, v1
	v_add3_u32 v129, v1, v129, 8
	s_mov_b64 s[10:11], 0
	v_mov_b32_e32 v130, v0
.LBB60_1157:                            ; =>This Inner Loop Header: Depth=1
	buffer_load_dword v132, v129, s[0:3], 0 offen
	buffer_load_dword v133, v129, s[0:3], 0 offen offset:4
	ds_read_b64 v[134:135], v128
	v_add_u32_e32 v130, 1, v130
	v_cmp_lt_u32_e32 vcc, 55, v130
	v_add_u32_e32 v128, 8, v128
	v_add_u32_e32 v129, 8, v129
	s_or_b64 s[10:11], vcc, s[10:11]
	s_waitcnt vmcnt(0) lgkmcnt(0)
	v_fmac_f64_e32 v[124:125], v[132:133], v[134:135]
	s_andn2_b64 exec, exec, s[10:11]
	s_cbranch_execnz .LBB60_1157
; %bb.1158:
	s_or_b64 exec, exec, s[10:11]
.LBB60_1159:
	s_or_b64 exec, exec, s[8:9]
	v_mov_b32_e32 v128, 0
	ds_read_b64 v[128:129], v128 offset:456
	s_waitcnt lgkmcnt(0)
	v_mul_f64 v[124:125], v[124:125], v[128:129]
	buffer_store_dword v125, off, s[0:3], 0 offset:460
	buffer_store_dword v124, off, s[0:3], 0 offset:456
.LBB60_1160:
	s_or_b64 exec, exec, s[6:7]
	buffer_load_dword v124, off, s[0:3], 0 offset:464
	buffer_load_dword v125, off, s[0:3], 0 offset:468
	v_cmp_gt_u32_e32 vcc, 58, v0
	s_waitcnt vmcnt(0)
	ds_write_b64 v126, v[124:125]
	s_waitcnt lgkmcnt(0)
	; wave barrier
	s_waitcnt lgkmcnt(0)
	s_and_saveexec_b64 s[6:7], vcc
	s_cbranch_execz .LBB60_1170
; %bb.1161:
	s_and_b64 vcc, exec, s[4:5]
	s_cbranch_vccnz .LBB60_1163
; %bb.1162:
	buffer_load_dword v124, v127, s[0:3], 0 offen
	buffer_load_dword v125, v127, s[0:3], 0 offen offset:4
	ds_read_b64 v[128:129], v126
	s_waitcnt vmcnt(0) lgkmcnt(0)
	v_mul_f64 v[124:125], v[124:125], v[128:129]
	s_cbranch_execz .LBB60_1164
	s_branch .LBB60_1165
.LBB60_1163:
                                        ; implicit-def: $vgpr124_vgpr125
.LBB60_1164:
	ds_read_b64 v[124:125], v126
.LBB60_1165:
	v_cmp_ne_u32_e32 vcc, 57, v0
	s_and_saveexec_b64 s[8:9], vcc
	s_cbranch_execz .LBB60_1169
; %bb.1166:
	v_mov_b32_e32 v129, 0
	v_add_u32_e32 v128, 0x1f8, v1
	v_add3_u32 v129, v1, v129, 8
	s_mov_b64 s[10:11], 0
	v_mov_b32_e32 v130, v0
.LBB60_1167:                            ; =>This Inner Loop Header: Depth=1
	buffer_load_dword v132, v129, s[0:3], 0 offen
	buffer_load_dword v133, v129, s[0:3], 0 offen offset:4
	ds_read_b64 v[134:135], v128
	v_add_u32_e32 v130, 1, v130
	v_cmp_lt_u32_e32 vcc, 56, v130
	v_add_u32_e32 v128, 8, v128
	v_add_u32_e32 v129, 8, v129
	s_or_b64 s[10:11], vcc, s[10:11]
	s_waitcnt vmcnt(0) lgkmcnt(0)
	v_fmac_f64_e32 v[124:125], v[132:133], v[134:135]
	s_andn2_b64 exec, exec, s[10:11]
	s_cbranch_execnz .LBB60_1167
; %bb.1168:
	s_or_b64 exec, exec, s[10:11]
.LBB60_1169:
	s_or_b64 exec, exec, s[8:9]
	v_mov_b32_e32 v128, 0
	ds_read_b64 v[128:129], v128 offset:464
	s_waitcnt lgkmcnt(0)
	v_mul_f64 v[124:125], v[124:125], v[128:129]
	buffer_store_dword v125, off, s[0:3], 0 offset:468
	buffer_store_dword v124, off, s[0:3], 0 offset:464
.LBB60_1170:
	s_or_b64 exec, exec, s[6:7]
	buffer_load_dword v124, off, s[0:3], 0 offset:472
	buffer_load_dword v125, off, s[0:3], 0 offset:476
	v_cmp_gt_u32_e64 s[6:7], 59, v0
	s_waitcnt vmcnt(0)
	ds_write_b64 v126, v[124:125]
	s_waitcnt lgkmcnt(0)
	; wave barrier
	s_waitcnt lgkmcnt(0)
	s_and_saveexec_b64 s[8:9], s[6:7]
	s_cbranch_execz .LBB60_1180
; %bb.1171:
	s_and_b64 vcc, exec, s[4:5]
	s_cbranch_vccnz .LBB60_1173
; %bb.1172:
	buffer_load_dword v124, v127, s[0:3], 0 offen
	buffer_load_dword v125, v127, s[0:3], 0 offen offset:4
	ds_read_b64 v[128:129], v126
	s_waitcnt vmcnt(0) lgkmcnt(0)
	v_mul_f64 v[124:125], v[124:125], v[128:129]
	s_cbranch_execz .LBB60_1174
	s_branch .LBB60_1175
.LBB60_1173:
                                        ; implicit-def: $vgpr124_vgpr125
.LBB60_1174:
	ds_read_b64 v[124:125], v126
.LBB60_1175:
	v_cmp_ne_u32_e32 vcc, 58, v0
	s_and_saveexec_b64 s[10:11], vcc
	s_cbranch_execz .LBB60_1179
; %bb.1176:
	v_mov_b32_e32 v129, 0
	v_add_u32_e32 v128, 0x1f8, v1
	v_add3_u32 v129, v1, v129, 8
	s_mov_b64 s[12:13], 0
	v_mov_b32_e32 v130, v0
.LBB60_1177:                            ; =>This Inner Loop Header: Depth=1
	buffer_load_dword v132, v129, s[0:3], 0 offen
	buffer_load_dword v133, v129, s[0:3], 0 offen offset:4
	ds_read_b64 v[134:135], v128
	v_add_u32_e32 v130, 1, v130
	v_cmp_lt_u32_e32 vcc, 57, v130
	v_add_u32_e32 v128, 8, v128
	v_add_u32_e32 v129, 8, v129
	s_or_b64 s[12:13], vcc, s[12:13]
	s_waitcnt vmcnt(0) lgkmcnt(0)
	v_fmac_f64_e32 v[124:125], v[132:133], v[134:135]
	s_andn2_b64 exec, exec, s[12:13]
	s_cbranch_execnz .LBB60_1177
; %bb.1178:
	s_or_b64 exec, exec, s[12:13]
.LBB60_1179:
	s_or_b64 exec, exec, s[10:11]
	v_mov_b32_e32 v128, 0
	ds_read_b64 v[128:129], v128 offset:472
	s_waitcnt lgkmcnt(0)
	v_mul_f64 v[124:125], v[124:125], v[128:129]
	buffer_store_dword v125, off, s[0:3], 0 offset:476
	buffer_store_dword v124, off, s[0:3], 0 offset:472
.LBB60_1180:
	s_or_b64 exec, exec, s[8:9]
	buffer_load_dword v124, off, s[0:3], 0 offset:480
	buffer_load_dword v125, off, s[0:3], 0 offset:484
	v_cmp_ne_u32_e32 vcc, 60, v0
	s_waitcnt vmcnt(0)
	ds_write_b64 v126, v[124:125]
	s_waitcnt lgkmcnt(0)
	; wave barrier
	s_waitcnt lgkmcnt(0)
	s_and_saveexec_b64 s[8:9], vcc
	s_cbranch_execz .LBB60_1190
; %bb.1181:
	s_and_b64 vcc, exec, s[4:5]
	s_cbranch_vccnz .LBB60_1183
; %bb.1182:
	buffer_load_dword v124, v127, s[0:3], 0 offen
	buffer_load_dword v125, v127, s[0:3], 0 offen offset:4
	ds_read_b64 v[128:129], v126
	s_waitcnt vmcnt(0) lgkmcnt(0)
	v_mul_f64 v[124:125], v[124:125], v[128:129]
	s_cbranch_execz .LBB60_1184
	s_branch .LBB60_1185
.LBB60_1183:
                                        ; implicit-def: $vgpr124_vgpr125
.LBB60_1184:
	ds_read_b64 v[124:125], v126
.LBB60_1185:
	s_and_saveexec_b64 s[4:5], s[6:7]
	s_cbranch_execz .LBB60_1189
; %bb.1186:
	v_mov_b32_e32 v127, 0
	v_add_u32_e32 v126, 0x1f8, v1
	v_add3_u32 v1, v1, v127, 8
	s_mov_b64 s[6:7], 0
.LBB60_1187:                            ; =>This Inner Loop Header: Depth=1
	buffer_load_dword v128, v1, s[0:3], 0 offen
	buffer_load_dword v129, v1, s[0:3], 0 offen offset:4
	ds_read_b64 v[130:131], v126
	v_add_u32_e32 v0, 1, v0
	v_cmp_lt_u32_e32 vcc, 58, v0
	v_add_u32_e32 v126, 8, v126
	v_add_u32_e32 v1, 8, v1
	s_or_b64 s[6:7], vcc, s[6:7]
	s_waitcnt vmcnt(0) lgkmcnt(0)
	v_fmac_f64_e32 v[124:125], v[128:129], v[130:131]
	s_andn2_b64 exec, exec, s[6:7]
	s_cbranch_execnz .LBB60_1187
; %bb.1188:
	s_or_b64 exec, exec, s[6:7]
.LBB60_1189:
	s_or_b64 exec, exec, s[4:5]
	v_mov_b32_e32 v0, 0
	ds_read_b64 v[0:1], v0 offset:480
	s_waitcnt lgkmcnt(0)
	v_mul_f64 v[0:1], v[124:125], v[0:1]
	buffer_store_dword v1, off, s[0:3], 0 offset:484
	buffer_store_dword v0, off, s[0:3], 0 offset:480
.LBB60_1190:
	s_or_b64 exec, exec, s[8:9]
.LBB60_1191:
	buffer_load_dword v0, off, s[0:3], 0
	buffer_load_dword v1, off, s[0:3], 0 offset:4
	buffer_load_dword v124, off, s[0:3], 0 offset:8
	buffer_load_dword v125, off, s[0:3], 0 offset:12
	buffer_load_dword v126, off, s[0:3], 0 offset:16
	buffer_load_dword v127, off, s[0:3], 0 offset:20
	buffer_load_dword v128, off, s[0:3], 0 offset:24
	buffer_load_dword v129, off, s[0:3], 0 offset:28
	buffer_load_dword v130, off, s[0:3], 0 offset:32
	buffer_load_dword v131, off, s[0:3], 0 offset:36
	buffer_load_dword v132, off, s[0:3], 0 offset:40
	buffer_load_dword v133, off, s[0:3], 0 offset:44
	buffer_load_dword v134, off, s[0:3], 0 offset:48
	buffer_load_dword v135, off, s[0:3], 0 offset:52
	buffer_load_dword v136, off, s[0:3], 0 offset:56
	buffer_load_dword v137, off, s[0:3], 0 offset:60
	buffer_load_dword v138, off, s[0:3], 0 offset:72
	buffer_load_dword v139, off, s[0:3], 0 offset:76
	buffer_load_dword v140, off, s[0:3], 0 offset:80
	buffer_load_dword v141, off, s[0:3], 0 offset:84
	buffer_load_dword v142, off, s[0:3], 0 offset:88
	buffer_load_dword v143, off, s[0:3], 0 offset:92
	buffer_load_dword v145, off, s[0:3], 0 offset:68
	buffer_load_dword v144, off, s[0:3], 0 offset:64
	buffer_load_dword v146, off, s[0:3], 0 offset:96
	buffer_load_dword v147, off, s[0:3], 0 offset:100
	buffer_load_dword v148, off, s[0:3], 0 offset:104
	buffer_load_dword v149, off, s[0:3], 0 offset:108
	buffer_load_dword v150, off, s[0:3], 0 offset:112
	buffer_load_dword v151, off, s[0:3], 0 offset:116
	buffer_load_dword v152, off, s[0:3], 0 offset:120
	buffer_load_dword v153, off, s[0:3], 0 offset:124
	buffer_load_dword v154, off, s[0:3], 0 offset:128
	buffer_load_dword v155, off, s[0:3], 0 offset:132
	buffer_load_dword v156, off, s[0:3], 0 offset:136
	buffer_load_dword v157, off, s[0:3], 0 offset:140
	buffer_load_dword v158, off, s[0:3], 0 offset:144
	buffer_load_dword v159, off, s[0:3], 0 offset:148
	buffer_load_dword v160, off, s[0:3], 0 offset:152
	buffer_load_dword v161, off, s[0:3], 0 offset:156
	buffer_load_dword v162, off, s[0:3], 0 offset:160
	buffer_load_dword v163, off, s[0:3], 0 offset:164
	buffer_load_dword v164, off, s[0:3], 0 offset:168
	buffer_load_dword v165, off, s[0:3], 0 offset:172
	buffer_load_dword v166, off, s[0:3], 0 offset:176
	buffer_load_dword v167, off, s[0:3], 0 offset:180
	buffer_load_dword v168, off, s[0:3], 0 offset:184
	buffer_load_dword v169, off, s[0:3], 0 offset:188
	buffer_load_dword v170, off, s[0:3], 0 offset:192
	buffer_load_dword v171, off, s[0:3], 0 offset:196
	buffer_load_dword v172, off, s[0:3], 0 offset:200
	buffer_load_dword v173, off, s[0:3], 0 offset:204
	buffer_load_dword v174, off, s[0:3], 0 offset:208
	buffer_load_dword v175, off, s[0:3], 0 offset:212
	buffer_load_dword v176, off, s[0:3], 0 offset:216
	buffer_load_dword v177, off, s[0:3], 0 offset:220
	buffer_load_dword v178, off, s[0:3], 0 offset:224
	buffer_load_dword v179, off, s[0:3], 0 offset:228
	buffer_load_dword v180, off, s[0:3], 0 offset:232
	buffer_load_dword v181, off, s[0:3], 0 offset:236
	buffer_load_dword v182, off, s[0:3], 0 offset:240
	buffer_load_dword v183, off, s[0:3], 0 offset:244
	buffer_load_dword v184, off, s[0:3], 0 offset:248
	buffer_load_dword v185, off, s[0:3], 0 offset:252
	buffer_load_dword v186, off, s[0:3], 0 offset:256
	buffer_load_dword v187, off, s[0:3], 0 offset:260
	buffer_load_dword v188, off, s[0:3], 0 offset:264
	buffer_load_dword v189, off, s[0:3], 0 offset:268
	buffer_load_dword v190, off, s[0:3], 0 offset:272
	buffer_load_dword v191, off, s[0:3], 0 offset:276
	buffer_load_dword v192, off, s[0:3], 0 offset:280
	buffer_load_dword v193, off, s[0:3], 0 offset:284
	buffer_load_dword v194, off, s[0:3], 0 offset:288
	buffer_load_dword v195, off, s[0:3], 0 offset:292
	buffer_load_dword v196, off, s[0:3], 0 offset:296
	buffer_load_dword v197, off, s[0:3], 0 offset:300
	buffer_load_dword v198, off, s[0:3], 0 offset:304
	buffer_load_dword v199, off, s[0:3], 0 offset:308
	buffer_load_dword v200, off, s[0:3], 0 offset:312
	buffer_load_dword v201, off, s[0:3], 0 offset:316
	buffer_load_dword v202, off, s[0:3], 0 offset:320
	buffer_load_dword v203, off, s[0:3], 0 offset:324
	buffer_load_dword v204, off, s[0:3], 0 offset:328
	buffer_load_dword v205, off, s[0:3], 0 offset:332
	buffer_load_dword v206, off, s[0:3], 0 offset:336
	buffer_load_dword v207, off, s[0:3], 0 offset:340
	buffer_load_dword v208, off, s[0:3], 0 offset:344
	buffer_load_dword v209, off, s[0:3], 0 offset:348
	buffer_load_dword v210, off, s[0:3], 0 offset:352
	buffer_load_dword v211, off, s[0:3], 0 offset:356
	buffer_load_dword v212, off, s[0:3], 0 offset:360
	buffer_load_dword v213, off, s[0:3], 0 offset:364
	buffer_load_dword v214, off, s[0:3], 0 offset:368
	buffer_load_dword v215, off, s[0:3], 0 offset:372
	buffer_load_dword v216, off, s[0:3], 0 offset:376
	buffer_load_dword v217, off, s[0:3], 0 offset:380
	buffer_load_dword v218, off, s[0:3], 0 offset:384
	buffer_load_dword v219, off, s[0:3], 0 offset:388
	buffer_load_dword v220, off, s[0:3], 0 offset:392
	buffer_load_dword v221, off, s[0:3], 0 offset:396
	buffer_load_dword v222, off, s[0:3], 0 offset:400
	buffer_load_dword v223, off, s[0:3], 0 offset:404
	buffer_load_dword v224, off, s[0:3], 0 offset:408
	buffer_load_dword v225, off, s[0:3], 0 offset:412
	buffer_load_dword v226, off, s[0:3], 0 offset:416
	buffer_load_dword v227, off, s[0:3], 0 offset:420
	buffer_load_dword v228, off, s[0:3], 0 offset:424
	buffer_load_dword v229, off, s[0:3], 0 offset:428
	buffer_load_dword v230, off, s[0:3], 0 offset:432
	buffer_load_dword v231, off, s[0:3], 0 offset:436
	buffer_load_dword v232, off, s[0:3], 0 offset:440
	buffer_load_dword v233, off, s[0:3], 0 offset:444
	buffer_load_dword v234, off, s[0:3], 0 offset:448
	buffer_load_dword v235, off, s[0:3], 0 offset:452
	buffer_load_dword v236, off, s[0:3], 0 offset:456
	buffer_load_dword v237, off, s[0:3], 0 offset:460
	buffer_load_dword v238, off, s[0:3], 0 offset:464
	buffer_load_dword v239, off, s[0:3], 0 offset:468
	buffer_load_dword v240, off, s[0:3], 0 offset:472
	buffer_load_dword v241, off, s[0:3], 0 offset:476
	buffer_load_dword v242, off, s[0:3], 0 offset:480
	buffer_load_dword v243, off, s[0:3], 0 offset:484
	s_waitcnt vmcnt(62)
	global_store_dwordx2 v[2:3], v[0:1], off
	global_store_dwordx2 v[4:5], v[124:125], off
	;; [unrolled: 1-line block ×30, first 2 shown]
	s_waitcnt vmcnt(62)
	global_store_dwordx2 v[62:63], v[182:183], off
	global_store_dwordx2 v[64:65], v[184:185], off
	;; [unrolled: 1-line block ×15, first 2 shown]
	s_waitcnt vmcnt(62)
	global_store_dwordx2 v[92:93], v[212:213], off
	global_store_dwordx2 v[94:95], v[214:215], off
	;; [unrolled: 1-line block ×7, first 2 shown]
	s_waitcnt vmcnt(62)
	global_store_dwordx2 v[106:107], v[226:227], off
	global_store_dwordx2 v[108:109], v[228:229], off
	;; [unrolled: 1-line block ×4, first 2 shown]
	s_waitcnt vmcnt(62)
	global_store_dwordx2 v[114:115], v[234:235], off
	global_store_dwordx2 v[116:117], v[236:237], off
	s_waitcnt vmcnt(62)
	global_store_dwordx2 v[118:119], v[238:239], off
	s_waitcnt vmcnt(61)
	;; [unrolled: 2-line block ×3, first 2 shown]
	global_store_dwordx2 v[122:123], v[242:243], off
.LBB60_1192:
	s_endpgm
	.section	.rodata,"a",@progbits
	.p2align	6, 0x0
	.amdhsa_kernel _ZN9rocsolver6v33100L18trti2_kernel_smallILi61EdPdEEv13rocblas_fill_17rocblas_diagonal_T1_iil
		.amdhsa_group_segment_fixed_size 984
		.amdhsa_private_segment_fixed_size 496
		.amdhsa_kernarg_size 32
		.amdhsa_user_sgpr_count 8
		.amdhsa_user_sgpr_private_segment_buffer 1
		.amdhsa_user_sgpr_dispatch_ptr 0
		.amdhsa_user_sgpr_queue_ptr 0
		.amdhsa_user_sgpr_kernarg_segment_ptr 1
		.amdhsa_user_sgpr_dispatch_id 0
		.amdhsa_user_sgpr_flat_scratch_init 1
		.amdhsa_user_sgpr_kernarg_preload_length 0
		.amdhsa_user_sgpr_kernarg_preload_offset 0
		.amdhsa_user_sgpr_private_segment_size 0
		.amdhsa_uses_dynamic_stack 0
		.amdhsa_system_sgpr_private_segment_wavefront_offset 1
		.amdhsa_system_sgpr_workgroup_id_x 1
		.amdhsa_system_sgpr_workgroup_id_y 0
		.amdhsa_system_sgpr_workgroup_id_z 0
		.amdhsa_system_sgpr_workgroup_info 0
		.amdhsa_system_vgpr_workitem_id 0
		.amdhsa_next_free_vgpr 244
		.amdhsa_next_free_sgpr 20
		.amdhsa_accum_offset 244
		.amdhsa_reserve_vcc 1
		.amdhsa_reserve_flat_scratch 0
		.amdhsa_float_round_mode_32 0
		.amdhsa_float_round_mode_16_64 0
		.amdhsa_float_denorm_mode_32 3
		.amdhsa_float_denorm_mode_16_64 3
		.amdhsa_dx10_clamp 1
		.amdhsa_ieee_mode 1
		.amdhsa_fp16_overflow 0
		.amdhsa_tg_split 0
		.amdhsa_exception_fp_ieee_invalid_op 0
		.amdhsa_exception_fp_denorm_src 0
		.amdhsa_exception_fp_ieee_div_zero 0
		.amdhsa_exception_fp_ieee_overflow 0
		.amdhsa_exception_fp_ieee_underflow 0
		.amdhsa_exception_fp_ieee_inexact 0
		.amdhsa_exception_int_div_zero 0
	.end_amdhsa_kernel
	.section	.text._ZN9rocsolver6v33100L18trti2_kernel_smallILi61EdPdEEv13rocblas_fill_17rocblas_diagonal_T1_iil,"axG",@progbits,_ZN9rocsolver6v33100L18trti2_kernel_smallILi61EdPdEEv13rocblas_fill_17rocblas_diagonal_T1_iil,comdat
.Lfunc_end60:
	.size	_ZN9rocsolver6v33100L18trti2_kernel_smallILi61EdPdEEv13rocblas_fill_17rocblas_diagonal_T1_iil, .Lfunc_end60-_ZN9rocsolver6v33100L18trti2_kernel_smallILi61EdPdEEv13rocblas_fill_17rocblas_diagonal_T1_iil
                                        ; -- End function
	.section	.AMDGPU.csdata,"",@progbits
; Kernel info:
; codeLenInByte = 35756
; NumSgprs: 24
; NumVgprs: 244
; NumAgprs: 0
; TotalNumVgprs: 244
; ScratchSize: 496
; MemoryBound: 0
; FloatMode: 240
; IeeeMode: 1
; LDSByteSize: 984 bytes/workgroup (compile time only)
; SGPRBlocks: 2
; VGPRBlocks: 30
; NumSGPRsForWavesPerEU: 24
; NumVGPRsForWavesPerEU: 244
; AccumOffset: 244
; Occupancy: 2
; WaveLimiterHint : 0
; COMPUTE_PGM_RSRC2:SCRATCH_EN: 1
; COMPUTE_PGM_RSRC2:USER_SGPR: 8
; COMPUTE_PGM_RSRC2:TRAP_HANDLER: 0
; COMPUTE_PGM_RSRC2:TGID_X_EN: 1
; COMPUTE_PGM_RSRC2:TGID_Y_EN: 0
; COMPUTE_PGM_RSRC2:TGID_Z_EN: 0
; COMPUTE_PGM_RSRC2:TIDIG_COMP_CNT: 0
; COMPUTE_PGM_RSRC3_GFX90A:ACCUM_OFFSET: 60
; COMPUTE_PGM_RSRC3_GFX90A:TG_SPLIT: 0
	.section	.text._ZN9rocsolver6v33100L18trti2_kernel_smallILi62EdPdEEv13rocblas_fill_17rocblas_diagonal_T1_iil,"axG",@progbits,_ZN9rocsolver6v33100L18trti2_kernel_smallILi62EdPdEEv13rocblas_fill_17rocblas_diagonal_T1_iil,comdat
	.globl	_ZN9rocsolver6v33100L18trti2_kernel_smallILi62EdPdEEv13rocblas_fill_17rocblas_diagonal_T1_iil ; -- Begin function _ZN9rocsolver6v33100L18trti2_kernel_smallILi62EdPdEEv13rocblas_fill_17rocblas_diagonal_T1_iil
	.p2align	8
	.type	_ZN9rocsolver6v33100L18trti2_kernel_smallILi62EdPdEEv13rocblas_fill_17rocblas_diagonal_T1_iil,@function
_ZN9rocsolver6v33100L18trti2_kernel_smallILi62EdPdEEv13rocblas_fill_17rocblas_diagonal_T1_iil: ; @_ZN9rocsolver6v33100L18trti2_kernel_smallILi62EdPdEEv13rocblas_fill_17rocblas_diagonal_T1_iil
; %bb.0:
	s_add_u32 s0, s0, s9
	s_addc_u32 s1, s1, 0
	v_cmp_gt_u32_e32 vcc, 62, v0
	s_and_saveexec_b64 s[6:7], vcc
	s_cbranch_execz .LBB61_1212
; %bb.1:
	s_load_dwordx8 s[12:19], s[4:5], 0x0
	s_ashr_i32 s6, s8, 31
	s_waitcnt lgkmcnt(0)
	s_mul_i32 s7, s8, s19
	s_mul_hi_u32 s9, s8, s18
	s_add_i32 s7, s9, s7
	s_mul_i32 s6, s6, s18
	s_add_i32 s7, s7, s6
	s_mul_i32 s6, s8, s18
	s_ashr_i32 s5, s16, 31
	s_lshl_b64 s[6:7], s[6:7], 3
	s_mov_b32 s4, s16
	s_add_u32 s6, s14, s6
	s_addc_u32 s7, s15, s7
	s_lshl_b64 s[4:5], s[4:5], 3
	s_add_u32 s4, s6, s4
	s_addc_u32 s5, s7, s5
	s_add_i32 s6, s17, s17
	v_add_u32_e32 v4, s6, v0
	v_ashrrev_i32_e32 v5, 31, v4
	v_lshlrev_b64 v[2:3], 3, v[4:5]
	v_add_u32_e32 v6, s17, v4
	v_mov_b32_e32 v1, s5
	v_add_co_u32_e32 v2, vcc, s4, v2
	v_ashrrev_i32_e32 v7, 31, v6
	v_addc_co_u32_e32 v3, vcc, v1, v3, vcc
	v_lshlrev_b64 v[4:5], 3, v[6:7]
	v_add_u32_e32 v8, s17, v6
	v_add_co_u32_e32 v4, vcc, s4, v4
	v_ashrrev_i32_e32 v9, 31, v8
	v_addc_co_u32_e32 v5, vcc, v1, v5, vcc
	v_lshlrev_b64 v[6:7], 3, v[8:9]
	v_add_u32_e32 v10, s17, v8
	;; [unrolled: 5-line block ×51, first 2 shown]
	v_add_co_u32_e32 v104, vcc, s4, v104
	v_ashrrev_i32_e32 v109, 31, v108
	v_addc_co_u32_e32 v105, vcc, v1, v105, vcc
	v_lshlrev_b64 v[106:107], 3, v[108:109]
	v_add_co_u32_e32 v106, vcc, s4, v106
	v_addc_co_u32_e32 v107, vcc, v1, v107, vcc
	v_lshlrev_b32_e32 v1, 3, v0
	global_load_dwordx2 v[126:127], v1, s[4:5]
	global_load_dwordx2 v[130:131], v[2:3], off
	global_load_dwordx2 v[132:133], v[4:5], off
	;; [unrolled: 1-line block ×3, first 2 shown]
	v_mov_b32_e32 v109, s5
	v_add_co_u32_e32 v116, vcc, s4, v1
	s_ashr_i32 s7, s17, 31
	s_mov_b32 s6, s17
	v_addc_co_u32_e32 v117, vcc, 0, v109, vcc
	s_lshl_b64 s[6:7], s[6:7], 3
	v_mov_b32_e32 v109, s7
	v_add_co_u32_e32 v118, vcc, s6, v116
	v_addc_co_u32_e32 v119, vcc, v117, v109, vcc
	global_load_dwordx2 v[128:129], v[118:119], off
	global_load_dwordx2 v[136:137], v[8:9], off
	;; [unrolled: 1-line block ×7, first 2 shown]
	v_add_u32_e32 v110, s17, v108
	global_load_dwordx2 v[148:149], v[20:21], off
	global_load_dwordx2 v[150:151], v[22:23], off
	v_ashrrev_i32_e32 v111, 31, v110
	v_lshlrev_b64 v[108:109], 3, v[110:111]
	v_mov_b32_e32 v112, s5
	v_add_co_u32_e32 v108, vcc, s4, v108
	v_addc_co_u32_e32 v109, vcc, v112, v109, vcc
	v_add_u32_e32 v112, s17, v110
	v_ashrrev_i32_e32 v113, 31, v112
	v_lshlrev_b64 v[110:111], 3, v[112:113]
	v_mov_b32_e32 v114, s5
	v_add_co_u32_e32 v110, vcc, s4, v110
	v_addc_co_u32_e32 v111, vcc, v114, v111, vcc
	v_add_u32_e32 v114, s17, v112
	v_ashrrev_i32_e32 v115, 31, v114
	global_load_dwordx2 v[152:153], v[24:25], off
	global_load_dwordx2 v[154:155], v[26:27], off
	v_lshlrev_b64 v[112:113], 3, v[114:115]
	v_mov_b32_e32 v120, s5
	v_add_co_u32_e32 v112, vcc, s4, v112
	v_addc_co_u32_e32 v113, vcc, v120, v113, vcc
	v_add_u32_e32 v120, s17, v114
	v_ashrrev_i32_e32 v121, 31, v120
	v_lshlrev_b64 v[114:115], 3, v[120:121]
	v_mov_b32_e32 v122, s5
	v_add_co_u32_e32 v114, vcc, s4, v114
	v_addc_co_u32_e32 v115, vcc, v122, v115, vcc
	v_add_u32_e32 v122, s17, v120
	global_load_dwordx2 v[156:157], v[28:29], off
	global_load_dwordx2 v[158:159], v[30:31], off
	v_ashrrev_i32_e32 v123, 31, v122
	v_lshlrev_b64 v[120:121], 3, v[122:123]
	v_mov_b32_e32 v124, s5
	v_add_co_u32_e32 v120, vcc, s4, v120
	v_addc_co_u32_e32 v121, vcc, v124, v121, vcc
	v_add_u32_e32 v124, s17, v122
	v_ashrrev_i32_e32 v125, 31, v124
	v_lshlrev_b64 v[122:123], 3, v[124:125]
	v_mov_b32_e32 v160, s5
	v_add_co_u32_e32 v122, vcc, s4, v122
	v_addc_co_u32_e32 v123, vcc, v160, v123, vcc
	global_load_dwordx2 v[160:161], v[32:33], off
	global_load_dwordx2 v[162:163], v[34:35], off
	v_add_u32_e32 v124, s17, v124
	v_ashrrev_i32_e32 v125, 31, v124
	v_lshlrev_b64 v[124:125], 3, v[124:125]
	global_load_dwordx2 v[164:165], v[36:37], off
	v_mov_b32_e32 v166, s5
	v_add_co_u32_e32 v124, vcc, s4, v124
	v_addc_co_u32_e32 v125, vcc, v166, v125, vcc
	global_load_dwordx2 v[166:167], v[124:125], off
	global_load_dwordx2 v[168:169], v[38:39], off
	s_waitcnt vmcnt(21)
	buffer_store_dword v127, off, s[0:3], 0 offset:4
	buffer_store_dword v126, off, s[0:3], 0
	global_load_dwordx2 v[126:127], v[40:41], off
	s_cmpk_lg_i32 s13, 0x84
	global_load_dwordx2 v[170:171], v[42:43], off
	global_load_dwordx2 v[172:173], v[46:47], off
	;; [unrolled: 1-line block ×20, first 2 shown]
	s_cselect_b64 s[8:9], -1, 0
	s_waitcnt vmcnt(40)
	buffer_store_dword v129, off, s[0:3], 0 offset:12
	buffer_store_dword v128, off, s[0:3], 0 offset:8
	global_load_dwordx2 v[128:129], v[44:45], off
	s_cmpk_eq_i32 s13, 0x84
	buffer_store_dword v131, off, s[0:3], 0 offset:20
	buffer_store_dword v130, off, s[0:3], 0 offset:16
	global_load_dwordx2 v[130:131], v[48:49], off
	s_nop 0
	buffer_store_dword v133, off, s[0:3], 0 offset:28
	buffer_store_dword v132, off, s[0:3], 0 offset:24
	global_load_dwordx2 v[132:133], v[52:53], off
	s_nop 0
	buffer_store_dword v135, off, s[0:3], 0 offset:36
	buffer_store_dword v134, off, s[0:3], 0 offset:32
	global_load_dwordx2 v[134:135], v[56:57], off
	s_waitcnt vmcnt(51)
	buffer_store_dword v137, off, s[0:3], 0 offset:44
	buffer_store_dword v136, off, s[0:3], 0 offset:40
	global_load_dwordx2 v[136:137], v[60:61], off
	s_waitcnt vmcnt(53)
	;; [unrolled: 4-line block ×7, first 2 shown]
	buffer_store_dword v148, off, s[0:3], 0 offset:88
	buffer_store_dword v149, off, s[0:3], 0 offset:92
	global_load_dwordx2 v[148:149], v[84:85], off
	s_nop 0
	buffer_store_dword v150, off, s[0:3], 0 offset:96
	buffer_store_dword v151, off, s[0:3], 0 offset:100
	global_load_dwordx2 v[150:151], v[88:89], off
	s_waitcnt vmcnt(62)
	buffer_store_dword v152, off, s[0:3], 0 offset:104
	buffer_store_dword v153, off, s[0:3], 0 offset:108
	global_load_dwordx2 v[152:153], v[92:93], off
	s_nop 0
	buffer_store_dword v155, off, s[0:3], 0 offset:116
	buffer_store_dword v154, off, s[0:3], 0 offset:112
	global_load_dwordx2 v[154:155], v[96:97], off
	s_nop 0
	;; [unrolled: 4-line block ×5, first 2 shown]
	buffer_store_dword v162, off, s[0:3], 0 offset:144
	buffer_store_dword v163, off, s[0:3], 0 offset:148
	global_load_dwordx2 v[162:163], v[112:113], off
	s_waitcnt vmcnt(62)
	buffer_store_dword v165, off, s[0:3], 0 offset:156
	buffer_store_dword v164, off, s[0:3], 0 offset:152
	global_load_dwordx2 v[164:165], v[120:121], off
	s_nop 0
	buffer_store_dword v169, off, s[0:3], 0 offset:164
	buffer_store_dword v168, off, s[0:3], 0 offset:160
	;; [unrolled: 1-line block ×6, first 2 shown]
	s_waitcnt vmcnt(60)
	buffer_store_dword v128, off, s[0:3], 0 offset:184
	buffer_store_dword v129, off, s[0:3], 0 offset:188
	buffer_store_dword v172, off, s[0:3], 0 offset:192
	buffer_store_dword v173, off, s[0:3], 0 offset:196
	s_waitcnt vmcnt(61)
	buffer_store_dword v131, off, s[0:3], 0 offset:204
	buffer_store_dword v130, off, s[0:3], 0 offset:200
	buffer_store_dword v175, off, s[0:3], 0 offset:212
	buffer_store_dword v174, off, s[0:3], 0 offset:208
	;; [unrolled: 5-line block ×6, first 2 shown]
	buffer_store_dword v140, off, s[0:3], 0 offset:280
	buffer_store_dword v141, off, s[0:3], 0 offset:284
	;; [unrolled: 1-line block ×4, first 2 shown]
	s_waitcnt vmcnt(62)
	buffer_store_dword v143, off, s[0:3], 0 offset:300
	buffer_store_dword v142, off, s[0:3], 0 offset:296
	;; [unrolled: 1-line block ×8, first 2 shown]
	s_waitcnt vmcnt(62)
	buffer_store_dword v146, off, s[0:3], 0 offset:328
	buffer_store_dword v147, off, s[0:3], 0 offset:332
	;; [unrolled: 1-line block ×12, first 2 shown]
	s_waitcnt vmcnt(62)
	buffer_store_dword v152, off, s[0:3], 0 offset:376
	buffer_store_dword v153, off, s[0:3], 0 offset:380
	;; [unrolled: 1-line block ×16, first 2 shown]
	s_waitcnt vmcnt(62)
	buffer_store_dword v161, off, s[0:3], 0 offset:444
	buffer_store_dword v160, off, s[0:3], 0 offset:440
	;; [unrolled: 1-line block ×14, first 2 shown]
	v_mov_b32_e32 v126, 0
	v_mov_b32_e32 v188, 0
	;; [unrolled: 1-line block ×3, first 2 shown]
	s_cbranch_scc1 .LBB61_3
; %bb.2:
	v_lshl_add_u32 v136, v0, 3, v188
	buffer_load_dword v126, v136, s[0:3], 0 offen
	buffer_load_dword v127, v136, s[0:3], 0 offen offset:4
	s_waitcnt vmcnt(0)
	v_div_scale_f64 v[128:129], s[4:5], v[126:127], v[126:127], 1.0
	v_rcp_f64_e32 v[130:131], v[128:129]
	v_div_scale_f64 v[132:133], vcc, 1.0, v[126:127], 1.0
	v_fma_f64 v[134:135], -v[128:129], v[130:131], 1.0
	v_fmac_f64_e32 v[130:131], v[130:131], v[134:135]
	v_fma_f64 v[134:135], -v[128:129], v[130:131], 1.0
	v_fmac_f64_e32 v[130:131], v[130:131], v[134:135]
	v_mul_f64 v[134:135], v[132:133], v[130:131]
	v_fma_f64 v[128:129], -v[128:129], v[134:135], v[132:133]
	v_div_fmas_f64 v[128:129], v[128:129], v[130:131], v[134:135]
	v_div_fixup_f64 v[126:127], v[128:129], v[126:127], 1.0
	buffer_store_dword v126, v136, s[0:3], 0 offen
	buffer_store_dword v127, v136, s[0:3], 0 offen offset:4
	v_xor_b32_e32 v127, 0x80000000, v127
.LBB61_3:
	s_cmpk_eq_i32 s12, 0x79
	v_add_u32_e32 v128, 0x1f0, v1
	v_add_u32_e32 v129, 0, v1
	s_mov_b64 s[4:5], -1
	ds_write_b64 v1, v[126:127]
	s_cbranch_scc1 .LBB61_607
; %bb.4:
	buffer_load_dword v126, off, s[0:3], 0 offset:480
	buffer_load_dword v127, off, s[0:3], 0 offset:484
	v_cmp_eq_u32_e64 s[4:5], 61, v0
	s_waitcnt vmcnt(0)
	ds_write_b64 v128, v[126:127]
	s_waitcnt lgkmcnt(0)
	; wave barrier
	s_waitcnt lgkmcnt(0)
	s_and_saveexec_b64 s[6:7], s[4:5]
	s_cbranch_execz .LBB61_10
; %bb.5:
	s_and_b64 vcc, exec, s[8:9]
	s_cbranch_vccz .LBB61_7
; %bb.6:
	buffer_load_dword v126, v129, s[0:3], 0 offen
	buffer_load_dword v127, v129, s[0:3], 0 offen offset:4
	ds_read_b64 v[130:131], v128
	s_waitcnt vmcnt(0) lgkmcnt(0)
	v_mul_f64 v[126:127], v[126:127], v[130:131]
	s_cbranch_execz .LBB61_8
	s_branch .LBB61_9
.LBB61_7:
                                        ; implicit-def: $vgpr126_vgpr127
.LBB61_8:
	ds_read_b64 v[126:127], v128
.LBB61_9:
	v_mov_b32_e32 v130, 0
	ds_read_b64 v[130:131], v130 offset:480
	s_waitcnt lgkmcnt(0)
	v_mul_f64 v[126:127], v[126:127], v[130:131]
	buffer_store_dword v127, off, s[0:3], 0 offset:484
	buffer_store_dword v126, off, s[0:3], 0 offset:480
.LBB61_10:
	s_or_b64 exec, exec, s[6:7]
	buffer_load_dword v126, off, s[0:3], 0 offset:472
	buffer_load_dword v127, off, s[0:3], 0 offset:476
	v_or_b32_e32 v130, 8, v188
	v_add_u32_e32 v131, 16, v188
	v_add_u32_e32 v132, 24, v188
	;; [unrolled: 1-line block ×58, first 2 shown]
	v_cmp_lt_u32_e64 s[6:7], 59, v0
	s_waitcnt vmcnt(0)
	ds_write_b64 v128, v[126:127]
	s_waitcnt lgkmcnt(0)
	; wave barrier
	s_waitcnt lgkmcnt(0)
	s_and_saveexec_b64 s[10:11], s[6:7]
	s_cbranch_execz .LBB61_16
; %bb.11:
	s_andn2_b64 vcc, exec, s[8:9]
	s_cbranch_vccnz .LBB61_13
; %bb.12:
	buffer_load_dword v126, v129, s[0:3], 0 offen
	buffer_load_dword v127, v129, s[0:3], 0 offen offset:4
	ds_read_b64 v[190:191], v128
	s_waitcnt vmcnt(0) lgkmcnt(0)
	v_mul_f64 v[126:127], v[126:127], v[190:191]
	s_cbranch_execz .LBB61_14
	s_branch .LBB61_15
.LBB61_13:
                                        ; implicit-def: $vgpr126_vgpr127
.LBB61_14:
	ds_read_b64 v[126:127], v128
.LBB61_15:
	buffer_load_dword v194, off, s[0:3], 0 offset:480
	buffer_load_dword v195, off, s[0:3], 0 offset:484
	v_mov_b32_e32 v189, 0
	ds_read2_b64 v[190:193], v189 offset0:59 offset1:122
	s_waitcnt vmcnt(0) lgkmcnt(0)
	v_fma_f64 v[192:193], v[194:195], v[192:193], v[126:127]
	v_cndmask_b32_e64 v127, v127, v193, s[4:5]
	v_cndmask_b32_e64 v126, v126, v192, s[4:5]
	v_mul_f64 v[126:127], v[126:127], v[190:191]
	buffer_store_dword v127, off, s[0:3], 0 offset:476
	buffer_store_dword v126, off, s[0:3], 0 offset:472
.LBB61_16:
	s_or_b64 exec, exec, s[10:11]
	buffer_load_dword v126, off, s[0:3], 0 offset:464
	buffer_load_dword v127, off, s[0:3], 0 offset:468
	v_cmp_lt_u32_e64 s[4:5], 58, v0
	s_waitcnt vmcnt(0)
	ds_write_b64 v128, v[126:127]
	s_waitcnt lgkmcnt(0)
	; wave barrier
	s_waitcnt lgkmcnt(0)
	s_and_saveexec_b64 s[10:11], s[4:5]
	s_cbranch_execz .LBB61_26
; %bb.17:
	s_andn2_b64 vcc, exec, s[8:9]
	s_cbranch_vccnz .LBB61_19
; %bb.18:
	buffer_load_dword v126, v129, s[0:3], 0 offen
	buffer_load_dword v127, v129, s[0:3], 0 offen offset:4
	ds_read_b64 v[190:191], v128
	s_waitcnt vmcnt(0) lgkmcnt(0)
	v_mul_f64 v[126:127], v[126:127], v[190:191]
	s_cbranch_execz .LBB61_20
	s_branch .LBB61_21
.LBB61_19:
                                        ; implicit-def: $vgpr126_vgpr127
.LBB61_20:
	ds_read_b64 v[126:127], v128
.LBB61_21:
	s_and_saveexec_b64 s[12:13], s[6:7]
	s_cbranch_execz .LBB61_25
; %bb.22:
	v_subrev_u32_e32 v189, 59, v0
	s_movk_i32 s14, 0x3c8
	s_mov_b64 s[6:7], 0
.LBB61_23:                              ; =>This Inner Loop Header: Depth=1
	buffer_load_dword v190, v188, s[0:3], 0 offen
	buffer_load_dword v191, v188, s[0:3], 0 offen offset:4
	v_mov_b32_e32 v192, s14
	ds_read_b64 v[192:193], v192
	v_add_u32_e32 v189, -1, v189
	s_add_i32 s14, s14, 8
	v_cmp_eq_u32_e32 vcc, 0, v189
	v_add_u32_e32 v188, 8, v188
	s_or_b64 s[6:7], vcc, s[6:7]
	s_waitcnt vmcnt(0) lgkmcnt(0)
	v_fmac_f64_e32 v[126:127], v[190:191], v[192:193]
	s_andn2_b64 exec, exec, s[6:7]
	s_cbranch_execnz .LBB61_23
; %bb.24:
	s_or_b64 exec, exec, s[6:7]
.LBB61_25:
	s_or_b64 exec, exec, s[12:13]
	v_mov_b32_e32 v188, 0
	ds_read_b64 v[188:189], v188 offset:464
	s_waitcnt lgkmcnt(0)
	v_mul_f64 v[126:127], v[126:127], v[188:189]
	buffer_store_dword v127, off, s[0:3], 0 offset:468
	buffer_store_dword v126, off, s[0:3], 0 offset:464
.LBB61_26:
	s_or_b64 exec, exec, s[10:11]
	buffer_load_dword v126, off, s[0:3], 0 offset:456
	buffer_load_dword v127, off, s[0:3], 0 offset:460
	v_cmp_lt_u32_e64 s[6:7], 57, v0
	s_waitcnt vmcnt(0)
	ds_write_b64 v128, v[126:127]
	s_waitcnt lgkmcnt(0)
	; wave barrier
	s_waitcnt lgkmcnt(0)
	s_and_saveexec_b64 s[10:11], s[6:7]
	s_cbranch_execz .LBB61_36
; %bb.27:
	s_andn2_b64 vcc, exec, s[8:9]
	s_cbranch_vccnz .LBB61_29
; %bb.28:
	buffer_load_dword v126, v129, s[0:3], 0 offen
	buffer_load_dword v127, v129, s[0:3], 0 offen offset:4
	ds_read_b64 v[188:189], v128
	s_waitcnt vmcnt(0) lgkmcnt(0)
	v_mul_f64 v[126:127], v[126:127], v[188:189]
	s_cbranch_execz .LBB61_30
	s_branch .LBB61_31
.LBB61_29:
                                        ; implicit-def: $vgpr126_vgpr127
.LBB61_30:
	ds_read_b64 v[126:127], v128
.LBB61_31:
	s_and_saveexec_b64 s[12:13], s[4:5]
	s_cbranch_execz .LBB61_35
; %bb.32:
	v_subrev_u32_e32 v188, 58, v0
	s_movk_i32 s14, 0x3c0
	s_mov_b64 s[4:5], 0
.LBB61_33:                              ; =>This Inner Loop Header: Depth=1
	buffer_load_dword v190, v187, s[0:3], 0 offen
	buffer_load_dword v191, v187, s[0:3], 0 offen offset:4
	v_mov_b32_e32 v189, s14
	ds_read_b64 v[192:193], v189
	v_add_u32_e32 v188, -1, v188
	s_add_i32 s14, s14, 8
	v_cmp_eq_u32_e32 vcc, 0, v188
	v_add_u32_e32 v187, 8, v187
	s_or_b64 s[4:5], vcc, s[4:5]
	s_waitcnt vmcnt(0) lgkmcnt(0)
	v_fmac_f64_e32 v[126:127], v[190:191], v[192:193]
	s_andn2_b64 exec, exec, s[4:5]
	s_cbranch_execnz .LBB61_33
; %bb.34:
	s_or_b64 exec, exec, s[4:5]
.LBB61_35:
	s_or_b64 exec, exec, s[12:13]
	v_mov_b32_e32 v187, 0
	ds_read_b64 v[188:189], v187 offset:456
	s_waitcnt lgkmcnt(0)
	v_mul_f64 v[126:127], v[126:127], v[188:189]
	buffer_store_dword v127, off, s[0:3], 0 offset:460
	buffer_store_dword v126, off, s[0:3], 0 offset:456
.LBB61_36:
	;; [unrolled: 58-line block ×8, first 2 shown]
	s_or_b64 exec, exec, s[10:11]
	buffer_load_dword v126, off, s[0:3], 0 offset:400
	buffer_load_dword v127, off, s[0:3], 0 offset:404
	v_cmp_lt_u32_e64 s[4:5], 50, v0
	s_waitcnt vmcnt(0)
	ds_write_b64 v128, v[126:127]
	s_waitcnt lgkmcnt(0)
	; wave barrier
	s_waitcnt lgkmcnt(0)
	s_and_saveexec_b64 s[10:11], s[4:5]
	s_cbranch_execz .LBB61_106
; %bb.97:
	s_andn2_b64 vcc, exec, s[8:9]
	s_cbranch_vccnz .LBB61_99
; %bb.98:
	buffer_load_dword v126, v129, s[0:3], 0 offen
	buffer_load_dword v127, v129, s[0:3], 0 offen offset:4
	ds_read_b64 v[182:183], v128
	s_waitcnt vmcnt(0) lgkmcnt(0)
	v_mul_f64 v[126:127], v[126:127], v[182:183]
	s_cbranch_execz .LBB61_100
	s_branch .LBB61_101
.LBB61_99:
                                        ; implicit-def: $vgpr126_vgpr127
.LBB61_100:
	ds_read_b64 v[126:127], v128
.LBB61_101:
	s_and_saveexec_b64 s[12:13], s[6:7]
	s_cbranch_execz .LBB61_105
; %bb.102:
	v_subrev_u32_e32 v181, 51, v0
	s_movk_i32 s14, 0x388
	s_mov_b64 s[6:7], 0
.LBB61_103:                             ; =>This Inner Loop Header: Depth=1
	buffer_load_dword v182, v180, s[0:3], 0 offen
	buffer_load_dword v183, v180, s[0:3], 0 offen offset:4
	v_mov_b32_e32 v184, s14
	ds_read_b64 v[184:185], v184
	v_add_u32_e32 v181, -1, v181
	s_add_i32 s14, s14, 8
	v_cmp_eq_u32_e32 vcc, 0, v181
	v_add_u32_e32 v180, 8, v180
	s_or_b64 s[6:7], vcc, s[6:7]
	s_waitcnt vmcnt(0) lgkmcnt(0)
	v_fmac_f64_e32 v[126:127], v[182:183], v[184:185]
	s_andn2_b64 exec, exec, s[6:7]
	s_cbranch_execnz .LBB61_103
; %bb.104:
	s_or_b64 exec, exec, s[6:7]
.LBB61_105:
	s_or_b64 exec, exec, s[12:13]
	v_mov_b32_e32 v180, 0
	ds_read_b64 v[180:181], v180 offset:400
	s_waitcnt lgkmcnt(0)
	v_mul_f64 v[126:127], v[126:127], v[180:181]
	buffer_store_dword v127, off, s[0:3], 0 offset:404
	buffer_store_dword v126, off, s[0:3], 0 offset:400
.LBB61_106:
	s_or_b64 exec, exec, s[10:11]
	buffer_load_dword v126, off, s[0:3], 0 offset:392
	buffer_load_dword v127, off, s[0:3], 0 offset:396
	v_cmp_lt_u32_e64 s[6:7], 49, v0
	s_waitcnt vmcnt(0)
	ds_write_b64 v128, v[126:127]
	s_waitcnt lgkmcnt(0)
	; wave barrier
	s_waitcnt lgkmcnt(0)
	s_and_saveexec_b64 s[10:11], s[6:7]
	s_cbranch_execz .LBB61_116
; %bb.107:
	s_andn2_b64 vcc, exec, s[8:9]
	s_cbranch_vccnz .LBB61_109
; %bb.108:
	buffer_load_dword v126, v129, s[0:3], 0 offen
	buffer_load_dword v127, v129, s[0:3], 0 offen offset:4
	ds_read_b64 v[180:181], v128
	s_waitcnt vmcnt(0) lgkmcnt(0)
	v_mul_f64 v[126:127], v[126:127], v[180:181]
	s_cbranch_execz .LBB61_110
	s_branch .LBB61_111
.LBB61_109:
                                        ; implicit-def: $vgpr126_vgpr127
.LBB61_110:
	ds_read_b64 v[126:127], v128
.LBB61_111:
	s_and_saveexec_b64 s[12:13], s[4:5]
	s_cbranch_execz .LBB61_115
; %bb.112:
	v_subrev_u32_e32 v180, 50, v0
	s_movk_i32 s14, 0x380
	s_mov_b64 s[4:5], 0
.LBB61_113:                             ; =>This Inner Loop Header: Depth=1
	buffer_load_dword v182, v179, s[0:3], 0 offen
	buffer_load_dword v183, v179, s[0:3], 0 offen offset:4
	v_mov_b32_e32 v181, s14
	ds_read_b64 v[184:185], v181
	v_add_u32_e32 v180, -1, v180
	s_add_i32 s14, s14, 8
	v_cmp_eq_u32_e32 vcc, 0, v180
	v_add_u32_e32 v179, 8, v179
	s_or_b64 s[4:5], vcc, s[4:5]
	s_waitcnt vmcnt(0) lgkmcnt(0)
	v_fmac_f64_e32 v[126:127], v[182:183], v[184:185]
	s_andn2_b64 exec, exec, s[4:5]
	s_cbranch_execnz .LBB61_113
; %bb.114:
	s_or_b64 exec, exec, s[4:5]
.LBB61_115:
	s_or_b64 exec, exec, s[12:13]
	v_mov_b32_e32 v179, 0
	ds_read_b64 v[180:181], v179 offset:392
	s_waitcnt lgkmcnt(0)
	v_mul_f64 v[126:127], v[126:127], v[180:181]
	buffer_store_dword v127, off, s[0:3], 0 offset:396
	buffer_store_dword v126, off, s[0:3], 0 offset:392
.LBB61_116:
	;; [unrolled: 58-line block ×35, first 2 shown]
	s_or_b64 exec, exec, s[10:11]
	buffer_load_dword v126, off, s[0:3], 0 offset:120
	buffer_load_dword v127, off, s[0:3], 0 offset:124
	v_cmp_lt_u32_e64 s[6:7], 15, v0
	s_waitcnt vmcnt(0)
	ds_write_b64 v128, v[126:127]
	s_waitcnt lgkmcnt(0)
	; wave barrier
	s_waitcnt lgkmcnt(0)
	s_and_saveexec_b64 s[10:11], s[6:7]
	s_cbranch_execz .LBB61_456
; %bb.447:
	s_andn2_b64 vcc, exec, s[8:9]
	s_cbranch_vccnz .LBB61_449
; %bb.448:
	buffer_load_dword v126, v129, s[0:3], 0 offen
	buffer_load_dword v127, v129, s[0:3], 0 offen offset:4
	ds_read_b64 v[146:147], v128
	s_waitcnt vmcnt(0) lgkmcnt(0)
	v_mul_f64 v[126:127], v[126:127], v[146:147]
	s_cbranch_execz .LBB61_450
	s_branch .LBB61_451
.LBB61_449:
                                        ; implicit-def: $vgpr126_vgpr127
.LBB61_450:
	ds_read_b64 v[126:127], v128
.LBB61_451:
	s_and_saveexec_b64 s[12:13], s[4:5]
	s_cbranch_execz .LBB61_455
; %bb.452:
	v_add_u32_e32 v146, -16, v0
	s_movk_i32 s14, 0x270
	s_mov_b64 s[4:5], 0
.LBB61_453:                             ; =>This Inner Loop Header: Depth=1
	buffer_load_dword v148, v145, s[0:3], 0 offen
	buffer_load_dword v149, v145, s[0:3], 0 offen offset:4
	v_mov_b32_e32 v147, s14
	ds_read_b64 v[150:151], v147
	v_add_u32_e32 v146, -1, v146
	s_add_i32 s14, s14, 8
	v_cmp_eq_u32_e32 vcc, 0, v146
	v_add_u32_e32 v145, 8, v145
	s_or_b64 s[4:5], vcc, s[4:5]
	s_waitcnt vmcnt(0) lgkmcnt(0)
	v_fmac_f64_e32 v[126:127], v[148:149], v[150:151]
	s_andn2_b64 exec, exec, s[4:5]
	s_cbranch_execnz .LBB61_453
; %bb.454:
	s_or_b64 exec, exec, s[4:5]
.LBB61_455:
	s_or_b64 exec, exec, s[12:13]
	v_mov_b32_e32 v145, 0
	ds_read_b64 v[146:147], v145 offset:120
	s_waitcnt lgkmcnt(0)
	v_mul_f64 v[126:127], v[126:127], v[146:147]
	buffer_store_dword v127, off, s[0:3], 0 offset:124
	buffer_store_dword v126, off, s[0:3], 0 offset:120
.LBB61_456:
	s_or_b64 exec, exec, s[10:11]
	buffer_load_dword v126, off, s[0:3], 0 offset:112
	buffer_load_dword v127, off, s[0:3], 0 offset:116
	v_cmp_lt_u32_e64 s[4:5], 14, v0
	s_waitcnt vmcnt(0)
	ds_write_b64 v128, v[126:127]
	s_waitcnt lgkmcnt(0)
	; wave barrier
	s_waitcnt lgkmcnt(0)
	s_and_saveexec_b64 s[10:11], s[4:5]
	s_cbranch_execz .LBB61_466
; %bb.457:
	s_andn2_b64 vcc, exec, s[8:9]
	s_cbranch_vccnz .LBB61_459
; %bb.458:
	buffer_load_dword v126, v129, s[0:3], 0 offen
	buffer_load_dword v127, v129, s[0:3], 0 offen offset:4
	ds_read_b64 v[146:147], v128
	s_waitcnt vmcnt(0) lgkmcnt(0)
	v_mul_f64 v[126:127], v[126:127], v[146:147]
	s_cbranch_execz .LBB61_460
	s_branch .LBB61_461
.LBB61_459:
                                        ; implicit-def: $vgpr126_vgpr127
.LBB61_460:
	ds_read_b64 v[126:127], v128
.LBB61_461:
	s_and_saveexec_b64 s[12:13], s[6:7]
	s_cbranch_execz .LBB61_465
; %bb.462:
	v_add_u32_e32 v145, -15, v0
	s_movk_i32 s14, 0x268
	s_mov_b64 s[6:7], 0
.LBB61_463:                             ; =>This Inner Loop Header: Depth=1
	buffer_load_dword v146, v144, s[0:3], 0 offen
	buffer_load_dword v147, v144, s[0:3], 0 offen offset:4
	v_mov_b32_e32 v148, s14
	ds_read_b64 v[148:149], v148
	v_add_u32_e32 v145, -1, v145
	s_add_i32 s14, s14, 8
	v_cmp_eq_u32_e32 vcc, 0, v145
	v_add_u32_e32 v144, 8, v144
	s_or_b64 s[6:7], vcc, s[6:7]
	s_waitcnt vmcnt(0) lgkmcnt(0)
	v_fmac_f64_e32 v[126:127], v[146:147], v[148:149]
	s_andn2_b64 exec, exec, s[6:7]
	s_cbranch_execnz .LBB61_463
; %bb.464:
	s_or_b64 exec, exec, s[6:7]
.LBB61_465:
	s_or_b64 exec, exec, s[12:13]
	v_mov_b32_e32 v144, 0
	ds_read_b64 v[144:145], v144 offset:112
	s_waitcnt lgkmcnt(0)
	v_mul_f64 v[126:127], v[126:127], v[144:145]
	buffer_store_dword v127, off, s[0:3], 0 offset:116
	buffer_store_dword v126, off, s[0:3], 0 offset:112
.LBB61_466:
	;; [unrolled: 58-line block ×15, first 2 shown]
	s_or_b64 exec, exec, s[10:11]
	buffer_load_dword v126, off, s[0:3], 0
	buffer_load_dword v127, off, s[0:3], 0 offset:4
	v_cmp_ne_u32_e32 vcc, 0, v0
	s_waitcnt vmcnt(0)
	ds_write_b64 v128, v[126:127]
	s_waitcnt lgkmcnt(0)
	; wave barrier
	s_waitcnt lgkmcnt(0)
	s_and_saveexec_b64 s[4:5], vcc
	s_cbranch_execz .LBB61_606
; %bb.597:
	s_andn2_b64 vcc, exec, s[8:9]
	s_cbranch_vccnz .LBB61_599
; %bb.598:
	buffer_load_dword v126, v129, s[0:3], 0 offen
	buffer_load_dword v127, v129, s[0:3], 0 offen offset:4
	ds_read_b64 v[132:133], v128
	s_waitcnt vmcnt(0) lgkmcnt(0)
	v_mul_f64 v[126:127], v[126:127], v[132:133]
	s_cbranch_execz .LBB61_600
	s_branch .LBB61_601
.LBB61_599:
                                        ; implicit-def: $vgpr126_vgpr127
.LBB61_600:
	ds_read_b64 v[126:127], v128
.LBB61_601:
	s_and_saveexec_b64 s[10:11], s[6:7]
	s_cbranch_execz .LBB61_605
; %bb.602:
	v_add_u32_e32 v131, -1, v0
	s_movk_i32 s12, 0x1f8
	s_mov_b64 s[6:7], 0
.LBB61_603:                             ; =>This Inner Loop Header: Depth=1
	buffer_load_dword v132, v130, s[0:3], 0 offen
	buffer_load_dword v133, v130, s[0:3], 0 offen offset:4
	v_mov_b32_e32 v134, s12
	ds_read_b64 v[134:135], v134
	v_add_u32_e32 v131, -1, v131
	s_add_i32 s12, s12, 8
	v_cmp_eq_u32_e32 vcc, 0, v131
	v_add_u32_e32 v130, 8, v130
	s_or_b64 s[6:7], vcc, s[6:7]
	s_waitcnt vmcnt(0) lgkmcnt(0)
	v_fmac_f64_e32 v[126:127], v[132:133], v[134:135]
	s_andn2_b64 exec, exec, s[6:7]
	s_cbranch_execnz .LBB61_603
; %bb.604:
	s_or_b64 exec, exec, s[6:7]
.LBB61_605:
	s_or_b64 exec, exec, s[10:11]
	v_mov_b32_e32 v130, 0
	ds_read_b64 v[130:131], v130
	s_waitcnt lgkmcnt(0)
	v_mul_f64 v[126:127], v[126:127], v[130:131]
	buffer_store_dword v127, off, s[0:3], 0 offset:4
	buffer_store_dword v126, off, s[0:3], 0
.LBB61_606:
	s_or_b64 exec, exec, s[4:5]
	s_mov_b64 s[4:5], 0
.LBB61_607:
	s_and_b64 vcc, exec, s[4:5]
	s_cbranch_vccz .LBB61_1211
; %bb.608:
	buffer_load_dword v126, off, s[0:3], 0 offset:8
	buffer_load_dword v127, off, s[0:3], 0 offset:12
	v_cmp_eq_u32_e64 s[6:7], 0, v0
	s_waitcnt vmcnt(0)
	ds_write_b64 v128, v[126:127]
	s_waitcnt lgkmcnt(0)
	; wave barrier
	s_waitcnt lgkmcnt(0)
	s_and_saveexec_b64 s[4:5], s[6:7]
	s_cbranch_execz .LBB61_614
; %bb.609:
	s_and_b64 vcc, exec, s[8:9]
	s_cbranch_vccz .LBB61_611
; %bb.610:
	buffer_load_dword v126, v129, s[0:3], 0 offen
	buffer_load_dword v127, v129, s[0:3], 0 offen offset:4
	ds_read_b64 v[130:131], v128
	s_waitcnt vmcnt(0) lgkmcnt(0)
	v_mul_f64 v[126:127], v[126:127], v[130:131]
	s_cbranch_execz .LBB61_612
	s_branch .LBB61_613
.LBB61_611:
                                        ; implicit-def: $vgpr126_vgpr127
.LBB61_612:
	ds_read_b64 v[126:127], v128
.LBB61_613:
	v_mov_b32_e32 v130, 0
	ds_read_b64 v[130:131], v130 offset:8
	s_waitcnt lgkmcnt(0)
	v_mul_f64 v[126:127], v[126:127], v[130:131]
	buffer_store_dword v127, off, s[0:3], 0 offset:12
	buffer_store_dword v126, off, s[0:3], 0 offset:8
.LBB61_614:
	s_or_b64 exec, exec, s[4:5]
	buffer_load_dword v126, off, s[0:3], 0 offset:16
	buffer_load_dword v127, off, s[0:3], 0 offset:20
	v_cndmask_b32_e64 v130, 0, 1, s[8:9]
	v_cmp_gt_u32_e32 vcc, 2, v0
	v_cmp_ne_u32_e64 s[4:5], 1, v130
	s_waitcnt vmcnt(0)
	ds_write_b64 v128, v[126:127]
	s_waitcnt lgkmcnt(0)
	; wave barrier
	s_waitcnt lgkmcnt(0)
	s_and_saveexec_b64 s[8:9], vcc
	s_cbranch_execz .LBB61_622
; %bb.615:
	s_and_b64 vcc, exec, s[4:5]
	s_cbranch_vccnz .LBB61_617
; %bb.616:
	buffer_load_dword v126, v129, s[0:3], 0 offen
	buffer_load_dword v127, v129, s[0:3], 0 offen offset:4
	ds_read_b64 v[130:131], v128
	s_waitcnt vmcnt(0) lgkmcnt(0)
	v_mul_f64 v[126:127], v[126:127], v[130:131]
	s_cbranch_execz .LBB61_618
	s_branch .LBB61_619
.LBB61_617:
                                        ; implicit-def: $vgpr126_vgpr127
.LBB61_618:
	ds_read_b64 v[126:127], v128
.LBB61_619:
	s_and_saveexec_b64 s[10:11], s[6:7]
	s_cbranch_execz .LBB61_621
; %bb.620:
	buffer_load_dword v130, v129, s[0:3], 0 offen offset:8
	buffer_load_dword v131, v129, s[0:3], 0 offen offset:12
	ds_read_b64 v[132:133], v128 offset:8
	s_waitcnt vmcnt(0) lgkmcnt(0)
	v_fmac_f64_e32 v[126:127], v[130:131], v[132:133]
.LBB61_621:
	s_or_b64 exec, exec, s[10:11]
	v_mov_b32_e32 v130, 0
	ds_read_b64 v[130:131], v130 offset:16
	s_waitcnt lgkmcnt(0)
	v_mul_f64 v[126:127], v[126:127], v[130:131]
	buffer_store_dword v127, off, s[0:3], 0 offset:20
	buffer_store_dword v126, off, s[0:3], 0 offset:16
.LBB61_622:
	s_or_b64 exec, exec, s[8:9]
	buffer_load_dword v126, off, s[0:3], 0 offset:24
	buffer_load_dword v127, off, s[0:3], 0 offset:28
	v_cmp_gt_u32_e32 vcc, 3, v0
	s_waitcnt vmcnt(0)
	ds_write_b64 v128, v[126:127]
	s_waitcnt lgkmcnt(0)
	; wave barrier
	s_waitcnt lgkmcnt(0)
	s_and_saveexec_b64 s[8:9], vcc
	s_cbranch_execz .LBB61_630
; %bb.623:
	s_and_b64 vcc, exec, s[4:5]
	s_cbranch_vccnz .LBB61_625
; %bb.624:
	buffer_load_dword v126, v129, s[0:3], 0 offen
	buffer_load_dword v127, v129, s[0:3], 0 offen offset:4
	ds_read_b64 v[130:131], v128
	s_waitcnt vmcnt(0) lgkmcnt(0)
	v_mul_f64 v[126:127], v[126:127], v[130:131]
	s_cbranch_execz .LBB61_626
	s_branch .LBB61_627
.LBB61_625:
                                        ; implicit-def: $vgpr126_vgpr127
.LBB61_626:
	ds_read_b64 v[126:127], v128
.LBB61_627:
	v_cmp_ne_u32_e32 vcc, 2, v0
	s_and_saveexec_b64 s[10:11], vcc
	s_cbranch_execz .LBB61_629
; %bb.628:
	buffer_load_dword v131, v129, s[0:3], 0 offen offset:12
	buffer_load_dword v132, off, s[0:3], 0 offset:16
	buffer_load_dword v130, v129, s[0:3], 0 offen offset:8
	buffer_load_dword v133, off, s[0:3], 0 offset:20
	v_mov_b32_e32 v136, 0
	ds_read_b64 v[134:135], v128 offset:8
	ds_read_b64 v[136:137], v136 offset:512
	s_waitcnt vmcnt(1) lgkmcnt(1)
	v_fmac_f64_e32 v[126:127], v[130:131], v[134:135]
	s_waitcnt vmcnt(0) lgkmcnt(0)
	v_fma_f64 v[130:131], v[132:133], v[136:137], v[126:127]
	v_cndmask_b32_e64 v127, v127, v131, s[6:7]
	v_cndmask_b32_e64 v126, v126, v130, s[6:7]
.LBB61_629:
	s_or_b64 exec, exec, s[10:11]
	v_mov_b32_e32 v130, 0
	ds_read_b64 v[130:131], v130 offset:24
	s_waitcnt lgkmcnt(0)
	v_mul_f64 v[126:127], v[126:127], v[130:131]
	buffer_store_dword v127, off, s[0:3], 0 offset:28
	buffer_store_dword v126, off, s[0:3], 0 offset:24
.LBB61_630:
	s_or_b64 exec, exec, s[8:9]
	buffer_load_dword v126, off, s[0:3], 0 offset:32
	buffer_load_dword v127, off, s[0:3], 0 offset:36
	v_cmp_gt_u32_e32 vcc, 4, v0
	s_waitcnt vmcnt(0)
	ds_write_b64 v128, v[126:127]
	s_waitcnt lgkmcnt(0)
	; wave barrier
	s_waitcnt lgkmcnt(0)
	s_and_saveexec_b64 s[6:7], vcc
	s_cbranch_execz .LBB61_640
; %bb.631:
	s_and_b64 vcc, exec, s[4:5]
	s_cbranch_vccnz .LBB61_633
; %bb.632:
	buffer_load_dword v126, v129, s[0:3], 0 offen
	buffer_load_dword v127, v129, s[0:3], 0 offen offset:4
	ds_read_b64 v[130:131], v128
	s_waitcnt vmcnt(0) lgkmcnt(0)
	v_mul_f64 v[126:127], v[126:127], v[130:131]
	s_cbranch_execz .LBB61_634
	s_branch .LBB61_635
.LBB61_633:
                                        ; implicit-def: $vgpr126_vgpr127
.LBB61_634:
	ds_read_b64 v[126:127], v128
.LBB61_635:
	v_cmp_ne_u32_e32 vcc, 3, v0
	s_and_saveexec_b64 s[8:9], vcc
	s_cbranch_execz .LBB61_639
; %bb.636:
	v_mov_b32_e32 v131, 0
	v_add_u32_e32 v130, 0x1f8, v1
	v_add3_u32 v131, v1, v131, 8
	s_mov_b64 s[10:11], 0
	v_mov_b32_e32 v132, v0
.LBB61_637:                             ; =>This Inner Loop Header: Depth=1
	buffer_load_dword v134, v131, s[0:3], 0 offen
	buffer_load_dword v135, v131, s[0:3], 0 offen offset:4
	ds_read_b64 v[136:137], v130
	v_add_u32_e32 v132, 1, v132
	v_cmp_lt_u32_e32 vcc, 2, v132
	v_add_u32_e32 v130, 8, v130
	v_add_u32_e32 v131, 8, v131
	s_or_b64 s[10:11], vcc, s[10:11]
	s_waitcnt vmcnt(0) lgkmcnt(0)
	v_fmac_f64_e32 v[126:127], v[134:135], v[136:137]
	s_andn2_b64 exec, exec, s[10:11]
	s_cbranch_execnz .LBB61_637
; %bb.638:
	s_or_b64 exec, exec, s[10:11]
.LBB61_639:
	s_or_b64 exec, exec, s[8:9]
	v_mov_b32_e32 v130, 0
	ds_read_b64 v[130:131], v130 offset:32
	s_waitcnt lgkmcnt(0)
	v_mul_f64 v[126:127], v[126:127], v[130:131]
	buffer_store_dword v127, off, s[0:3], 0 offset:36
	buffer_store_dword v126, off, s[0:3], 0 offset:32
.LBB61_640:
	s_or_b64 exec, exec, s[6:7]
	buffer_load_dword v126, off, s[0:3], 0 offset:40
	buffer_load_dword v127, off, s[0:3], 0 offset:44
	v_cmp_gt_u32_e32 vcc, 5, v0
	s_waitcnt vmcnt(0)
	ds_write_b64 v128, v[126:127]
	s_waitcnt lgkmcnt(0)
	; wave barrier
	s_waitcnt lgkmcnt(0)
	s_and_saveexec_b64 s[6:7], vcc
	s_cbranch_execz .LBB61_650
; %bb.641:
	s_and_b64 vcc, exec, s[4:5]
	s_cbranch_vccnz .LBB61_643
; %bb.642:
	buffer_load_dword v126, v129, s[0:3], 0 offen
	buffer_load_dword v127, v129, s[0:3], 0 offen offset:4
	ds_read_b64 v[130:131], v128
	s_waitcnt vmcnt(0) lgkmcnt(0)
	v_mul_f64 v[126:127], v[126:127], v[130:131]
	s_cbranch_execz .LBB61_644
	s_branch .LBB61_645
.LBB61_643:
                                        ; implicit-def: $vgpr126_vgpr127
.LBB61_644:
	ds_read_b64 v[126:127], v128
.LBB61_645:
	v_cmp_ne_u32_e32 vcc, 4, v0
	s_and_saveexec_b64 s[8:9], vcc
	s_cbranch_execz .LBB61_649
; %bb.646:
	v_mov_b32_e32 v131, 0
	v_add_u32_e32 v130, 0x1f8, v1
	v_add3_u32 v131, v1, v131, 8
	s_mov_b64 s[10:11], 0
	v_mov_b32_e32 v132, v0
.LBB61_647:                             ; =>This Inner Loop Header: Depth=1
	buffer_load_dword v134, v131, s[0:3], 0 offen
	buffer_load_dword v135, v131, s[0:3], 0 offen offset:4
	ds_read_b64 v[136:137], v130
	v_add_u32_e32 v132, 1, v132
	v_cmp_lt_u32_e32 vcc, 3, v132
	v_add_u32_e32 v130, 8, v130
	v_add_u32_e32 v131, 8, v131
	s_or_b64 s[10:11], vcc, s[10:11]
	s_waitcnt vmcnt(0) lgkmcnt(0)
	v_fmac_f64_e32 v[126:127], v[134:135], v[136:137]
	s_andn2_b64 exec, exec, s[10:11]
	s_cbranch_execnz .LBB61_647
; %bb.648:
	s_or_b64 exec, exec, s[10:11]
.LBB61_649:
	s_or_b64 exec, exec, s[8:9]
	v_mov_b32_e32 v130, 0
	ds_read_b64 v[130:131], v130 offset:40
	s_waitcnt lgkmcnt(0)
	v_mul_f64 v[126:127], v[126:127], v[130:131]
	buffer_store_dword v127, off, s[0:3], 0 offset:44
	buffer_store_dword v126, off, s[0:3], 0 offset:40
.LBB61_650:
	;; [unrolled: 60-line block ×37, first 2 shown]
	s_or_b64 exec, exec, s[6:7]
	buffer_load_dword v126, off, s[0:3], 0 offset:328
	buffer_load_dword v127, off, s[0:3], 0 offset:332
	v_cmp_gt_u32_e32 vcc, 41, v0
	s_waitcnt vmcnt(0)
	ds_write_b64 v128, v[126:127]
	s_waitcnt lgkmcnt(0)
	; wave barrier
	s_waitcnt lgkmcnt(0)
	s_and_saveexec_b64 s[6:7], vcc
	s_cbranch_execz .LBB61_1010
; %bb.1001:
	s_and_b64 vcc, exec, s[4:5]
	s_cbranch_vccnz .LBB61_1003
; %bb.1002:
	buffer_load_dword v126, v129, s[0:3], 0 offen
	buffer_load_dword v127, v129, s[0:3], 0 offen offset:4
	ds_read_b64 v[130:131], v128
	s_waitcnt vmcnt(0) lgkmcnt(0)
	v_mul_f64 v[126:127], v[126:127], v[130:131]
	s_cbranch_execz .LBB61_1004
	s_branch .LBB61_1005
.LBB61_1003:
                                        ; implicit-def: $vgpr126_vgpr127
.LBB61_1004:
	ds_read_b64 v[126:127], v128
.LBB61_1005:
	v_cmp_ne_u32_e32 vcc, 40, v0
	s_and_saveexec_b64 s[8:9], vcc
	s_cbranch_execz .LBB61_1009
; %bb.1006:
	v_mov_b32_e32 v131, 0
	v_add_u32_e32 v130, 0x1f8, v1
	v_add3_u32 v131, v1, v131, 8
	s_mov_b64 s[10:11], 0
	v_mov_b32_e32 v132, v0
.LBB61_1007:                            ; =>This Inner Loop Header: Depth=1
	buffer_load_dword v134, v131, s[0:3], 0 offen
	buffer_load_dword v135, v131, s[0:3], 0 offen offset:4
	ds_read_b64 v[136:137], v130
	v_add_u32_e32 v132, 1, v132
	v_cmp_lt_u32_e32 vcc, 39, v132
	v_add_u32_e32 v130, 8, v130
	v_add_u32_e32 v131, 8, v131
	s_or_b64 s[10:11], vcc, s[10:11]
	s_waitcnt vmcnt(0) lgkmcnt(0)
	v_fmac_f64_e32 v[126:127], v[134:135], v[136:137]
	s_andn2_b64 exec, exec, s[10:11]
	s_cbranch_execnz .LBB61_1007
; %bb.1008:
	s_or_b64 exec, exec, s[10:11]
.LBB61_1009:
	s_or_b64 exec, exec, s[8:9]
	v_mov_b32_e32 v130, 0
	ds_read_b64 v[130:131], v130 offset:328
	s_waitcnt lgkmcnt(0)
	v_mul_f64 v[126:127], v[126:127], v[130:131]
	buffer_store_dword v127, off, s[0:3], 0 offset:332
	buffer_store_dword v126, off, s[0:3], 0 offset:328
.LBB61_1010:
	s_or_b64 exec, exec, s[6:7]
	buffer_load_dword v126, off, s[0:3], 0 offset:336
	buffer_load_dword v127, off, s[0:3], 0 offset:340
	v_cmp_gt_u32_e32 vcc, 42, v0
	s_waitcnt vmcnt(0)
	ds_write_b64 v128, v[126:127]
	s_waitcnt lgkmcnt(0)
	; wave barrier
	s_waitcnt lgkmcnt(0)
	s_and_saveexec_b64 s[6:7], vcc
	s_cbranch_execz .LBB61_1020
; %bb.1011:
	s_and_b64 vcc, exec, s[4:5]
	s_cbranch_vccnz .LBB61_1013
; %bb.1012:
	buffer_load_dword v126, v129, s[0:3], 0 offen
	buffer_load_dword v127, v129, s[0:3], 0 offen offset:4
	ds_read_b64 v[130:131], v128
	s_waitcnt vmcnt(0) lgkmcnt(0)
	v_mul_f64 v[126:127], v[126:127], v[130:131]
	s_cbranch_execz .LBB61_1014
	s_branch .LBB61_1015
.LBB61_1013:
                                        ; implicit-def: $vgpr126_vgpr127
.LBB61_1014:
	ds_read_b64 v[126:127], v128
.LBB61_1015:
	v_cmp_ne_u32_e32 vcc, 41, v0
	s_and_saveexec_b64 s[8:9], vcc
	s_cbranch_execz .LBB61_1019
; %bb.1016:
	v_mov_b32_e32 v131, 0
	v_add_u32_e32 v130, 0x1f8, v1
	v_add3_u32 v131, v1, v131, 8
	s_mov_b64 s[10:11], 0
	v_mov_b32_e32 v132, v0
.LBB61_1017:                            ; =>This Inner Loop Header: Depth=1
	buffer_load_dword v134, v131, s[0:3], 0 offen
	buffer_load_dword v135, v131, s[0:3], 0 offen offset:4
	ds_read_b64 v[136:137], v130
	v_add_u32_e32 v132, 1, v132
	v_cmp_lt_u32_e32 vcc, 40, v132
	v_add_u32_e32 v130, 8, v130
	v_add_u32_e32 v131, 8, v131
	s_or_b64 s[10:11], vcc, s[10:11]
	s_waitcnt vmcnt(0) lgkmcnt(0)
	v_fmac_f64_e32 v[126:127], v[134:135], v[136:137]
	s_andn2_b64 exec, exec, s[10:11]
	s_cbranch_execnz .LBB61_1017
; %bb.1018:
	s_or_b64 exec, exec, s[10:11]
.LBB61_1019:
	s_or_b64 exec, exec, s[8:9]
	v_mov_b32_e32 v130, 0
	ds_read_b64 v[130:131], v130 offset:336
	s_waitcnt lgkmcnt(0)
	v_mul_f64 v[126:127], v[126:127], v[130:131]
	buffer_store_dword v127, off, s[0:3], 0 offset:340
	buffer_store_dword v126, off, s[0:3], 0 offset:336
.LBB61_1020:
	;; [unrolled: 60-line block ×19, first 2 shown]
	s_or_b64 exec, exec, s[6:7]
	buffer_load_dword v126, off, s[0:3], 0 offset:480
	buffer_load_dword v127, off, s[0:3], 0 offset:484
	v_cmp_gt_u32_e64 s[6:7], 60, v0
	s_waitcnt vmcnt(0)
	ds_write_b64 v128, v[126:127]
	s_waitcnt lgkmcnt(0)
	; wave barrier
	s_waitcnt lgkmcnt(0)
	s_and_saveexec_b64 s[8:9], s[6:7]
	s_cbranch_execz .LBB61_1200
; %bb.1191:
	s_and_b64 vcc, exec, s[4:5]
	s_cbranch_vccnz .LBB61_1193
; %bb.1192:
	buffer_load_dword v126, v129, s[0:3], 0 offen
	buffer_load_dword v127, v129, s[0:3], 0 offen offset:4
	ds_read_b64 v[130:131], v128
	s_waitcnt vmcnt(0) lgkmcnt(0)
	v_mul_f64 v[126:127], v[126:127], v[130:131]
	s_cbranch_execz .LBB61_1194
	s_branch .LBB61_1195
.LBB61_1193:
                                        ; implicit-def: $vgpr126_vgpr127
.LBB61_1194:
	ds_read_b64 v[126:127], v128
.LBB61_1195:
	v_cmp_ne_u32_e32 vcc, 59, v0
	s_and_saveexec_b64 s[10:11], vcc
	s_cbranch_execz .LBB61_1199
; %bb.1196:
	v_mov_b32_e32 v131, 0
	v_add_u32_e32 v130, 0x1f8, v1
	v_add3_u32 v131, v1, v131, 8
	s_mov_b64 s[12:13], 0
	v_mov_b32_e32 v132, v0
.LBB61_1197:                            ; =>This Inner Loop Header: Depth=1
	buffer_load_dword v134, v131, s[0:3], 0 offen
	buffer_load_dword v135, v131, s[0:3], 0 offen offset:4
	ds_read_b64 v[136:137], v130
	v_add_u32_e32 v132, 1, v132
	v_cmp_lt_u32_e32 vcc, 58, v132
	v_add_u32_e32 v130, 8, v130
	v_add_u32_e32 v131, 8, v131
	s_or_b64 s[12:13], vcc, s[12:13]
	s_waitcnt vmcnt(0) lgkmcnt(0)
	v_fmac_f64_e32 v[126:127], v[134:135], v[136:137]
	s_andn2_b64 exec, exec, s[12:13]
	s_cbranch_execnz .LBB61_1197
; %bb.1198:
	s_or_b64 exec, exec, s[12:13]
.LBB61_1199:
	s_or_b64 exec, exec, s[10:11]
	v_mov_b32_e32 v130, 0
	ds_read_b64 v[130:131], v130 offset:480
	s_waitcnt lgkmcnt(0)
	v_mul_f64 v[126:127], v[126:127], v[130:131]
	buffer_store_dword v127, off, s[0:3], 0 offset:484
	buffer_store_dword v126, off, s[0:3], 0 offset:480
.LBB61_1200:
	s_or_b64 exec, exec, s[8:9]
	buffer_load_dword v126, off, s[0:3], 0 offset:488
	buffer_load_dword v127, off, s[0:3], 0 offset:492
	v_cmp_ne_u32_e32 vcc, 61, v0
	s_waitcnt vmcnt(0)
	ds_write_b64 v128, v[126:127]
	s_waitcnt lgkmcnt(0)
	; wave barrier
	s_waitcnt lgkmcnt(0)
	s_and_saveexec_b64 s[8:9], vcc
	s_cbranch_execz .LBB61_1210
; %bb.1201:
	s_and_b64 vcc, exec, s[4:5]
	s_cbranch_vccnz .LBB61_1203
; %bb.1202:
	buffer_load_dword v126, v129, s[0:3], 0 offen
	buffer_load_dword v127, v129, s[0:3], 0 offen offset:4
	ds_read_b64 v[130:131], v128
	s_waitcnt vmcnt(0) lgkmcnt(0)
	v_mul_f64 v[126:127], v[126:127], v[130:131]
	s_cbranch_execz .LBB61_1204
	s_branch .LBB61_1205
.LBB61_1203:
                                        ; implicit-def: $vgpr126_vgpr127
.LBB61_1204:
	ds_read_b64 v[126:127], v128
.LBB61_1205:
	s_and_saveexec_b64 s[4:5], s[6:7]
	s_cbranch_execz .LBB61_1209
; %bb.1206:
	v_mov_b32_e32 v129, 0
	v_add_u32_e32 v128, 0x1f8, v1
	v_add3_u32 v1, v1, v129, 8
	s_mov_b64 s[6:7], 0
.LBB61_1207:                            ; =>This Inner Loop Header: Depth=1
	buffer_load_dword v130, v1, s[0:3], 0 offen
	buffer_load_dword v131, v1, s[0:3], 0 offen offset:4
	ds_read_b64 v[132:133], v128
	v_add_u32_e32 v0, 1, v0
	v_cmp_lt_u32_e32 vcc, 59, v0
	v_add_u32_e32 v128, 8, v128
	v_add_u32_e32 v1, 8, v1
	s_or_b64 s[6:7], vcc, s[6:7]
	s_waitcnt vmcnt(0) lgkmcnt(0)
	v_fmac_f64_e32 v[126:127], v[130:131], v[132:133]
	s_andn2_b64 exec, exec, s[6:7]
	s_cbranch_execnz .LBB61_1207
; %bb.1208:
	s_or_b64 exec, exec, s[6:7]
.LBB61_1209:
	s_or_b64 exec, exec, s[4:5]
	v_mov_b32_e32 v0, 0
	ds_read_b64 v[0:1], v0 offset:488
	s_waitcnt lgkmcnt(0)
	v_mul_f64 v[0:1], v[126:127], v[0:1]
	buffer_store_dword v1, off, s[0:3], 0 offset:492
	buffer_store_dword v0, off, s[0:3], 0 offset:488
.LBB61_1210:
	s_or_b64 exec, exec, s[8:9]
.LBB61_1211:
	buffer_load_dword v0, off, s[0:3], 0
	buffer_load_dword v1, off, s[0:3], 0 offset:4
	buffer_load_dword v126, off, s[0:3], 0 offset:8
	;; [unrolled: 1-line block ×123, first 2 shown]
	s_waitcnt vmcnt(62)
	global_store_dwordx2 v[116:117], v[0:1], off
	global_store_dwordx2 v[118:119], v[126:127], off
	;; [unrolled: 1-line block ×31, first 2 shown]
	s_waitcnt vmcnt(62)
	global_store_dwordx2 v[60:61], v[186:187], off
	global_store_dwordx2 v[62:63], v[188:189], off
	;; [unrolled: 1-line block ×15, first 2 shown]
	s_waitcnt vmcnt(62)
	global_store_dwordx2 v[90:91], v[216:217], off
	global_store_dwordx2 v[92:93], v[218:219], off
	;; [unrolled: 1-line block ×8, first 2 shown]
	s_waitcnt vmcnt(62)
	global_store_dwordx2 v[106:107], v[232:233], off
	global_store_dwordx2 v[108:109], v[234:235], off
	;; [unrolled: 1-line block ×4, first 2 shown]
	s_waitcnt vmcnt(62)
	global_store_dwordx2 v[114:115], v[240:241], off
	global_store_dwordx2 v[120:121], v[242:243], off
	s_waitcnt vmcnt(62)
	global_store_dwordx2 v[122:123], v[244:245], off
	s_waitcnt vmcnt(61)
	global_store_dwordx2 v[124:125], v[246:247], off
.LBB61_1212:
	s_endpgm
	.section	.rodata,"a",@progbits
	.p2align	6, 0x0
	.amdhsa_kernel _ZN9rocsolver6v33100L18trti2_kernel_smallILi62EdPdEEv13rocblas_fill_17rocblas_diagonal_T1_iil
		.amdhsa_group_segment_fixed_size 992
		.amdhsa_private_segment_fixed_size 512
		.amdhsa_kernarg_size 32
		.amdhsa_user_sgpr_count 8
		.amdhsa_user_sgpr_private_segment_buffer 1
		.amdhsa_user_sgpr_dispatch_ptr 0
		.amdhsa_user_sgpr_queue_ptr 0
		.amdhsa_user_sgpr_kernarg_segment_ptr 1
		.amdhsa_user_sgpr_dispatch_id 0
		.amdhsa_user_sgpr_flat_scratch_init 1
		.amdhsa_user_sgpr_kernarg_preload_length 0
		.amdhsa_user_sgpr_kernarg_preload_offset 0
		.amdhsa_user_sgpr_private_segment_size 0
		.amdhsa_uses_dynamic_stack 0
		.amdhsa_system_sgpr_private_segment_wavefront_offset 1
		.amdhsa_system_sgpr_workgroup_id_x 1
		.amdhsa_system_sgpr_workgroup_id_y 0
		.amdhsa_system_sgpr_workgroup_id_z 0
		.amdhsa_system_sgpr_workgroup_info 0
		.amdhsa_system_vgpr_workitem_id 0
		.amdhsa_next_free_vgpr 248
		.amdhsa_next_free_sgpr 20
		.amdhsa_accum_offset 248
		.amdhsa_reserve_vcc 1
		.amdhsa_reserve_flat_scratch 0
		.amdhsa_float_round_mode_32 0
		.amdhsa_float_round_mode_16_64 0
		.amdhsa_float_denorm_mode_32 3
		.amdhsa_float_denorm_mode_16_64 3
		.amdhsa_dx10_clamp 1
		.amdhsa_ieee_mode 1
		.amdhsa_fp16_overflow 0
		.amdhsa_tg_split 0
		.amdhsa_exception_fp_ieee_invalid_op 0
		.amdhsa_exception_fp_denorm_src 0
		.amdhsa_exception_fp_ieee_div_zero 0
		.amdhsa_exception_fp_ieee_overflow 0
		.amdhsa_exception_fp_ieee_underflow 0
		.amdhsa_exception_fp_ieee_inexact 0
		.amdhsa_exception_int_div_zero 0
	.end_amdhsa_kernel
	.section	.text._ZN9rocsolver6v33100L18trti2_kernel_smallILi62EdPdEEv13rocblas_fill_17rocblas_diagonal_T1_iil,"axG",@progbits,_ZN9rocsolver6v33100L18trti2_kernel_smallILi62EdPdEEv13rocblas_fill_17rocblas_diagonal_T1_iil,comdat
.Lfunc_end61:
	.size	_ZN9rocsolver6v33100L18trti2_kernel_smallILi62EdPdEEv13rocblas_fill_17rocblas_diagonal_T1_iil, .Lfunc_end61-_ZN9rocsolver6v33100L18trti2_kernel_smallILi62EdPdEEv13rocblas_fill_17rocblas_diagonal_T1_iil
                                        ; -- End function
	.section	.AMDGPU.csdata,"",@progbits
; Kernel info:
; codeLenInByte = 36060
; NumSgprs: 24
; NumVgprs: 248
; NumAgprs: 0
; TotalNumVgprs: 248
; ScratchSize: 512
; MemoryBound: 0
; FloatMode: 240
; IeeeMode: 1
; LDSByteSize: 992 bytes/workgroup (compile time only)
; SGPRBlocks: 2
; VGPRBlocks: 30
; NumSGPRsForWavesPerEU: 24
; NumVGPRsForWavesPerEU: 248
; AccumOffset: 248
; Occupancy: 2
; WaveLimiterHint : 0
; COMPUTE_PGM_RSRC2:SCRATCH_EN: 1
; COMPUTE_PGM_RSRC2:USER_SGPR: 8
; COMPUTE_PGM_RSRC2:TRAP_HANDLER: 0
; COMPUTE_PGM_RSRC2:TGID_X_EN: 1
; COMPUTE_PGM_RSRC2:TGID_Y_EN: 0
; COMPUTE_PGM_RSRC2:TGID_Z_EN: 0
; COMPUTE_PGM_RSRC2:TIDIG_COMP_CNT: 0
; COMPUTE_PGM_RSRC3_GFX90A:ACCUM_OFFSET: 61
; COMPUTE_PGM_RSRC3_GFX90A:TG_SPLIT: 0
	.section	.text._ZN9rocsolver6v33100L18trti2_kernel_smallILi63EdPdEEv13rocblas_fill_17rocblas_diagonal_T1_iil,"axG",@progbits,_ZN9rocsolver6v33100L18trti2_kernel_smallILi63EdPdEEv13rocblas_fill_17rocblas_diagonal_T1_iil,comdat
	.globl	_ZN9rocsolver6v33100L18trti2_kernel_smallILi63EdPdEEv13rocblas_fill_17rocblas_diagonal_T1_iil ; -- Begin function _ZN9rocsolver6v33100L18trti2_kernel_smallILi63EdPdEEv13rocblas_fill_17rocblas_diagonal_T1_iil
	.p2align	8
	.type	_ZN9rocsolver6v33100L18trti2_kernel_smallILi63EdPdEEv13rocblas_fill_17rocblas_diagonal_T1_iil,@function
_ZN9rocsolver6v33100L18trti2_kernel_smallILi63EdPdEEv13rocblas_fill_17rocblas_diagonal_T1_iil: ; @_ZN9rocsolver6v33100L18trti2_kernel_smallILi63EdPdEEv13rocblas_fill_17rocblas_diagonal_T1_iil
; %bb.0:
	s_add_u32 s0, s0, s9
	s_addc_u32 s1, s1, 0
	v_cmp_gt_u32_e32 vcc, 63, v0
	s_and_saveexec_b64 s[6:7], vcc
	s_cbranch_execz .LBB62_1232
; %bb.1:
	s_load_dwordx8 s[12:19], s[4:5], 0x0
	s_ashr_i32 s6, s8, 31
	s_waitcnt lgkmcnt(0)
	s_mul_i32 s7, s8, s19
	s_mul_hi_u32 s9, s8, s18
	s_add_i32 s7, s9, s7
	s_mul_i32 s6, s6, s18
	s_add_i32 s7, s7, s6
	s_mul_i32 s6, s8, s18
	s_ashr_i32 s5, s16, 31
	s_lshl_b64 s[6:7], s[6:7], 3
	s_mov_b32 s4, s16
	s_add_u32 s6, s14, s6
	s_addc_u32 s7, s15, s7
	s_lshl_b64 s[4:5], s[4:5], 3
	s_add_u32 s4, s6, s4
	s_addc_u32 s5, s7, s5
	s_add_i32 s6, s17, s17
	v_add_u32_e32 v4, s6, v0
	v_ashrrev_i32_e32 v5, 31, v4
	v_lshlrev_b64 v[2:3], 3, v[4:5]
	v_add_u32_e32 v6, s17, v4
	v_mov_b32_e32 v1, s5
	v_add_co_u32_e32 v2, vcc, s4, v2
	v_ashrrev_i32_e32 v7, 31, v6
	v_addc_co_u32_e32 v3, vcc, v1, v3, vcc
	v_lshlrev_b64 v[4:5], 3, v[6:7]
	v_add_u32_e32 v8, s17, v6
	v_add_co_u32_e32 v4, vcc, s4, v4
	v_ashrrev_i32_e32 v9, 31, v8
	v_addc_co_u32_e32 v5, vcc, v1, v5, vcc
	v_lshlrev_b64 v[6:7], 3, v[8:9]
	v_add_u32_e32 v10, s17, v8
	v_add_co_u32_e32 v6, vcc, s4, v6
	v_ashrrev_i32_e32 v11, 31, v10
	v_addc_co_u32_e32 v7, vcc, v1, v7, vcc
	v_lshlrev_b64 v[8:9], 3, v[10:11]
	v_add_u32_e32 v12, s17, v10
	v_add_co_u32_e32 v8, vcc, s4, v8
	v_ashrrev_i32_e32 v13, 31, v12
	v_addc_co_u32_e32 v9, vcc, v1, v9, vcc
	v_lshlrev_b64 v[10:11], 3, v[12:13]
	v_add_u32_e32 v14, s17, v12
	v_add_co_u32_e32 v10, vcc, s4, v10
	v_ashrrev_i32_e32 v15, 31, v14
	v_addc_co_u32_e32 v11, vcc, v1, v11, vcc
	v_lshlrev_b64 v[12:13], 3, v[14:15]
	v_add_u32_e32 v16, s17, v14
	v_add_co_u32_e32 v12, vcc, s4, v12
	v_ashrrev_i32_e32 v17, 31, v16
	v_addc_co_u32_e32 v13, vcc, v1, v13, vcc
	v_lshlrev_b64 v[14:15], 3, v[16:17]
	v_add_u32_e32 v18, s17, v16
	v_add_co_u32_e32 v14, vcc, s4, v14
	v_ashrrev_i32_e32 v19, 31, v18
	v_addc_co_u32_e32 v15, vcc, v1, v15, vcc
	v_lshlrev_b64 v[16:17], 3, v[18:19]
	v_add_u32_e32 v20, s17, v18
	v_add_co_u32_e32 v16, vcc, s4, v16
	v_ashrrev_i32_e32 v21, 31, v20
	v_addc_co_u32_e32 v17, vcc, v1, v17, vcc
	v_lshlrev_b64 v[18:19], 3, v[20:21]
	v_add_u32_e32 v22, s17, v20
	v_add_co_u32_e32 v18, vcc, s4, v18
	v_ashrrev_i32_e32 v23, 31, v22
	v_addc_co_u32_e32 v19, vcc, v1, v19, vcc
	v_lshlrev_b64 v[20:21], 3, v[22:23]
	v_add_u32_e32 v24, s17, v22
	v_add_co_u32_e32 v20, vcc, s4, v20
	v_ashrrev_i32_e32 v25, 31, v24
	v_addc_co_u32_e32 v21, vcc, v1, v21, vcc
	v_lshlrev_b64 v[22:23], 3, v[24:25]
	v_add_u32_e32 v26, s17, v24
	v_add_co_u32_e32 v22, vcc, s4, v22
	v_ashrrev_i32_e32 v27, 31, v26
	v_addc_co_u32_e32 v23, vcc, v1, v23, vcc
	v_lshlrev_b64 v[24:25], 3, v[26:27]
	v_add_u32_e32 v28, s17, v26
	v_add_co_u32_e32 v24, vcc, s4, v24
	v_ashrrev_i32_e32 v29, 31, v28
	v_addc_co_u32_e32 v25, vcc, v1, v25, vcc
	v_lshlrev_b64 v[26:27], 3, v[28:29]
	v_add_u32_e32 v30, s17, v28
	v_add_co_u32_e32 v26, vcc, s4, v26
	v_ashrrev_i32_e32 v31, 31, v30
	v_addc_co_u32_e32 v27, vcc, v1, v27, vcc
	v_lshlrev_b64 v[28:29], 3, v[30:31]
	v_add_u32_e32 v32, s17, v30
	v_add_co_u32_e32 v28, vcc, s4, v28
	v_ashrrev_i32_e32 v33, 31, v32
	v_addc_co_u32_e32 v29, vcc, v1, v29, vcc
	v_lshlrev_b64 v[30:31], 3, v[32:33]
	v_add_u32_e32 v34, s17, v32
	v_add_co_u32_e32 v30, vcc, s4, v30
	v_ashrrev_i32_e32 v35, 31, v34
	v_addc_co_u32_e32 v31, vcc, v1, v31, vcc
	v_lshlrev_b64 v[32:33], 3, v[34:35]
	v_add_u32_e32 v36, s17, v34
	v_add_co_u32_e32 v32, vcc, s4, v32
	v_ashrrev_i32_e32 v37, 31, v36
	v_addc_co_u32_e32 v33, vcc, v1, v33, vcc
	v_lshlrev_b64 v[34:35], 3, v[36:37]
	v_add_u32_e32 v38, s17, v36
	v_add_co_u32_e32 v34, vcc, s4, v34
	v_ashrrev_i32_e32 v39, 31, v38
	v_addc_co_u32_e32 v35, vcc, v1, v35, vcc
	v_lshlrev_b64 v[36:37], 3, v[38:39]
	v_add_u32_e32 v40, s17, v38
	v_add_co_u32_e32 v36, vcc, s4, v36
	v_ashrrev_i32_e32 v41, 31, v40
	v_addc_co_u32_e32 v37, vcc, v1, v37, vcc
	v_lshlrev_b64 v[38:39], 3, v[40:41]
	v_add_u32_e32 v42, s17, v40
	v_add_co_u32_e32 v38, vcc, s4, v38
	v_ashrrev_i32_e32 v43, 31, v42
	v_addc_co_u32_e32 v39, vcc, v1, v39, vcc
	v_lshlrev_b64 v[40:41], 3, v[42:43]
	v_add_u32_e32 v44, s17, v42
	v_add_co_u32_e32 v40, vcc, s4, v40
	v_ashrrev_i32_e32 v45, 31, v44
	v_addc_co_u32_e32 v41, vcc, v1, v41, vcc
	v_lshlrev_b64 v[42:43], 3, v[44:45]
	v_add_u32_e32 v46, s17, v44
	v_add_co_u32_e32 v42, vcc, s4, v42
	v_ashrrev_i32_e32 v47, 31, v46
	v_addc_co_u32_e32 v43, vcc, v1, v43, vcc
	v_lshlrev_b64 v[44:45], 3, v[46:47]
	v_add_u32_e32 v48, s17, v46
	v_add_co_u32_e32 v44, vcc, s4, v44
	v_ashrrev_i32_e32 v49, 31, v48
	v_addc_co_u32_e32 v45, vcc, v1, v45, vcc
	v_lshlrev_b64 v[46:47], 3, v[48:49]
	v_add_u32_e32 v50, s17, v48
	v_add_co_u32_e32 v46, vcc, s4, v46
	v_ashrrev_i32_e32 v51, 31, v50
	v_addc_co_u32_e32 v47, vcc, v1, v47, vcc
	v_lshlrev_b64 v[48:49], 3, v[50:51]
	v_add_u32_e32 v52, s17, v50
	v_add_co_u32_e32 v48, vcc, s4, v48
	v_ashrrev_i32_e32 v53, 31, v52
	v_addc_co_u32_e32 v49, vcc, v1, v49, vcc
	v_lshlrev_b64 v[50:51], 3, v[52:53]
	v_add_u32_e32 v54, s17, v52
	v_add_co_u32_e32 v50, vcc, s4, v50
	v_ashrrev_i32_e32 v55, 31, v54
	v_addc_co_u32_e32 v51, vcc, v1, v51, vcc
	v_lshlrev_b64 v[52:53], 3, v[54:55]
	v_add_u32_e32 v56, s17, v54
	v_add_co_u32_e32 v52, vcc, s4, v52
	v_ashrrev_i32_e32 v57, 31, v56
	v_addc_co_u32_e32 v53, vcc, v1, v53, vcc
	v_lshlrev_b64 v[54:55], 3, v[56:57]
	v_add_u32_e32 v58, s17, v56
	v_add_co_u32_e32 v54, vcc, s4, v54
	v_ashrrev_i32_e32 v59, 31, v58
	v_addc_co_u32_e32 v55, vcc, v1, v55, vcc
	v_lshlrev_b64 v[56:57], 3, v[58:59]
	v_add_u32_e32 v60, s17, v58
	v_add_co_u32_e32 v56, vcc, s4, v56
	v_ashrrev_i32_e32 v61, 31, v60
	v_addc_co_u32_e32 v57, vcc, v1, v57, vcc
	v_lshlrev_b64 v[58:59], 3, v[60:61]
	v_add_u32_e32 v62, s17, v60
	v_add_co_u32_e32 v58, vcc, s4, v58
	v_ashrrev_i32_e32 v63, 31, v62
	v_addc_co_u32_e32 v59, vcc, v1, v59, vcc
	v_lshlrev_b64 v[60:61], 3, v[62:63]
	v_add_u32_e32 v64, s17, v62
	v_add_co_u32_e32 v60, vcc, s4, v60
	v_ashrrev_i32_e32 v65, 31, v64
	v_addc_co_u32_e32 v61, vcc, v1, v61, vcc
	v_lshlrev_b64 v[62:63], 3, v[64:65]
	v_add_u32_e32 v66, s17, v64
	v_add_co_u32_e32 v62, vcc, s4, v62
	v_ashrrev_i32_e32 v67, 31, v66
	v_addc_co_u32_e32 v63, vcc, v1, v63, vcc
	v_lshlrev_b64 v[64:65], 3, v[66:67]
	v_add_u32_e32 v68, s17, v66
	v_add_co_u32_e32 v64, vcc, s4, v64
	v_ashrrev_i32_e32 v69, 31, v68
	v_addc_co_u32_e32 v65, vcc, v1, v65, vcc
	v_lshlrev_b64 v[66:67], 3, v[68:69]
	v_add_u32_e32 v70, s17, v68
	v_add_co_u32_e32 v66, vcc, s4, v66
	v_ashrrev_i32_e32 v71, 31, v70
	v_addc_co_u32_e32 v67, vcc, v1, v67, vcc
	v_lshlrev_b64 v[68:69], 3, v[70:71]
	v_add_u32_e32 v72, s17, v70
	v_add_co_u32_e32 v68, vcc, s4, v68
	v_ashrrev_i32_e32 v73, 31, v72
	v_addc_co_u32_e32 v69, vcc, v1, v69, vcc
	v_lshlrev_b64 v[70:71], 3, v[72:73]
	v_add_u32_e32 v74, s17, v72
	v_add_co_u32_e32 v70, vcc, s4, v70
	v_ashrrev_i32_e32 v75, 31, v74
	v_addc_co_u32_e32 v71, vcc, v1, v71, vcc
	v_lshlrev_b64 v[72:73], 3, v[74:75]
	v_add_u32_e32 v76, s17, v74
	v_add_co_u32_e32 v72, vcc, s4, v72
	v_ashrrev_i32_e32 v77, 31, v76
	v_addc_co_u32_e32 v73, vcc, v1, v73, vcc
	v_lshlrev_b64 v[74:75], 3, v[76:77]
	v_add_u32_e32 v78, s17, v76
	v_add_co_u32_e32 v74, vcc, s4, v74
	v_ashrrev_i32_e32 v79, 31, v78
	v_addc_co_u32_e32 v75, vcc, v1, v75, vcc
	v_lshlrev_b64 v[76:77], 3, v[78:79]
	v_add_u32_e32 v80, s17, v78
	v_add_co_u32_e32 v76, vcc, s4, v76
	v_ashrrev_i32_e32 v81, 31, v80
	v_addc_co_u32_e32 v77, vcc, v1, v77, vcc
	v_lshlrev_b64 v[78:79], 3, v[80:81]
	v_add_u32_e32 v82, s17, v80
	v_add_co_u32_e32 v78, vcc, s4, v78
	v_ashrrev_i32_e32 v83, 31, v82
	v_addc_co_u32_e32 v79, vcc, v1, v79, vcc
	v_lshlrev_b64 v[80:81], 3, v[82:83]
	v_add_u32_e32 v84, s17, v82
	v_add_co_u32_e32 v80, vcc, s4, v80
	v_ashrrev_i32_e32 v85, 31, v84
	v_addc_co_u32_e32 v81, vcc, v1, v81, vcc
	v_lshlrev_b64 v[82:83], 3, v[84:85]
	v_add_u32_e32 v86, s17, v84
	v_add_co_u32_e32 v82, vcc, s4, v82
	v_ashrrev_i32_e32 v87, 31, v86
	v_addc_co_u32_e32 v83, vcc, v1, v83, vcc
	v_lshlrev_b64 v[84:85], 3, v[86:87]
	v_add_u32_e32 v88, s17, v86
	v_add_co_u32_e32 v84, vcc, s4, v84
	v_ashrrev_i32_e32 v89, 31, v88
	v_addc_co_u32_e32 v85, vcc, v1, v85, vcc
	v_lshlrev_b64 v[86:87], 3, v[88:89]
	v_add_u32_e32 v90, s17, v88
	v_add_co_u32_e32 v86, vcc, s4, v86
	v_ashrrev_i32_e32 v91, 31, v90
	v_addc_co_u32_e32 v87, vcc, v1, v87, vcc
	v_lshlrev_b64 v[88:89], 3, v[90:91]
	v_add_u32_e32 v92, s17, v90
	v_add_co_u32_e32 v88, vcc, s4, v88
	v_ashrrev_i32_e32 v93, 31, v92
	v_addc_co_u32_e32 v89, vcc, v1, v89, vcc
	v_lshlrev_b64 v[90:91], 3, v[92:93]
	v_add_u32_e32 v94, s17, v92
	v_add_co_u32_e32 v90, vcc, s4, v90
	v_ashrrev_i32_e32 v95, 31, v94
	v_addc_co_u32_e32 v91, vcc, v1, v91, vcc
	v_lshlrev_b64 v[92:93], 3, v[94:95]
	v_add_u32_e32 v96, s17, v94
	v_add_co_u32_e32 v92, vcc, s4, v92
	v_ashrrev_i32_e32 v97, 31, v96
	v_addc_co_u32_e32 v93, vcc, v1, v93, vcc
	v_lshlrev_b64 v[94:95], 3, v[96:97]
	v_add_u32_e32 v98, s17, v96
	v_add_co_u32_e32 v94, vcc, s4, v94
	v_ashrrev_i32_e32 v99, 31, v98
	v_addc_co_u32_e32 v95, vcc, v1, v95, vcc
	v_lshlrev_b64 v[96:97], 3, v[98:99]
	v_add_u32_e32 v100, s17, v98
	v_add_co_u32_e32 v96, vcc, s4, v96
	v_ashrrev_i32_e32 v101, 31, v100
	v_addc_co_u32_e32 v97, vcc, v1, v97, vcc
	v_lshlrev_b64 v[98:99], 3, v[100:101]
	v_add_u32_e32 v102, s17, v100
	v_add_co_u32_e32 v98, vcc, s4, v98
	v_ashrrev_i32_e32 v103, 31, v102
	v_addc_co_u32_e32 v99, vcc, v1, v99, vcc
	v_lshlrev_b64 v[100:101], 3, v[102:103]
	v_add_u32_e32 v104, s17, v102
	v_add_co_u32_e32 v100, vcc, s4, v100
	v_ashrrev_i32_e32 v105, 31, v104
	v_addc_co_u32_e32 v101, vcc, v1, v101, vcc
	v_lshlrev_b64 v[102:103], 3, v[104:105]
	v_add_u32_e32 v106, s17, v104
	v_add_co_u32_e32 v102, vcc, s4, v102
	v_ashrrev_i32_e32 v107, 31, v106
	v_addc_co_u32_e32 v103, vcc, v1, v103, vcc
	v_lshlrev_b64 v[104:105], 3, v[106:107]
	v_add_u32_e32 v108, s17, v106
	v_add_co_u32_e32 v104, vcc, s4, v104
	v_ashrrev_i32_e32 v109, 31, v108
	v_addc_co_u32_e32 v105, vcc, v1, v105, vcc
	v_lshlrev_b64 v[106:107], 3, v[108:109]
	v_add_u32_e32 v110, s17, v108
	v_add_co_u32_e32 v106, vcc, s4, v106
	v_ashrrev_i32_e32 v111, 31, v110
	v_addc_co_u32_e32 v107, vcc, v1, v107, vcc
	v_lshlrev_b64 v[108:109], 3, v[110:111]
	v_add_co_u32_e32 v108, vcc, s4, v108
	v_addc_co_u32_e32 v109, vcc, v1, v109, vcc
	v_lshlrev_b32_e32 v1, 3, v0
	v_mov_b32_e32 v111, s5
	v_add_co_u32_e32 v118, vcc, s4, v1
	s_ashr_i32 s7, s17, 31
	s_mov_b32 s6, s17
	v_addc_co_u32_e32 v119, vcc, 0, v111, vcc
	s_lshl_b64 s[6:7], s[6:7], 3
	v_mov_b32_e32 v111, s7
	v_add_co_u32_e32 v120, vcc, s6, v118
	global_load_dwordx2 v[128:129], v1, s[4:5]
	global_load_dwordx2 v[132:133], v[2:3], off
	global_load_dwordx2 v[134:135], v[4:5], off
	;; [unrolled: 1-line block ×3, first 2 shown]
	v_addc_co_u32_e32 v121, vcc, v119, v111, vcc
	global_load_dwordx2 v[130:131], v[120:121], off
	global_load_dwordx2 v[142:143], v[12:13], off
	;; [unrolled: 1-line block ×10, first 2 shown]
	v_add_u32_e32 v112, s17, v110
	v_ashrrev_i32_e32 v113, 31, v112
	v_lshlrev_b64 v[110:111], 3, v[112:113]
	v_mov_b32_e32 v114, s5
	v_add_co_u32_e32 v110, vcc, s4, v110
	v_addc_co_u32_e32 v111, vcc, v114, v111, vcc
	v_add_u32_e32 v114, s17, v112
	v_ashrrev_i32_e32 v115, 31, v114
	v_lshlrev_b64 v[112:113], 3, v[114:115]
	v_mov_b32_e32 v116, s5
	v_add_co_u32_e32 v112, vcc, s4, v112
	v_addc_co_u32_e32 v113, vcc, v116, v113, vcc
	v_add_u32_e32 v116, s17, v114
	global_load_dwordx2 v[156:157], v[26:27], off
	global_load_dwordx2 v[158:159], v[28:29], off
	v_ashrrev_i32_e32 v117, 31, v116
	v_lshlrev_b64 v[114:115], 3, v[116:117]
	v_mov_b32_e32 v122, s5
	v_add_co_u32_e32 v114, vcc, s4, v114
	v_addc_co_u32_e32 v115, vcc, v122, v115, vcc
	v_add_u32_e32 v122, s17, v116
	v_ashrrev_i32_e32 v123, 31, v122
	v_lshlrev_b64 v[116:117], 3, v[122:123]
	v_mov_b32_e32 v124, s5
	v_add_co_u32_e32 v116, vcc, s4, v116
	v_addc_co_u32_e32 v117, vcc, v124, v117, vcc
	v_add_u32_e32 v124, s17, v122
	v_ashrrev_i32_e32 v125, 31, v124
	global_load_dwordx2 v[160:161], v[30:31], off
	global_load_dwordx2 v[162:163], v[32:33], off
	v_lshlrev_b64 v[122:123], 3, v[124:125]
	v_mov_b32_e32 v126, s5
	v_add_co_u32_e32 v122, vcc, s4, v122
	v_addc_co_u32_e32 v123, vcc, v126, v123, vcc
	v_add_u32_e32 v126, s17, v124
	v_ashrrev_i32_e32 v127, 31, v126
	v_lshlrev_b64 v[124:125], 3, v[126:127]
	v_mov_b32_e32 v164, s5
	v_add_co_u32_e32 v124, vcc, s4, v124
	v_addc_co_u32_e32 v125, vcc, v164, v125, vcc
	global_load_dwordx2 v[164:165], v[34:35], off
	global_load_dwordx2 v[166:167], v[36:37], off
	v_add_u32_e32 v126, s17, v126
	v_ashrrev_i32_e32 v127, 31, v126
	v_lshlrev_b64 v[126:127], 3, v[126:127]
	v_mov_b32_e32 v168, s5
	v_add_co_u32_e32 v126, vcc, s4, v126
	v_addc_co_u32_e32 v127, vcc, v168, v127, vcc
	global_load_dwordx2 v[168:169], v[38:39], off
	global_load_dwordx2 v[170:171], v[126:127], off
	s_waitcnt vmcnt(21)
	buffer_store_dword v129, off, s[0:3], 0 offset:4
	buffer_store_dword v128, off, s[0:3], 0
	global_load_dwordx2 v[128:129], v[40:41], off
	s_waitcnt vmcnt(20)
	buffer_store_dword v131, off, s[0:3], 0 offset:12
	buffer_store_dword v130, off, s[0:3], 0 offset:8
	global_load_dwordx2 v[130:131], v[42:43], off
	s_nop 0
	global_load_dwordx2 v[172:173], v[44:45], off
	global_load_dwordx2 v[174:175], v[48:49], off
	;; [unrolled: 1-line block ×20, first 2 shown]
	s_cmpk_lg_i32 s13, 0x84
	buffer_store_dword v133, off, s[0:3], 0 offset:20
	buffer_store_dword v132, off, s[0:3], 0 offset:16
	global_load_dwordx2 v[132:133], v[46:47], off
	s_cselect_b64 s[8:9], -1, 0
	buffer_store_dword v135, off, s[0:3], 0 offset:28
	buffer_store_dword v134, off, s[0:3], 0 offset:24
	global_load_dwordx2 v[134:135], v[50:51], off
	s_cmpk_eq_i32 s13, 0x84
	buffer_store_dword v137, off, s[0:3], 0 offset:36
	buffer_store_dword v136, off, s[0:3], 0 offset:32
	global_load_dwordx2 v[136:137], v[54:55], off
	s_waitcnt vmcnt(50)
	buffer_store_dword v139, off, s[0:3], 0 offset:44
	buffer_store_dword v138, off, s[0:3], 0 offset:40
	global_load_dwordx2 v[138:139], v[58:59], off
	s_waitcnt vmcnt(52)
	buffer_store_dword v141, off, s[0:3], 0 offset:52
	buffer_store_dword v140, off, s[0:3], 0 offset:48
	global_load_dwordx2 v[140:141], v[62:63], off
	s_nop 0
	buffer_store_dword v143, off, s[0:3], 0 offset:60
	buffer_store_dword v142, off, s[0:3], 0 offset:56
	global_load_dwordx2 v[142:143], v[66:67], off
	s_waitcnt vmcnt(57)
	buffer_store_dword v145, off, s[0:3], 0 offset:68
	buffer_store_dword v144, off, s[0:3], 0 offset:64
	global_load_dwordx2 v[144:145], v[70:71], off
	s_waitcnt vmcnt(59)
	;; [unrolled: 4-line block ×4, first 2 shown]
	buffer_store_dword v150, off, s[0:3], 0 offset:88
	buffer_store_dword v151, off, s[0:3], 0 offset:92
	global_load_dwordx2 v[150:151], v[82:83], off
	s_nop 0
	buffer_store_dword v152, off, s[0:3], 0 offset:96
	buffer_store_dword v153, off, s[0:3], 0 offset:100
	global_load_dwordx2 v[152:153], v[86:87], off
	s_waitcnt vmcnt(62)
	buffer_store_dword v154, off, s[0:3], 0 offset:104
	buffer_store_dword v155, off, s[0:3], 0 offset:108
	global_load_dwordx2 v[154:155], v[90:91], off
	s_nop 0
	buffer_store_dword v157, off, s[0:3], 0 offset:116
	buffer_store_dword v156, off, s[0:3], 0 offset:112
	global_load_dwordx2 v[156:157], v[94:95], off
	s_nop 0
	;; [unrolled: 4-line block ×5, first 2 shown]
	buffer_store_dword v164, off, s[0:3], 0 offset:144
	buffer_store_dword v165, off, s[0:3], 0 offset:148
	global_load_dwordx2 v[164:165], v[110:111], off
	s_waitcnt vmcnt(62)
	buffer_store_dword v167, off, s[0:3], 0 offset:156
	buffer_store_dword v166, off, s[0:3], 0 offset:152
	global_load_dwordx2 v[166:167], v[114:115], off
	s_nop 0
	buffer_store_dword v169, off, s[0:3], 0 offset:164
	buffer_store_dword v168, off, s[0:3], 0 offset:160
	global_load_dwordx2 v[168:169], v[122:123], off
	s_nop 0
	buffer_store_dword v128, off, s[0:3], 0 offset:168
	buffer_store_dword v129, off, s[0:3], 0 offset:172
	;; [unrolled: 1-line block ×6, first 2 shown]
	s_waitcnt vmcnt(60)
	buffer_store_dword v132, off, s[0:3], 0 offset:192
	buffer_store_dword v133, off, s[0:3], 0 offset:196
	buffer_store_dword v175, off, s[0:3], 0 offset:204
	buffer_store_dword v174, off, s[0:3], 0 offset:200
	s_waitcnt vmcnt(61)
	buffer_store_dword v135, off, s[0:3], 0 offset:212
	buffer_store_dword v134, off, s[0:3], 0 offset:208
	buffer_store_dword v176, off, s[0:3], 0 offset:216
	buffer_store_dword v177, off, s[0:3], 0 offset:220
	;; [unrolled: 5-line block ×6, first 2 shown]
	buffer_store_dword v144, off, s[0:3], 0 offset:288
	buffer_store_dword v145, off, s[0:3], 0 offset:292
	buffer_store_dword v187, off, s[0:3], 0 offset:300
	buffer_store_dword v186, off, s[0:3], 0 offset:296
	s_waitcnt vmcnt(62)
	buffer_store_dword v147, off, s[0:3], 0 offset:308
	buffer_store_dword v146, off, s[0:3], 0 offset:304
	;; [unrolled: 1-line block ×8, first 2 shown]
	s_waitcnt vmcnt(62)
	buffer_store_dword v150, off, s[0:3], 0 offset:336
	buffer_store_dword v151, off, s[0:3], 0 offset:340
	;; [unrolled: 1-line block ×12, first 2 shown]
	s_waitcnt vmcnt(62)
	buffer_store_dword v156, off, s[0:3], 0 offset:384
	buffer_store_dword v157, off, s[0:3], 0 offset:388
	;; [unrolled: 1-line block ×16, first 2 shown]
	s_waitcnt vmcnt(62)
	buffer_store_dword v165, off, s[0:3], 0 offset:452
	buffer_store_dword v164, off, s[0:3], 0 offset:448
	;; [unrolled: 1-line block ×14, first 2 shown]
	v_mov_b32_e32 v128, 0
	v_mov_b32_e32 v191, 0
	;; [unrolled: 1-line block ×3, first 2 shown]
	s_cbranch_scc1 .LBB62_3
; %bb.2:
	v_lshl_add_u32 v138, v0, 3, v191
	buffer_load_dword v128, v138, s[0:3], 0 offen
	buffer_load_dword v129, v138, s[0:3], 0 offen offset:4
	s_waitcnt vmcnt(0)
	v_div_scale_f64 v[130:131], s[4:5], v[128:129], v[128:129], 1.0
	v_rcp_f64_e32 v[132:133], v[130:131]
	v_div_scale_f64 v[134:135], vcc, 1.0, v[128:129], 1.0
	v_fma_f64 v[136:137], -v[130:131], v[132:133], 1.0
	v_fmac_f64_e32 v[132:133], v[132:133], v[136:137]
	v_fma_f64 v[136:137], -v[130:131], v[132:133], 1.0
	v_fmac_f64_e32 v[132:133], v[132:133], v[136:137]
	v_mul_f64 v[136:137], v[134:135], v[132:133]
	v_fma_f64 v[130:131], -v[130:131], v[136:137], v[134:135]
	v_div_fmas_f64 v[130:131], v[130:131], v[132:133], v[136:137]
	v_div_fixup_f64 v[128:129], v[130:131], v[128:129], 1.0
	buffer_store_dword v128, v138, s[0:3], 0 offen
	buffer_store_dword v129, v138, s[0:3], 0 offen offset:4
	v_xor_b32_e32 v129, 0x80000000, v129
.LBB62_3:
	s_cmpk_eq_i32 s12, 0x79
	v_or_b32_e32 v130, 0x200, v1
	v_add_u32_e32 v131, 0, v1
	s_mov_b64 s[4:5], -1
	ds_write_b64 v1, v[128:129]
	s_cbranch_scc1 .LBB62_617
; %bb.4:
	buffer_load_dword v128, off, s[0:3], 0 offset:488
	buffer_load_dword v129, off, s[0:3], 0 offset:492
	v_cmp_eq_u32_e64 s[4:5], 62, v0
	s_waitcnt vmcnt(0)
	ds_write_b64 v130, v[128:129]
	s_waitcnt lgkmcnt(0)
	; wave barrier
	s_waitcnt lgkmcnt(0)
	s_and_saveexec_b64 s[6:7], s[4:5]
	s_cbranch_execz .LBB62_10
; %bb.5:
	s_and_b64 vcc, exec, s[8:9]
	s_cbranch_vccz .LBB62_7
; %bb.6:
	buffer_load_dword v128, v131, s[0:3], 0 offen
	buffer_load_dword v129, v131, s[0:3], 0 offen offset:4
	ds_read_b64 v[132:133], v130
	s_waitcnt vmcnt(0) lgkmcnt(0)
	v_mul_f64 v[128:129], v[128:129], v[132:133]
	s_cbranch_execz .LBB62_8
	s_branch .LBB62_9
.LBB62_7:
                                        ; implicit-def: $vgpr128_vgpr129
.LBB62_8:
	ds_read_b64 v[128:129], v130
.LBB62_9:
	v_mov_b32_e32 v132, 0
	ds_read_b64 v[132:133], v132 offset:488
	s_waitcnt lgkmcnt(0)
	v_mul_f64 v[128:129], v[128:129], v[132:133]
	buffer_store_dword v129, off, s[0:3], 0 offset:492
	buffer_store_dword v128, off, s[0:3], 0 offset:488
.LBB62_10:
	s_or_b64 exec, exec, s[6:7]
	buffer_load_dword v128, off, s[0:3], 0 offset:480
	buffer_load_dword v129, off, s[0:3], 0 offset:484
	v_or_b32_e32 v132, 8, v191
	v_add_u32_e32 v133, 16, v191
	v_add_u32_e32 v134, 24, v191
	;; [unrolled: 1-line block ×59, first 2 shown]
	v_cmp_lt_u32_e64 s[6:7], 60, v0
	s_waitcnt vmcnt(0)
	ds_write_b64 v130, v[128:129]
	s_waitcnt lgkmcnt(0)
	; wave barrier
	s_waitcnt lgkmcnt(0)
	s_and_saveexec_b64 s[10:11], s[6:7]
	s_cbranch_execz .LBB62_16
; %bb.11:
	s_andn2_b64 vcc, exec, s[8:9]
	s_cbranch_vccnz .LBB62_13
; %bb.12:
	buffer_load_dword v128, v131, s[0:3], 0 offen
	buffer_load_dword v129, v131, s[0:3], 0 offen offset:4
	ds_read_b64 v[192:193], v130
	s_waitcnt vmcnt(0) lgkmcnt(0)
	v_mul_f64 v[128:129], v[128:129], v[192:193]
	s_cbranch_execz .LBB62_14
	s_branch .LBB62_15
.LBB62_13:
                                        ; implicit-def: $vgpr128_vgpr129
.LBB62_14:
	ds_read_b64 v[128:129], v130
.LBB62_15:
	buffer_load_dword v196, off, s[0:3], 0 offset:488
	buffer_load_dword v197, off, s[0:3], 0 offset:492
	v_mov_b32_e32 v192, 0
	ds_read2_b64 v[192:195], v192 offset0:60 offset1:125
	s_waitcnt vmcnt(0) lgkmcnt(0)
	v_fma_f64 v[194:195], v[196:197], v[194:195], v[128:129]
	v_cndmask_b32_e64 v129, v129, v195, s[4:5]
	v_cndmask_b32_e64 v128, v128, v194, s[4:5]
	v_mul_f64 v[128:129], v[128:129], v[192:193]
	buffer_store_dword v129, off, s[0:3], 0 offset:484
	buffer_store_dword v128, off, s[0:3], 0 offset:480
.LBB62_16:
	s_or_b64 exec, exec, s[10:11]
	buffer_load_dword v128, off, s[0:3], 0 offset:472
	buffer_load_dword v129, off, s[0:3], 0 offset:476
	v_cmp_lt_u32_e64 s[4:5], 59, v0
	s_waitcnt vmcnt(0)
	ds_write_b64 v130, v[128:129]
	s_waitcnt lgkmcnt(0)
	; wave barrier
	s_waitcnt lgkmcnt(0)
	s_and_saveexec_b64 s[10:11], s[4:5]
	s_cbranch_execz .LBB62_26
; %bb.17:
	s_andn2_b64 vcc, exec, s[8:9]
	s_cbranch_vccnz .LBB62_19
; %bb.18:
	buffer_load_dword v128, v131, s[0:3], 0 offen
	buffer_load_dword v129, v131, s[0:3], 0 offen offset:4
	ds_read_b64 v[192:193], v130
	s_waitcnt vmcnt(0) lgkmcnt(0)
	v_mul_f64 v[128:129], v[128:129], v[192:193]
	s_cbranch_execz .LBB62_20
	s_branch .LBB62_21
.LBB62_19:
                                        ; implicit-def: $vgpr128_vgpr129
.LBB62_20:
	ds_read_b64 v[128:129], v130
.LBB62_21:
	s_and_saveexec_b64 s[12:13], s[6:7]
	s_cbranch_execz .LBB62_25
; %bb.22:
	v_subrev_u32_e32 v192, 60, v0
	s_movk_i32 s14, 0x3e0
	s_mov_b64 s[6:7], 0
.LBB62_23:                              ; =>This Inner Loop Header: Depth=1
	buffer_load_dword v194, v191, s[0:3], 0 offen
	buffer_load_dword v195, v191, s[0:3], 0 offen offset:4
	v_mov_b32_e32 v193, s14
	ds_read_b64 v[196:197], v193
	v_add_u32_e32 v192, -1, v192
	s_add_i32 s14, s14, 8
	v_cmp_eq_u32_e32 vcc, 0, v192
	v_add_u32_e32 v191, 8, v191
	s_or_b64 s[6:7], vcc, s[6:7]
	s_waitcnt vmcnt(0) lgkmcnt(0)
	v_fmac_f64_e32 v[128:129], v[194:195], v[196:197]
	s_andn2_b64 exec, exec, s[6:7]
	s_cbranch_execnz .LBB62_23
; %bb.24:
	s_or_b64 exec, exec, s[6:7]
.LBB62_25:
	s_or_b64 exec, exec, s[12:13]
	v_mov_b32_e32 v191, 0
	ds_read_b64 v[192:193], v191 offset:472
	s_waitcnt lgkmcnt(0)
	v_mul_f64 v[128:129], v[128:129], v[192:193]
	buffer_store_dword v129, off, s[0:3], 0 offset:476
	buffer_store_dword v128, off, s[0:3], 0 offset:472
.LBB62_26:
	s_or_b64 exec, exec, s[10:11]
	buffer_load_dword v128, off, s[0:3], 0 offset:464
	buffer_load_dword v129, off, s[0:3], 0 offset:468
	v_cmp_lt_u32_e64 s[6:7], 58, v0
	s_waitcnt vmcnt(0)
	ds_write_b64 v130, v[128:129]
	s_waitcnt lgkmcnt(0)
	; wave barrier
	s_waitcnt lgkmcnt(0)
	s_and_saveexec_b64 s[10:11], s[6:7]
	s_cbranch_execz .LBB62_36
; %bb.27:
	s_andn2_b64 vcc, exec, s[8:9]
	s_cbranch_vccnz .LBB62_29
; %bb.28:
	buffer_load_dword v128, v131, s[0:3], 0 offen
	buffer_load_dword v129, v131, s[0:3], 0 offen offset:4
	ds_read_b64 v[192:193], v130
	s_waitcnt vmcnt(0) lgkmcnt(0)
	v_mul_f64 v[128:129], v[128:129], v[192:193]
	s_cbranch_execz .LBB62_30
	s_branch .LBB62_31
.LBB62_29:
                                        ; implicit-def: $vgpr128_vgpr129
.LBB62_30:
	ds_read_b64 v[128:129], v130
.LBB62_31:
	s_and_saveexec_b64 s[12:13], s[4:5]
	s_cbranch_execz .LBB62_35
; %bb.32:
	v_subrev_u32_e32 v191, 59, v0
	s_movk_i32 s14, 0x3d8
	s_mov_b64 s[4:5], 0
.LBB62_33:                              ; =>This Inner Loop Header: Depth=1
	buffer_load_dword v192, v190, s[0:3], 0 offen
	buffer_load_dword v193, v190, s[0:3], 0 offen offset:4
	v_mov_b32_e32 v194, s14
	ds_read_b64 v[194:195], v194
	v_add_u32_e32 v191, -1, v191
	s_add_i32 s14, s14, 8
	v_cmp_eq_u32_e32 vcc, 0, v191
	v_add_u32_e32 v190, 8, v190
	s_or_b64 s[4:5], vcc, s[4:5]
	s_waitcnt vmcnt(0) lgkmcnt(0)
	v_fmac_f64_e32 v[128:129], v[192:193], v[194:195]
	s_andn2_b64 exec, exec, s[4:5]
	s_cbranch_execnz .LBB62_33
; %bb.34:
	s_or_b64 exec, exec, s[4:5]
.LBB62_35:
	s_or_b64 exec, exec, s[12:13]
	v_mov_b32_e32 v190, 0
	ds_read_b64 v[190:191], v190 offset:464
	s_waitcnt lgkmcnt(0)
	v_mul_f64 v[128:129], v[128:129], v[190:191]
	buffer_store_dword v129, off, s[0:3], 0 offset:468
	buffer_store_dword v128, off, s[0:3], 0 offset:464
.LBB62_36:
	;; [unrolled: 58-line block ×8, first 2 shown]
	s_or_b64 exec, exec, s[10:11]
	buffer_load_dword v128, off, s[0:3], 0 offset:408
	buffer_load_dword v129, off, s[0:3], 0 offset:412
	v_cmp_lt_u32_e64 s[4:5], 51, v0
	s_waitcnt vmcnt(0)
	ds_write_b64 v130, v[128:129]
	s_waitcnt lgkmcnt(0)
	; wave barrier
	s_waitcnt lgkmcnt(0)
	s_and_saveexec_b64 s[10:11], s[4:5]
	s_cbranch_execz .LBB62_106
; %bb.97:
	s_andn2_b64 vcc, exec, s[8:9]
	s_cbranch_vccnz .LBB62_99
; %bb.98:
	buffer_load_dword v128, v131, s[0:3], 0 offen
	buffer_load_dword v129, v131, s[0:3], 0 offen offset:4
	ds_read_b64 v[184:185], v130
	s_waitcnt vmcnt(0) lgkmcnt(0)
	v_mul_f64 v[128:129], v[128:129], v[184:185]
	s_cbranch_execz .LBB62_100
	s_branch .LBB62_101
.LBB62_99:
                                        ; implicit-def: $vgpr128_vgpr129
.LBB62_100:
	ds_read_b64 v[128:129], v130
.LBB62_101:
	s_and_saveexec_b64 s[12:13], s[6:7]
	s_cbranch_execz .LBB62_105
; %bb.102:
	v_subrev_u32_e32 v184, 52, v0
	s_movk_i32 s14, 0x3a0
	s_mov_b64 s[6:7], 0
.LBB62_103:                             ; =>This Inner Loop Header: Depth=1
	buffer_load_dword v186, v183, s[0:3], 0 offen
	buffer_load_dword v187, v183, s[0:3], 0 offen offset:4
	v_mov_b32_e32 v185, s14
	ds_read_b64 v[188:189], v185
	v_add_u32_e32 v184, -1, v184
	s_add_i32 s14, s14, 8
	v_cmp_eq_u32_e32 vcc, 0, v184
	v_add_u32_e32 v183, 8, v183
	s_or_b64 s[6:7], vcc, s[6:7]
	s_waitcnt vmcnt(0) lgkmcnt(0)
	v_fmac_f64_e32 v[128:129], v[186:187], v[188:189]
	s_andn2_b64 exec, exec, s[6:7]
	s_cbranch_execnz .LBB62_103
; %bb.104:
	s_or_b64 exec, exec, s[6:7]
.LBB62_105:
	s_or_b64 exec, exec, s[12:13]
	v_mov_b32_e32 v183, 0
	ds_read_b64 v[184:185], v183 offset:408
	s_waitcnt lgkmcnt(0)
	v_mul_f64 v[128:129], v[128:129], v[184:185]
	buffer_store_dword v129, off, s[0:3], 0 offset:412
	buffer_store_dword v128, off, s[0:3], 0 offset:408
.LBB62_106:
	s_or_b64 exec, exec, s[10:11]
	buffer_load_dword v128, off, s[0:3], 0 offset:400
	buffer_load_dword v129, off, s[0:3], 0 offset:404
	v_cmp_lt_u32_e64 s[6:7], 50, v0
	s_waitcnt vmcnt(0)
	ds_write_b64 v130, v[128:129]
	s_waitcnt lgkmcnt(0)
	; wave barrier
	s_waitcnt lgkmcnt(0)
	s_and_saveexec_b64 s[10:11], s[6:7]
	s_cbranch_execz .LBB62_116
; %bb.107:
	s_andn2_b64 vcc, exec, s[8:9]
	s_cbranch_vccnz .LBB62_109
; %bb.108:
	buffer_load_dword v128, v131, s[0:3], 0 offen
	buffer_load_dword v129, v131, s[0:3], 0 offen offset:4
	ds_read_b64 v[184:185], v130
	s_waitcnt vmcnt(0) lgkmcnt(0)
	v_mul_f64 v[128:129], v[128:129], v[184:185]
	s_cbranch_execz .LBB62_110
	s_branch .LBB62_111
.LBB62_109:
                                        ; implicit-def: $vgpr128_vgpr129
.LBB62_110:
	ds_read_b64 v[128:129], v130
.LBB62_111:
	s_and_saveexec_b64 s[12:13], s[4:5]
	s_cbranch_execz .LBB62_115
; %bb.112:
	v_subrev_u32_e32 v183, 51, v0
	s_movk_i32 s14, 0x398
	s_mov_b64 s[4:5], 0
.LBB62_113:                             ; =>This Inner Loop Header: Depth=1
	buffer_load_dword v184, v182, s[0:3], 0 offen
	buffer_load_dword v185, v182, s[0:3], 0 offen offset:4
	v_mov_b32_e32 v186, s14
	ds_read_b64 v[186:187], v186
	v_add_u32_e32 v183, -1, v183
	s_add_i32 s14, s14, 8
	v_cmp_eq_u32_e32 vcc, 0, v183
	v_add_u32_e32 v182, 8, v182
	s_or_b64 s[4:5], vcc, s[4:5]
	s_waitcnt vmcnt(0) lgkmcnt(0)
	v_fmac_f64_e32 v[128:129], v[184:185], v[186:187]
	s_andn2_b64 exec, exec, s[4:5]
	s_cbranch_execnz .LBB62_113
; %bb.114:
	s_or_b64 exec, exec, s[4:5]
.LBB62_115:
	s_or_b64 exec, exec, s[12:13]
	v_mov_b32_e32 v182, 0
	ds_read_b64 v[182:183], v182 offset:400
	s_waitcnt lgkmcnt(0)
	v_mul_f64 v[128:129], v[128:129], v[182:183]
	buffer_store_dword v129, off, s[0:3], 0 offset:404
	buffer_store_dword v128, off, s[0:3], 0 offset:400
.LBB62_116:
	;; [unrolled: 58-line block ×36, first 2 shown]
	s_or_b64 exec, exec, s[10:11]
	buffer_load_dword v128, off, s[0:3], 0 offset:120
	buffer_load_dword v129, off, s[0:3], 0 offset:124
	v_cmp_lt_u32_e64 s[4:5], 15, v0
	s_waitcnt vmcnt(0)
	ds_write_b64 v130, v[128:129]
	s_waitcnt lgkmcnt(0)
	; wave barrier
	s_waitcnt lgkmcnt(0)
	s_and_saveexec_b64 s[10:11], s[4:5]
	s_cbranch_execz .LBB62_466
; %bb.457:
	s_andn2_b64 vcc, exec, s[8:9]
	s_cbranch_vccnz .LBB62_459
; %bb.458:
	buffer_load_dword v128, v131, s[0:3], 0 offen
	buffer_load_dword v129, v131, s[0:3], 0 offen offset:4
	ds_read_b64 v[148:149], v130
	s_waitcnt vmcnt(0) lgkmcnt(0)
	v_mul_f64 v[128:129], v[128:129], v[148:149]
	s_cbranch_execz .LBB62_460
	s_branch .LBB62_461
.LBB62_459:
                                        ; implicit-def: $vgpr128_vgpr129
.LBB62_460:
	ds_read_b64 v[128:129], v130
.LBB62_461:
	s_and_saveexec_b64 s[12:13], s[6:7]
	s_cbranch_execz .LBB62_465
; %bb.462:
	v_add_u32_e32 v148, -16, v0
	s_movk_i32 s14, 0x280
	s_mov_b64 s[6:7], 0
.LBB62_463:                             ; =>This Inner Loop Header: Depth=1
	buffer_load_dword v150, v147, s[0:3], 0 offen
	buffer_load_dword v151, v147, s[0:3], 0 offen offset:4
	v_mov_b32_e32 v149, s14
	ds_read_b64 v[152:153], v149
	v_add_u32_e32 v148, -1, v148
	s_add_i32 s14, s14, 8
	v_cmp_eq_u32_e32 vcc, 0, v148
	v_add_u32_e32 v147, 8, v147
	s_or_b64 s[6:7], vcc, s[6:7]
	s_waitcnt vmcnt(0) lgkmcnt(0)
	v_fmac_f64_e32 v[128:129], v[150:151], v[152:153]
	s_andn2_b64 exec, exec, s[6:7]
	s_cbranch_execnz .LBB62_463
; %bb.464:
	s_or_b64 exec, exec, s[6:7]
.LBB62_465:
	s_or_b64 exec, exec, s[12:13]
	v_mov_b32_e32 v147, 0
	ds_read_b64 v[148:149], v147 offset:120
	s_waitcnt lgkmcnt(0)
	v_mul_f64 v[128:129], v[128:129], v[148:149]
	buffer_store_dword v129, off, s[0:3], 0 offset:124
	buffer_store_dword v128, off, s[0:3], 0 offset:120
.LBB62_466:
	s_or_b64 exec, exec, s[10:11]
	buffer_load_dword v128, off, s[0:3], 0 offset:112
	buffer_load_dword v129, off, s[0:3], 0 offset:116
	v_cmp_lt_u32_e64 s[6:7], 14, v0
	s_waitcnt vmcnt(0)
	ds_write_b64 v130, v[128:129]
	s_waitcnt lgkmcnt(0)
	; wave barrier
	s_waitcnt lgkmcnt(0)
	s_and_saveexec_b64 s[10:11], s[6:7]
	s_cbranch_execz .LBB62_476
; %bb.467:
	s_andn2_b64 vcc, exec, s[8:9]
	s_cbranch_vccnz .LBB62_469
; %bb.468:
	buffer_load_dword v128, v131, s[0:3], 0 offen
	buffer_load_dword v129, v131, s[0:3], 0 offen offset:4
	ds_read_b64 v[148:149], v130
	s_waitcnt vmcnt(0) lgkmcnt(0)
	v_mul_f64 v[128:129], v[128:129], v[148:149]
	s_cbranch_execz .LBB62_470
	s_branch .LBB62_471
.LBB62_469:
                                        ; implicit-def: $vgpr128_vgpr129
.LBB62_470:
	ds_read_b64 v[128:129], v130
.LBB62_471:
	s_and_saveexec_b64 s[12:13], s[4:5]
	s_cbranch_execz .LBB62_475
; %bb.472:
	v_add_u32_e32 v147, -15, v0
	s_movk_i32 s14, 0x278
	s_mov_b64 s[4:5], 0
.LBB62_473:                             ; =>This Inner Loop Header: Depth=1
	buffer_load_dword v148, v146, s[0:3], 0 offen
	buffer_load_dword v149, v146, s[0:3], 0 offen offset:4
	v_mov_b32_e32 v150, s14
	ds_read_b64 v[150:151], v150
	v_add_u32_e32 v147, -1, v147
	s_add_i32 s14, s14, 8
	v_cmp_eq_u32_e32 vcc, 0, v147
	v_add_u32_e32 v146, 8, v146
	s_or_b64 s[4:5], vcc, s[4:5]
	s_waitcnt vmcnt(0) lgkmcnt(0)
	v_fmac_f64_e32 v[128:129], v[148:149], v[150:151]
	s_andn2_b64 exec, exec, s[4:5]
	s_cbranch_execnz .LBB62_473
; %bb.474:
	s_or_b64 exec, exec, s[4:5]
.LBB62_475:
	s_or_b64 exec, exec, s[12:13]
	v_mov_b32_e32 v146, 0
	ds_read_b64 v[146:147], v146 offset:112
	s_waitcnt lgkmcnt(0)
	v_mul_f64 v[128:129], v[128:129], v[146:147]
	buffer_store_dword v129, off, s[0:3], 0 offset:116
	buffer_store_dword v128, off, s[0:3], 0 offset:112
.LBB62_476:
	;; [unrolled: 58-line block ×15, first 2 shown]
	s_or_b64 exec, exec, s[10:11]
	buffer_load_dword v128, off, s[0:3], 0
	buffer_load_dword v129, off, s[0:3], 0 offset:4
	v_cmp_ne_u32_e32 vcc, 0, v0
	s_waitcnt vmcnt(0)
	ds_write_b64 v130, v[128:129]
	s_waitcnt lgkmcnt(0)
	; wave barrier
	s_waitcnt lgkmcnt(0)
	s_and_saveexec_b64 s[6:7], vcc
	s_cbranch_execz .LBB62_616
; %bb.607:
	s_andn2_b64 vcc, exec, s[8:9]
	s_cbranch_vccnz .LBB62_609
; %bb.608:
	buffer_load_dword v128, v131, s[0:3], 0 offen
	buffer_load_dword v129, v131, s[0:3], 0 offen offset:4
	ds_read_b64 v[134:135], v130
	s_waitcnt vmcnt(0) lgkmcnt(0)
	v_mul_f64 v[128:129], v[128:129], v[134:135]
	s_cbranch_execz .LBB62_610
	s_branch .LBB62_611
.LBB62_609:
                                        ; implicit-def: $vgpr128_vgpr129
.LBB62_610:
	ds_read_b64 v[128:129], v130
.LBB62_611:
	s_and_saveexec_b64 s[10:11], s[4:5]
	s_cbranch_execz .LBB62_615
; %bb.612:
	v_add_u32_e32 v133, -1, v0
	s_movk_i32 s12, 0x208
	s_mov_b64 s[4:5], 0
.LBB62_613:                             ; =>This Inner Loop Header: Depth=1
	buffer_load_dword v134, v132, s[0:3], 0 offen
	buffer_load_dword v135, v132, s[0:3], 0 offen offset:4
	v_mov_b32_e32 v136, s12
	ds_read_b64 v[136:137], v136
	v_add_u32_e32 v133, -1, v133
	s_add_i32 s12, s12, 8
	v_cmp_eq_u32_e32 vcc, 0, v133
	v_add_u32_e32 v132, 8, v132
	s_or_b64 s[4:5], vcc, s[4:5]
	s_waitcnt vmcnt(0) lgkmcnt(0)
	v_fmac_f64_e32 v[128:129], v[134:135], v[136:137]
	s_andn2_b64 exec, exec, s[4:5]
	s_cbranch_execnz .LBB62_613
; %bb.614:
	s_or_b64 exec, exec, s[4:5]
.LBB62_615:
	s_or_b64 exec, exec, s[10:11]
	v_mov_b32_e32 v132, 0
	ds_read_b64 v[132:133], v132
	s_waitcnt lgkmcnt(0)
	v_mul_f64 v[128:129], v[128:129], v[132:133]
	buffer_store_dword v129, off, s[0:3], 0 offset:4
	buffer_store_dword v128, off, s[0:3], 0
.LBB62_616:
	s_or_b64 exec, exec, s[6:7]
	s_mov_b64 s[4:5], 0
.LBB62_617:
	s_and_b64 vcc, exec, s[4:5]
	s_cbranch_vccz .LBB62_1231
; %bb.618:
	buffer_load_dword v128, off, s[0:3], 0 offset:8
	buffer_load_dword v129, off, s[0:3], 0 offset:12
	v_cmp_eq_u32_e64 s[6:7], 0, v0
	s_waitcnt vmcnt(0)
	ds_write_b64 v130, v[128:129]
	s_waitcnt lgkmcnt(0)
	; wave barrier
	s_waitcnt lgkmcnt(0)
	s_and_saveexec_b64 s[4:5], s[6:7]
	s_cbranch_execz .LBB62_624
; %bb.619:
	s_and_b64 vcc, exec, s[8:9]
	s_cbranch_vccz .LBB62_621
; %bb.620:
	buffer_load_dword v128, v131, s[0:3], 0 offen
	buffer_load_dword v129, v131, s[0:3], 0 offen offset:4
	ds_read_b64 v[132:133], v130
	s_waitcnt vmcnt(0) lgkmcnt(0)
	v_mul_f64 v[128:129], v[128:129], v[132:133]
	s_cbranch_execz .LBB62_622
	s_branch .LBB62_623
.LBB62_621:
                                        ; implicit-def: $vgpr128_vgpr129
.LBB62_622:
	ds_read_b64 v[128:129], v130
.LBB62_623:
	v_mov_b32_e32 v132, 0
	ds_read_b64 v[132:133], v132 offset:8
	s_waitcnt lgkmcnt(0)
	v_mul_f64 v[128:129], v[128:129], v[132:133]
	buffer_store_dword v129, off, s[0:3], 0 offset:12
	buffer_store_dword v128, off, s[0:3], 0 offset:8
.LBB62_624:
	s_or_b64 exec, exec, s[4:5]
	buffer_load_dword v128, off, s[0:3], 0 offset:16
	buffer_load_dword v129, off, s[0:3], 0 offset:20
	v_cndmask_b32_e64 v132, 0, 1, s[8:9]
	v_cmp_gt_u32_e32 vcc, 2, v0
	v_cmp_ne_u32_e64 s[4:5], 1, v132
	s_waitcnt vmcnt(0)
	ds_write_b64 v130, v[128:129]
	s_waitcnt lgkmcnt(0)
	; wave barrier
	s_waitcnt lgkmcnt(0)
	s_and_saveexec_b64 s[8:9], vcc
	s_cbranch_execz .LBB62_632
; %bb.625:
	s_and_b64 vcc, exec, s[4:5]
	s_cbranch_vccnz .LBB62_627
; %bb.626:
	buffer_load_dword v128, v131, s[0:3], 0 offen
	buffer_load_dword v129, v131, s[0:3], 0 offen offset:4
	ds_read_b64 v[132:133], v130
	s_waitcnt vmcnt(0) lgkmcnt(0)
	v_mul_f64 v[128:129], v[128:129], v[132:133]
	s_cbranch_execz .LBB62_628
	s_branch .LBB62_629
.LBB62_627:
                                        ; implicit-def: $vgpr128_vgpr129
.LBB62_628:
	ds_read_b64 v[128:129], v130
.LBB62_629:
	s_and_saveexec_b64 s[10:11], s[6:7]
	s_cbranch_execz .LBB62_631
; %bb.630:
	buffer_load_dword v132, v131, s[0:3], 0 offen offset:8
	buffer_load_dword v133, v131, s[0:3], 0 offen offset:12
	ds_read_b64 v[134:135], v130 offset:8
	s_waitcnt vmcnt(0) lgkmcnt(0)
	v_fmac_f64_e32 v[128:129], v[132:133], v[134:135]
.LBB62_631:
	s_or_b64 exec, exec, s[10:11]
	v_mov_b32_e32 v132, 0
	ds_read_b64 v[132:133], v132 offset:16
	s_waitcnt lgkmcnt(0)
	v_mul_f64 v[128:129], v[128:129], v[132:133]
	buffer_store_dword v129, off, s[0:3], 0 offset:20
	buffer_store_dword v128, off, s[0:3], 0 offset:16
.LBB62_632:
	s_or_b64 exec, exec, s[8:9]
	buffer_load_dword v128, off, s[0:3], 0 offset:24
	buffer_load_dword v129, off, s[0:3], 0 offset:28
	v_cmp_gt_u32_e32 vcc, 3, v0
	s_waitcnt vmcnt(0)
	ds_write_b64 v130, v[128:129]
	s_waitcnt lgkmcnt(0)
	; wave barrier
	s_waitcnt lgkmcnt(0)
	s_and_saveexec_b64 s[8:9], vcc
	s_cbranch_execz .LBB62_640
; %bb.633:
	s_and_b64 vcc, exec, s[4:5]
	s_cbranch_vccnz .LBB62_635
; %bb.634:
	buffer_load_dword v128, v131, s[0:3], 0 offen
	buffer_load_dword v129, v131, s[0:3], 0 offen offset:4
	ds_read_b64 v[132:133], v130
	s_waitcnt vmcnt(0) lgkmcnt(0)
	v_mul_f64 v[128:129], v[128:129], v[132:133]
	s_cbranch_execz .LBB62_636
	s_branch .LBB62_637
.LBB62_635:
                                        ; implicit-def: $vgpr128_vgpr129
.LBB62_636:
	ds_read_b64 v[128:129], v130
.LBB62_637:
	v_cmp_ne_u32_e32 vcc, 2, v0
	s_and_saveexec_b64 s[10:11], vcc
	s_cbranch_execz .LBB62_639
; %bb.638:
	buffer_load_dword v133, v131, s[0:3], 0 offen offset:12
	buffer_load_dword v134, off, s[0:3], 0 offset:16
	buffer_load_dword v132, v131, s[0:3], 0 offen offset:8
	buffer_load_dword v135, off, s[0:3], 0 offset:20
	v_mov_b32_e32 v138, 0
	ds_read_b64 v[136:137], v130 offset:8
	ds_read_b64 v[138:139], v138 offset:528
	s_waitcnt vmcnt(1) lgkmcnt(1)
	v_fmac_f64_e32 v[128:129], v[132:133], v[136:137]
	s_waitcnt vmcnt(0) lgkmcnt(0)
	v_fma_f64 v[132:133], v[134:135], v[138:139], v[128:129]
	v_cndmask_b32_e64 v129, v129, v133, s[6:7]
	v_cndmask_b32_e64 v128, v128, v132, s[6:7]
.LBB62_639:
	s_or_b64 exec, exec, s[10:11]
	v_mov_b32_e32 v132, 0
	ds_read_b64 v[132:133], v132 offset:24
	s_waitcnt lgkmcnt(0)
	v_mul_f64 v[128:129], v[128:129], v[132:133]
	buffer_store_dword v129, off, s[0:3], 0 offset:28
	buffer_store_dword v128, off, s[0:3], 0 offset:24
.LBB62_640:
	s_or_b64 exec, exec, s[8:9]
	buffer_load_dword v128, off, s[0:3], 0 offset:32
	buffer_load_dword v129, off, s[0:3], 0 offset:36
	v_cmp_gt_u32_e32 vcc, 4, v0
	s_waitcnt vmcnt(0)
	ds_write_b64 v130, v[128:129]
	s_waitcnt lgkmcnt(0)
	; wave barrier
	s_waitcnt lgkmcnt(0)
	s_and_saveexec_b64 s[6:7], vcc
	s_cbranch_execz .LBB62_650
; %bb.641:
	s_and_b64 vcc, exec, s[4:5]
	s_cbranch_vccnz .LBB62_643
; %bb.642:
	buffer_load_dword v128, v131, s[0:3], 0 offen
	buffer_load_dword v129, v131, s[0:3], 0 offen offset:4
	ds_read_b64 v[132:133], v130
	s_waitcnt vmcnt(0) lgkmcnt(0)
	v_mul_f64 v[128:129], v[128:129], v[132:133]
	s_cbranch_execz .LBB62_644
	s_branch .LBB62_645
.LBB62_643:
                                        ; implicit-def: $vgpr128_vgpr129
.LBB62_644:
	ds_read_b64 v[128:129], v130
.LBB62_645:
	v_cmp_ne_u32_e32 vcc, 3, v0
	s_and_saveexec_b64 s[8:9], vcc
	s_cbranch_execz .LBB62_649
; %bb.646:
	v_mov_b32_e32 v133, 0
	v_add_u32_e32 v132, 0x208, v1
	v_add3_u32 v133, v1, v133, 8
	s_mov_b64 s[10:11], 0
	v_mov_b32_e32 v134, v0
.LBB62_647:                             ; =>This Inner Loop Header: Depth=1
	buffer_load_dword v136, v133, s[0:3], 0 offen
	buffer_load_dword v137, v133, s[0:3], 0 offen offset:4
	ds_read_b64 v[138:139], v132
	v_add_u32_e32 v134, 1, v134
	v_cmp_lt_u32_e32 vcc, 2, v134
	v_add_u32_e32 v132, 8, v132
	v_add_u32_e32 v133, 8, v133
	s_or_b64 s[10:11], vcc, s[10:11]
	s_waitcnt vmcnt(0) lgkmcnt(0)
	v_fmac_f64_e32 v[128:129], v[136:137], v[138:139]
	s_andn2_b64 exec, exec, s[10:11]
	s_cbranch_execnz .LBB62_647
; %bb.648:
	s_or_b64 exec, exec, s[10:11]
.LBB62_649:
	s_or_b64 exec, exec, s[8:9]
	v_mov_b32_e32 v132, 0
	ds_read_b64 v[132:133], v132 offset:32
	s_waitcnt lgkmcnt(0)
	v_mul_f64 v[128:129], v[128:129], v[132:133]
	buffer_store_dword v129, off, s[0:3], 0 offset:36
	buffer_store_dword v128, off, s[0:3], 0 offset:32
.LBB62_650:
	s_or_b64 exec, exec, s[6:7]
	buffer_load_dword v128, off, s[0:3], 0 offset:40
	buffer_load_dword v129, off, s[0:3], 0 offset:44
	v_cmp_gt_u32_e32 vcc, 5, v0
	s_waitcnt vmcnt(0)
	ds_write_b64 v130, v[128:129]
	s_waitcnt lgkmcnt(0)
	; wave barrier
	s_waitcnt lgkmcnt(0)
	s_and_saveexec_b64 s[6:7], vcc
	s_cbranch_execz .LBB62_660
; %bb.651:
	s_and_b64 vcc, exec, s[4:5]
	s_cbranch_vccnz .LBB62_653
; %bb.652:
	buffer_load_dword v128, v131, s[0:3], 0 offen
	buffer_load_dword v129, v131, s[0:3], 0 offen offset:4
	ds_read_b64 v[132:133], v130
	s_waitcnt vmcnt(0) lgkmcnt(0)
	v_mul_f64 v[128:129], v[128:129], v[132:133]
	s_cbranch_execz .LBB62_654
	s_branch .LBB62_655
.LBB62_653:
                                        ; implicit-def: $vgpr128_vgpr129
.LBB62_654:
	ds_read_b64 v[128:129], v130
.LBB62_655:
	v_cmp_ne_u32_e32 vcc, 4, v0
	s_and_saveexec_b64 s[8:9], vcc
	s_cbranch_execz .LBB62_659
; %bb.656:
	v_mov_b32_e32 v133, 0
	v_add_u32_e32 v132, 0x208, v1
	v_add3_u32 v133, v1, v133, 8
	s_mov_b64 s[10:11], 0
	v_mov_b32_e32 v134, v0
.LBB62_657:                             ; =>This Inner Loop Header: Depth=1
	buffer_load_dword v136, v133, s[0:3], 0 offen
	buffer_load_dword v137, v133, s[0:3], 0 offen offset:4
	ds_read_b64 v[138:139], v132
	v_add_u32_e32 v134, 1, v134
	v_cmp_lt_u32_e32 vcc, 3, v134
	v_add_u32_e32 v132, 8, v132
	v_add_u32_e32 v133, 8, v133
	s_or_b64 s[10:11], vcc, s[10:11]
	s_waitcnt vmcnt(0) lgkmcnt(0)
	v_fmac_f64_e32 v[128:129], v[136:137], v[138:139]
	s_andn2_b64 exec, exec, s[10:11]
	s_cbranch_execnz .LBB62_657
; %bb.658:
	s_or_b64 exec, exec, s[10:11]
.LBB62_659:
	s_or_b64 exec, exec, s[8:9]
	v_mov_b32_e32 v132, 0
	ds_read_b64 v[132:133], v132 offset:40
	s_waitcnt lgkmcnt(0)
	v_mul_f64 v[128:129], v[128:129], v[132:133]
	buffer_store_dword v129, off, s[0:3], 0 offset:44
	buffer_store_dword v128, off, s[0:3], 0 offset:40
.LBB62_660:
	;; [unrolled: 60-line block ×36, first 2 shown]
	s_or_b64 exec, exec, s[6:7]
	buffer_load_dword v128, off, s[0:3], 0 offset:320
	buffer_load_dword v129, off, s[0:3], 0 offset:324
	v_cmp_gt_u32_e32 vcc, 40, v0
	s_waitcnt vmcnt(0)
	ds_write_b64 v130, v[128:129]
	s_waitcnt lgkmcnt(0)
	; wave barrier
	s_waitcnt lgkmcnt(0)
	s_and_saveexec_b64 s[6:7], vcc
	s_cbranch_execz .LBB62_1010
; %bb.1001:
	s_and_b64 vcc, exec, s[4:5]
	s_cbranch_vccnz .LBB62_1003
; %bb.1002:
	buffer_load_dword v128, v131, s[0:3], 0 offen
	buffer_load_dword v129, v131, s[0:3], 0 offen offset:4
	ds_read_b64 v[132:133], v130
	s_waitcnt vmcnt(0) lgkmcnt(0)
	v_mul_f64 v[128:129], v[128:129], v[132:133]
	s_cbranch_execz .LBB62_1004
	s_branch .LBB62_1005
.LBB62_1003:
                                        ; implicit-def: $vgpr128_vgpr129
.LBB62_1004:
	ds_read_b64 v[128:129], v130
.LBB62_1005:
	v_cmp_ne_u32_e32 vcc, 39, v0
	s_and_saveexec_b64 s[8:9], vcc
	s_cbranch_execz .LBB62_1009
; %bb.1006:
	v_mov_b32_e32 v133, 0
	v_add_u32_e32 v132, 0x208, v1
	v_add3_u32 v133, v1, v133, 8
	s_mov_b64 s[10:11], 0
	v_mov_b32_e32 v134, v0
.LBB62_1007:                            ; =>This Inner Loop Header: Depth=1
	buffer_load_dword v136, v133, s[0:3], 0 offen
	buffer_load_dword v137, v133, s[0:3], 0 offen offset:4
	ds_read_b64 v[138:139], v132
	v_add_u32_e32 v134, 1, v134
	v_cmp_lt_u32_e32 vcc, 38, v134
	v_add_u32_e32 v132, 8, v132
	v_add_u32_e32 v133, 8, v133
	s_or_b64 s[10:11], vcc, s[10:11]
	s_waitcnt vmcnt(0) lgkmcnt(0)
	v_fmac_f64_e32 v[128:129], v[136:137], v[138:139]
	s_andn2_b64 exec, exec, s[10:11]
	s_cbranch_execnz .LBB62_1007
; %bb.1008:
	s_or_b64 exec, exec, s[10:11]
.LBB62_1009:
	s_or_b64 exec, exec, s[8:9]
	v_mov_b32_e32 v132, 0
	ds_read_b64 v[132:133], v132 offset:320
	s_waitcnt lgkmcnt(0)
	v_mul_f64 v[128:129], v[128:129], v[132:133]
	buffer_store_dword v129, off, s[0:3], 0 offset:324
	buffer_store_dword v128, off, s[0:3], 0 offset:320
.LBB62_1010:
	s_or_b64 exec, exec, s[6:7]
	buffer_load_dword v128, off, s[0:3], 0 offset:328
	buffer_load_dword v129, off, s[0:3], 0 offset:332
	v_cmp_gt_u32_e32 vcc, 41, v0
	s_waitcnt vmcnt(0)
	ds_write_b64 v130, v[128:129]
	s_waitcnt lgkmcnt(0)
	; wave barrier
	s_waitcnt lgkmcnt(0)
	s_and_saveexec_b64 s[6:7], vcc
	s_cbranch_execz .LBB62_1020
; %bb.1011:
	s_and_b64 vcc, exec, s[4:5]
	s_cbranch_vccnz .LBB62_1013
; %bb.1012:
	buffer_load_dword v128, v131, s[0:3], 0 offen
	buffer_load_dword v129, v131, s[0:3], 0 offen offset:4
	ds_read_b64 v[132:133], v130
	s_waitcnt vmcnt(0) lgkmcnt(0)
	v_mul_f64 v[128:129], v[128:129], v[132:133]
	s_cbranch_execz .LBB62_1014
	s_branch .LBB62_1015
.LBB62_1013:
                                        ; implicit-def: $vgpr128_vgpr129
.LBB62_1014:
	ds_read_b64 v[128:129], v130
.LBB62_1015:
	v_cmp_ne_u32_e32 vcc, 40, v0
	s_and_saveexec_b64 s[8:9], vcc
	s_cbranch_execz .LBB62_1019
; %bb.1016:
	v_mov_b32_e32 v133, 0
	v_add_u32_e32 v132, 0x208, v1
	v_add3_u32 v133, v1, v133, 8
	s_mov_b64 s[10:11], 0
	v_mov_b32_e32 v134, v0
.LBB62_1017:                            ; =>This Inner Loop Header: Depth=1
	buffer_load_dword v136, v133, s[0:3], 0 offen
	buffer_load_dword v137, v133, s[0:3], 0 offen offset:4
	ds_read_b64 v[138:139], v132
	v_add_u32_e32 v134, 1, v134
	v_cmp_lt_u32_e32 vcc, 39, v134
	v_add_u32_e32 v132, 8, v132
	v_add_u32_e32 v133, 8, v133
	s_or_b64 s[10:11], vcc, s[10:11]
	s_waitcnt vmcnt(0) lgkmcnt(0)
	v_fmac_f64_e32 v[128:129], v[136:137], v[138:139]
	s_andn2_b64 exec, exec, s[10:11]
	s_cbranch_execnz .LBB62_1017
; %bb.1018:
	s_or_b64 exec, exec, s[10:11]
.LBB62_1019:
	s_or_b64 exec, exec, s[8:9]
	v_mov_b32_e32 v132, 0
	ds_read_b64 v[132:133], v132 offset:328
	s_waitcnt lgkmcnt(0)
	v_mul_f64 v[128:129], v[128:129], v[132:133]
	buffer_store_dword v129, off, s[0:3], 0 offset:332
	buffer_store_dword v128, off, s[0:3], 0 offset:328
.LBB62_1020:
	;; [unrolled: 60-line block ×21, first 2 shown]
	s_or_b64 exec, exec, s[6:7]
	buffer_load_dword v128, off, s[0:3], 0 offset:488
	buffer_load_dword v129, off, s[0:3], 0 offset:492
	v_cmp_gt_u32_e64 s[6:7], 61, v0
	s_waitcnt vmcnt(0)
	ds_write_b64 v130, v[128:129]
	s_waitcnt lgkmcnt(0)
	; wave barrier
	s_waitcnt lgkmcnt(0)
	s_and_saveexec_b64 s[8:9], s[6:7]
	s_cbranch_execz .LBB62_1220
; %bb.1211:
	s_and_b64 vcc, exec, s[4:5]
	s_cbranch_vccnz .LBB62_1213
; %bb.1212:
	buffer_load_dword v128, v131, s[0:3], 0 offen
	buffer_load_dword v129, v131, s[0:3], 0 offen offset:4
	ds_read_b64 v[132:133], v130
	s_waitcnt vmcnt(0) lgkmcnt(0)
	v_mul_f64 v[128:129], v[128:129], v[132:133]
	s_cbranch_execz .LBB62_1214
	s_branch .LBB62_1215
.LBB62_1213:
                                        ; implicit-def: $vgpr128_vgpr129
.LBB62_1214:
	ds_read_b64 v[128:129], v130
.LBB62_1215:
	v_cmp_ne_u32_e32 vcc, 60, v0
	s_and_saveexec_b64 s[10:11], vcc
	s_cbranch_execz .LBB62_1219
; %bb.1216:
	v_mov_b32_e32 v133, 0
	v_add_u32_e32 v132, 0x208, v1
	v_add3_u32 v133, v1, v133, 8
	s_mov_b64 s[12:13], 0
	v_mov_b32_e32 v134, v0
.LBB62_1217:                            ; =>This Inner Loop Header: Depth=1
	buffer_load_dword v136, v133, s[0:3], 0 offen
	buffer_load_dword v137, v133, s[0:3], 0 offen offset:4
	ds_read_b64 v[138:139], v132
	v_add_u32_e32 v134, 1, v134
	v_cmp_lt_u32_e32 vcc, 59, v134
	v_add_u32_e32 v132, 8, v132
	v_add_u32_e32 v133, 8, v133
	s_or_b64 s[12:13], vcc, s[12:13]
	s_waitcnt vmcnt(0) lgkmcnt(0)
	v_fmac_f64_e32 v[128:129], v[136:137], v[138:139]
	s_andn2_b64 exec, exec, s[12:13]
	s_cbranch_execnz .LBB62_1217
; %bb.1218:
	s_or_b64 exec, exec, s[12:13]
.LBB62_1219:
	s_or_b64 exec, exec, s[10:11]
	v_mov_b32_e32 v132, 0
	ds_read_b64 v[132:133], v132 offset:488
	s_waitcnt lgkmcnt(0)
	v_mul_f64 v[128:129], v[128:129], v[132:133]
	buffer_store_dword v129, off, s[0:3], 0 offset:492
	buffer_store_dword v128, off, s[0:3], 0 offset:488
.LBB62_1220:
	s_or_b64 exec, exec, s[8:9]
	buffer_load_dword v128, off, s[0:3], 0 offset:496
	buffer_load_dword v129, off, s[0:3], 0 offset:500
	v_cmp_ne_u32_e32 vcc, 62, v0
	s_waitcnt vmcnt(0)
	ds_write_b64 v130, v[128:129]
	s_waitcnt lgkmcnt(0)
	; wave barrier
	s_waitcnt lgkmcnt(0)
	s_and_saveexec_b64 s[8:9], vcc
	s_cbranch_execz .LBB62_1230
; %bb.1221:
	s_and_b64 vcc, exec, s[4:5]
	s_cbranch_vccnz .LBB62_1223
; %bb.1222:
	buffer_load_dword v128, v131, s[0:3], 0 offen
	buffer_load_dword v129, v131, s[0:3], 0 offen offset:4
	ds_read_b64 v[132:133], v130
	s_waitcnt vmcnt(0) lgkmcnt(0)
	v_mul_f64 v[128:129], v[128:129], v[132:133]
	s_cbranch_execz .LBB62_1224
	s_branch .LBB62_1225
.LBB62_1223:
                                        ; implicit-def: $vgpr128_vgpr129
.LBB62_1224:
	ds_read_b64 v[128:129], v130
.LBB62_1225:
	s_and_saveexec_b64 s[4:5], s[6:7]
	s_cbranch_execz .LBB62_1229
; %bb.1226:
	v_mov_b32_e32 v131, 0
	v_add_u32_e32 v130, 0x208, v1
	v_add3_u32 v1, v1, v131, 8
	s_mov_b64 s[6:7], 0
.LBB62_1227:                            ; =>This Inner Loop Header: Depth=1
	buffer_load_dword v132, v1, s[0:3], 0 offen
	buffer_load_dword v133, v1, s[0:3], 0 offen offset:4
	ds_read_b64 v[134:135], v130
	v_add_u32_e32 v0, 1, v0
	v_cmp_lt_u32_e32 vcc, 60, v0
	v_add_u32_e32 v130, 8, v130
	v_add_u32_e32 v1, 8, v1
	s_or_b64 s[6:7], vcc, s[6:7]
	s_waitcnt vmcnt(0) lgkmcnt(0)
	v_fmac_f64_e32 v[128:129], v[132:133], v[134:135]
	s_andn2_b64 exec, exec, s[6:7]
	s_cbranch_execnz .LBB62_1227
; %bb.1228:
	s_or_b64 exec, exec, s[6:7]
.LBB62_1229:
	s_or_b64 exec, exec, s[4:5]
	v_mov_b32_e32 v0, 0
	ds_read_b64 v[0:1], v0 offset:496
	s_waitcnt lgkmcnt(0)
	v_mul_f64 v[0:1], v[128:129], v[0:1]
	buffer_store_dword v1, off, s[0:3], 0 offset:500
	buffer_store_dword v0, off, s[0:3], 0 offset:496
.LBB62_1230:
	s_or_b64 exec, exec, s[8:9]
.LBB62_1231:
	buffer_load_dword v0, off, s[0:3], 0
	buffer_load_dword v1, off, s[0:3], 0 offset:4
	buffer_load_dword v128, off, s[0:3], 0 offset:8
	;; [unrolled: 1-line block ×125, first 2 shown]
	s_waitcnt vmcnt(62)
	global_store_dwordx2 v[118:119], v[0:1], off
	global_store_dwordx2 v[120:121], v[128:129], off
	;; [unrolled: 1-line block ×32, first 2 shown]
	s_waitcnt vmcnt(62)
	global_store_dwordx2 v[62:63], v[190:191], off
	global_store_dwordx2 v[64:65], v[192:193], off
	;; [unrolled: 1-line block ×16, first 2 shown]
	s_waitcnt vmcnt(62)
	global_store_dwordx2 v[94:95], v[222:223], off
	global_store_dwordx2 v[96:97], v[224:225], off
	;; [unrolled: 1-line block ×8, first 2 shown]
	s_waitcnt vmcnt(62)
	global_store_dwordx2 v[110:111], v[238:239], off
	global_store_dwordx2 v[112:113], v[240:241], off
	global_store_dwordx2 v[114:115], v[242:243], off
	global_store_dwordx2 v[116:117], v[244:245], off
	s_waitcnt vmcnt(62)
	global_store_dwordx2 v[122:123], v[246:247], off
	global_store_dwordx2 v[124:125], v[248:249], off
	s_waitcnt vmcnt(62)
	global_store_dwordx2 v[126:127], v[250:251], off
.LBB62_1232:
	s_endpgm
	.section	.rodata,"a",@progbits
	.p2align	6, 0x0
	.amdhsa_kernel _ZN9rocsolver6v33100L18trti2_kernel_smallILi63EdPdEEv13rocblas_fill_17rocblas_diagonal_T1_iil
		.amdhsa_group_segment_fixed_size 1016
		.amdhsa_private_segment_fixed_size 512
		.amdhsa_kernarg_size 32
		.amdhsa_user_sgpr_count 8
		.amdhsa_user_sgpr_private_segment_buffer 1
		.amdhsa_user_sgpr_dispatch_ptr 0
		.amdhsa_user_sgpr_queue_ptr 0
		.amdhsa_user_sgpr_kernarg_segment_ptr 1
		.amdhsa_user_sgpr_dispatch_id 0
		.amdhsa_user_sgpr_flat_scratch_init 1
		.amdhsa_user_sgpr_kernarg_preload_length 0
		.amdhsa_user_sgpr_kernarg_preload_offset 0
		.amdhsa_user_sgpr_private_segment_size 0
		.amdhsa_uses_dynamic_stack 0
		.amdhsa_system_sgpr_private_segment_wavefront_offset 1
		.amdhsa_system_sgpr_workgroup_id_x 1
		.amdhsa_system_sgpr_workgroup_id_y 0
		.amdhsa_system_sgpr_workgroup_id_z 0
		.amdhsa_system_sgpr_workgroup_info 0
		.amdhsa_system_vgpr_workitem_id 0
		.amdhsa_next_free_vgpr 252
		.amdhsa_next_free_sgpr 20
		.amdhsa_accum_offset 252
		.amdhsa_reserve_vcc 1
		.amdhsa_reserve_flat_scratch 0
		.amdhsa_float_round_mode_32 0
		.amdhsa_float_round_mode_16_64 0
		.amdhsa_float_denorm_mode_32 3
		.amdhsa_float_denorm_mode_16_64 3
		.amdhsa_dx10_clamp 1
		.amdhsa_ieee_mode 1
		.amdhsa_fp16_overflow 0
		.amdhsa_tg_split 0
		.amdhsa_exception_fp_ieee_invalid_op 0
		.amdhsa_exception_fp_denorm_src 0
		.amdhsa_exception_fp_ieee_div_zero 0
		.amdhsa_exception_fp_ieee_overflow 0
		.amdhsa_exception_fp_ieee_underflow 0
		.amdhsa_exception_fp_ieee_inexact 0
		.amdhsa_exception_int_div_zero 0
	.end_amdhsa_kernel
	.section	.text._ZN9rocsolver6v33100L18trti2_kernel_smallILi63EdPdEEv13rocblas_fill_17rocblas_diagonal_T1_iil,"axG",@progbits,_ZN9rocsolver6v33100L18trti2_kernel_smallILi63EdPdEEv13rocblas_fill_17rocblas_diagonal_T1_iil,comdat
.Lfunc_end62:
	.size	_ZN9rocsolver6v33100L18trti2_kernel_smallILi63EdPdEEv13rocblas_fill_17rocblas_diagonal_T1_iil, .Lfunc_end62-_ZN9rocsolver6v33100L18trti2_kernel_smallILi63EdPdEEv13rocblas_fill_17rocblas_diagonal_T1_iil
                                        ; -- End function
	.section	.AMDGPU.csdata,"",@progbits
; Kernel info:
; codeLenInByte = 36644
; NumSgprs: 24
; NumVgprs: 252
; NumAgprs: 0
; TotalNumVgprs: 252
; ScratchSize: 512
; MemoryBound: 0
; FloatMode: 240
; IeeeMode: 1
; LDSByteSize: 1016 bytes/workgroup (compile time only)
; SGPRBlocks: 2
; VGPRBlocks: 31
; NumSGPRsForWavesPerEU: 24
; NumVGPRsForWavesPerEU: 252
; AccumOffset: 252
; Occupancy: 2
; WaveLimiterHint : 0
; COMPUTE_PGM_RSRC2:SCRATCH_EN: 1
; COMPUTE_PGM_RSRC2:USER_SGPR: 8
; COMPUTE_PGM_RSRC2:TRAP_HANDLER: 0
; COMPUTE_PGM_RSRC2:TGID_X_EN: 1
; COMPUTE_PGM_RSRC2:TGID_Y_EN: 0
; COMPUTE_PGM_RSRC2:TGID_Z_EN: 0
; COMPUTE_PGM_RSRC2:TIDIG_COMP_CNT: 0
; COMPUTE_PGM_RSRC3_GFX90A:ACCUM_OFFSET: 62
; COMPUTE_PGM_RSRC3_GFX90A:TG_SPLIT: 0
	.section	.text._ZN9rocsolver6v33100L18trti2_kernel_smallILi64EdPdEEv13rocblas_fill_17rocblas_diagonal_T1_iil,"axG",@progbits,_ZN9rocsolver6v33100L18trti2_kernel_smallILi64EdPdEEv13rocblas_fill_17rocblas_diagonal_T1_iil,comdat
	.globl	_ZN9rocsolver6v33100L18trti2_kernel_smallILi64EdPdEEv13rocblas_fill_17rocblas_diagonal_T1_iil ; -- Begin function _ZN9rocsolver6v33100L18trti2_kernel_smallILi64EdPdEEv13rocblas_fill_17rocblas_diagonal_T1_iil
	.p2align	8
	.type	_ZN9rocsolver6v33100L18trti2_kernel_smallILi64EdPdEEv13rocblas_fill_17rocblas_diagonal_T1_iil,@function
_ZN9rocsolver6v33100L18trti2_kernel_smallILi64EdPdEEv13rocblas_fill_17rocblas_diagonal_T1_iil: ; @_ZN9rocsolver6v33100L18trti2_kernel_smallILi64EdPdEEv13rocblas_fill_17rocblas_diagonal_T1_iil
; %bb.0:
	s_add_u32 s0, s0, s9
	s_addc_u32 s1, s1, 0
	v_cmp_gt_u32_e32 vcc, 64, v0
	s_and_saveexec_b64 s[6:7], vcc
	s_cbranch_execz .LBB63_1252
; %bb.1:
	s_load_dwordx8 s[12:19], s[4:5], 0x0
	s_ashr_i32 s6, s8, 31
	s_waitcnt lgkmcnt(0)
	s_mul_i32 s7, s8, s19
	s_mul_hi_u32 s9, s8, s18
	s_add_i32 s7, s9, s7
	s_mul_i32 s6, s6, s18
	s_add_i32 s7, s7, s6
	s_mul_i32 s6, s8, s18
	s_ashr_i32 s5, s16, 31
	s_lshl_b64 s[6:7], s[6:7], 3
	s_mov_b32 s4, s16
	s_add_u32 s6, s14, s6
	s_addc_u32 s7, s15, s7
	s_lshl_b64 s[4:5], s[4:5], 3
	s_add_u32 s4, s6, s4
	s_addc_u32 s5, s7, s5
	s_add_i32 s6, s17, s17
	v_add_u32_e32 v4, s6, v0
	v_ashrrev_i32_e32 v5, 31, v4
	v_lshlrev_b64 v[2:3], 3, v[4:5]
	v_add_u32_e32 v6, s17, v4
	v_mov_b32_e32 v1, s5
	v_add_co_u32_e32 v2, vcc, s4, v2
	v_ashrrev_i32_e32 v7, 31, v6
	v_addc_co_u32_e32 v3, vcc, v1, v3, vcc
	v_lshlrev_b64 v[4:5], 3, v[6:7]
	v_add_u32_e32 v8, s17, v6
	v_add_co_u32_e32 v4, vcc, s4, v4
	v_ashrrev_i32_e32 v9, 31, v8
	v_addc_co_u32_e32 v5, vcc, v1, v5, vcc
	v_lshlrev_b64 v[6:7], 3, v[8:9]
	v_add_u32_e32 v10, s17, v8
	;; [unrolled: 5-line block ×53, first 2 shown]
	v_add_co_u32_e32 v108, vcc, s4, v108
	v_ashrrev_i32_e32 v113, 31, v112
	v_addc_co_u32_e32 v109, vcc, v1, v109, vcc
	v_lshlrev_b64 v[110:111], 3, v[112:113]
	v_add_co_u32_e32 v110, vcc, s4, v110
	v_addc_co_u32_e32 v111, vcc, v1, v111, vcc
	v_lshlrev_b32_e32 v1, 3, v0
	v_mov_b32_e32 v113, s5
	v_add_co_u32_e32 v120, vcc, s4, v1
	s_ashr_i32 s7, s17, 31
	s_mov_b32 s6, s17
	v_addc_co_u32_e32 v121, vcc, 0, v113, vcc
	s_lshl_b64 s[6:7], s[6:7], 3
	v_mov_b32_e32 v113, s7
	v_add_co_u32_e32 v122, vcc, s6, v120
	global_load_dwordx2 v[132:133], v1, s[4:5]
	global_load_dwordx2 v[136:137], v[2:3], off
	v_addc_co_u32_e32 v123, vcc, v121, v113, vcc
	global_load_dwordx2 v[134:135], v[122:123], off
	global_load_dwordx2 v[138:139], v[4:5], off
	;; [unrolled: 1-line block ×15, first 2 shown]
	v_add_u32_e32 v114, s17, v112
	v_ashrrev_i32_e32 v115, 31, v114
	v_lshlrev_b64 v[112:113], 3, v[114:115]
	v_mov_b32_e32 v116, s5
	v_add_co_u32_e32 v112, vcc, s4, v112
	v_addc_co_u32_e32 v113, vcc, v116, v113, vcc
	v_add_u32_e32 v116, s17, v114
	v_ashrrev_i32_e32 v117, 31, v116
	v_lshlrev_b64 v[114:115], 3, v[116:117]
	v_mov_b32_e32 v118, s5
	v_add_co_u32_e32 v114, vcc, s4, v114
	v_addc_co_u32_e32 v115, vcc, v118, v115, vcc
	v_add_u32_e32 v118, s17, v116
	v_ashrrev_i32_e32 v119, 31, v118
	v_lshlrev_b64 v[116:117], 3, v[118:119]
	v_mov_b32_e32 v124, s5
	v_add_co_u32_e32 v116, vcc, s4, v116
	global_load_dwordx2 v[166:167], v[32:33], off
	global_load_dwordx2 v[168:169], v[34:35], off
	v_addc_co_u32_e32 v117, vcc, v124, v117, vcc
	v_add_u32_e32 v124, s17, v118
	v_ashrrev_i32_e32 v125, 31, v124
	v_lshlrev_b64 v[118:119], 3, v[124:125]
	v_mov_b32_e32 v126, s5
	v_add_co_u32_e32 v118, vcc, s4, v118
	v_addc_co_u32_e32 v119, vcc, v126, v119, vcc
	v_add_u32_e32 v126, s17, v124
	v_ashrrev_i32_e32 v127, 31, v126
	v_lshlrev_b64 v[124:125], 3, v[126:127]
	v_mov_b32_e32 v128, s5
	v_add_co_u32_e32 v124, vcc, s4, v124
	v_addc_co_u32_e32 v125, vcc, v128, v125, vcc
	v_add_u32_e32 v128, s17, v126
	global_load_dwordx2 v[170:171], v[36:37], off
	global_load_dwordx2 v[172:173], v[38:39], off
	v_ashrrev_i32_e32 v129, 31, v128
	v_lshlrev_b64 v[126:127], 3, v[128:129]
	v_add_u32_e32 v128, s17, v128
	v_mov_b32_e32 v130, s5
	v_add_co_u32_e32 v126, vcc, s4, v126
	v_ashrrev_i32_e32 v129, 31, v128
	v_addc_co_u32_e32 v127, vcc, v130, v127, vcc
	v_lshlrev_b64 v[128:129], 3, v[128:129]
	v_add_co_u32_e32 v128, vcc, s4, v128
	v_addc_co_u32_e32 v129, vcc, v130, v129, vcc
	global_load_dwordx2 v[130:131], v[128:129], off
	global_load_dwordx2 v[174:175], v[40:41], off
	s_cmpk_lg_i32 s13, 0x84
	s_cselect_b64 s[8:9], -1, 0
	s_cmpk_eq_i32 s13, 0x84
	s_waitcnt vmcnt(22)
	buffer_store_dword v133, off, s[0:3], 0 offset:4
	buffer_store_dword v132, off, s[0:3], 0
	s_waitcnt vmcnt(22)
	buffer_store_dword v135, off, s[0:3], 0 offset:12
	buffer_store_dword v134, off, s[0:3], 0 offset:8
	global_load_dwordx2 v[132:133], v[42:43], off
	s_nop 0
	buffer_store_dword v137, off, s[0:3], 0 offset:20
	buffer_store_dword v136, off, s[0:3], 0 offset:16
	global_load_dwordx2 v[134:135], v[44:45], off
	global_load_dwordx2 v[176:177], v[50:51], off
	;; [unrolled: 1-line block ×21, first 2 shown]
	s_waitcnt vmcnt(47)
	buffer_store_dword v139, off, s[0:3], 0 offset:28
	buffer_store_dword v138, off, s[0:3], 0 offset:24
	global_load_dwordx2 v[138:139], v[48:49], off
	s_waitcnt vmcnt(49)
	buffer_store_dword v141, off, s[0:3], 0 offset:36
	buffer_store_dword v140, off, s[0:3], 0 offset:32
	global_load_dwordx2 v[140:141], v[52:53], off
	;; [unrolled: 4-line block ×9, first 2 shown]
	s_nop 0
	buffer_store_dword v156, off, s[0:3], 0 offset:96
	buffer_store_dword v157, off, s[0:3], 0 offset:100
	global_load_dwordx2 v[156:157], v[84:85], off
	s_waitcnt vmcnt(62)
	buffer_store_dword v158, off, s[0:3], 0 offset:104
	buffer_store_dword v159, off, s[0:3], 0 offset:108
	global_load_dwordx2 v[158:159], v[88:89], off
	s_nop 0
	buffer_store_dword v161, off, s[0:3], 0 offset:116
	buffer_store_dword v160, off, s[0:3], 0 offset:112
	global_load_dwordx2 v[160:161], v[92:93], off
	s_nop 0
	;; [unrolled: 4-line block ×5, first 2 shown]
	buffer_store_dword v168, off, s[0:3], 0 offset:144
	buffer_store_dword v169, off, s[0:3], 0 offset:148
	global_load_dwordx2 v[168:169], v[108:109], off
	s_waitcnt vmcnt(62)
	buffer_store_dword v171, off, s[0:3], 0 offset:156
	buffer_store_dword v170, off, s[0:3], 0 offset:152
	global_load_dwordx2 v[170:171], v[112:113], off
	s_nop 0
	buffer_store_dword v173, off, s[0:3], 0 offset:164
	buffer_store_dword v172, off, s[0:3], 0 offset:160
	global_load_dwordx2 v[172:173], v[116:117], off
	s_nop 0
	buffer_store_dword v174, off, s[0:3], 0 offset:168
	buffer_store_dword v175, off, s[0:3], 0 offset:172
	global_load_dwordx2 v[174:175], v[124:125], off
	s_nop 0
	buffer_store_dword v132, off, s[0:3], 0 offset:176
	buffer_store_dword v133, off, s[0:3], 0 offset:180
	;; [unrolled: 1-line block ×6, first 2 shown]
	s_waitcnt vmcnt(60)
	buffer_store_dword v139, off, s[0:3], 0 offset:204
	buffer_store_dword v138, off, s[0:3], 0 offset:200
	buffer_store_dword v177, off, s[0:3], 0 offset:212
	buffer_store_dword v176, off, s[0:3], 0 offset:208
	s_waitcnt vmcnt(61)
	buffer_store_dword v140, off, s[0:3], 0 offset:216
	buffer_store_dword v141, off, s[0:3], 0 offset:220
	buffer_store_dword v178, off, s[0:3], 0 offset:224
	buffer_store_dword v179, off, s[0:3], 0 offset:228
	;; [unrolled: 5-line block ×6, first 2 shown]
	buffer_store_dword v151, off, s[0:3], 0 offset:300
	buffer_store_dword v150, off, s[0:3], 0 offset:296
	;; [unrolled: 1-line block ×4, first 2 shown]
	s_waitcnt vmcnt(62)
	buffer_store_dword v152, off, s[0:3], 0 offset:312
	buffer_store_dword v153, off, s[0:3], 0 offset:316
	;; [unrolled: 1-line block ×8, first 2 shown]
	s_waitcnt vmcnt(62)
	buffer_store_dword v157, off, s[0:3], 0 offset:348
	buffer_store_dword v156, off, s[0:3], 0 offset:344
	;; [unrolled: 1-line block ×12, first 2 shown]
	s_waitcnt vmcnt(62)
	buffer_store_dword v163, off, s[0:3], 0 offset:396
	buffer_store_dword v162, off, s[0:3], 0 offset:392
	;; [unrolled: 1-line block ×16, first 2 shown]
	s_waitcnt vmcnt(62)
	buffer_store_dword v170, off, s[0:3], 0 offset:456
	buffer_store_dword v171, off, s[0:3], 0 offset:460
	;; [unrolled: 1-line block ×14, first 2 shown]
	v_mov_b32_e32 v130, 0
	v_mov_b32_e32 v194, 0
	;; [unrolled: 1-line block ×3, first 2 shown]
	s_cbranch_scc1 .LBB63_3
; %bb.2:
	v_lshl_add_u32 v140, v0, 3, v194
	buffer_load_dword v130, v140, s[0:3], 0 offen
	buffer_load_dword v131, v140, s[0:3], 0 offen offset:4
	s_waitcnt vmcnt(0)
	v_div_scale_f64 v[132:133], s[4:5], v[130:131], v[130:131], 1.0
	v_rcp_f64_e32 v[134:135], v[132:133]
	v_div_scale_f64 v[136:137], vcc, 1.0, v[130:131], 1.0
	v_fma_f64 v[138:139], -v[132:133], v[134:135], 1.0
	v_fmac_f64_e32 v[134:135], v[134:135], v[138:139]
	v_fma_f64 v[138:139], -v[132:133], v[134:135], 1.0
	v_fmac_f64_e32 v[134:135], v[134:135], v[138:139]
	v_mul_f64 v[138:139], v[136:137], v[134:135]
	v_fma_f64 v[132:133], -v[132:133], v[138:139], v[136:137]
	v_div_fmas_f64 v[132:133], v[132:133], v[134:135], v[138:139]
	v_div_fixup_f64 v[130:131], v[132:133], v[130:131], 1.0
	buffer_store_dword v130, v140, s[0:3], 0 offen
	buffer_store_dword v131, v140, s[0:3], 0 offen offset:4
	v_xor_b32_e32 v131, 0x80000000, v131
.LBB63_3:
	s_cmpk_eq_i32 s12, 0x79
	v_or_b32_e32 v132, 0x200, v1
	v_add_u32_e32 v133, 0, v1
	s_mov_b64 s[4:5], -1
	ds_write_b64 v1, v[130:131]
	s_cbranch_scc1 .LBB63_627
; %bb.4:
	buffer_load_dword v130, off, s[0:3], 0 offset:496
	buffer_load_dword v131, off, s[0:3], 0 offset:500
	v_cmp_eq_u32_e64 s[4:5], 63, v0
	s_waitcnt vmcnt(0)
	ds_write_b64 v132, v[130:131]
	s_waitcnt lgkmcnt(0)
	; wave barrier
	s_waitcnt lgkmcnt(0)
	s_and_saveexec_b64 s[6:7], s[4:5]
	s_cbranch_execz .LBB63_10
; %bb.5:
	s_and_b64 vcc, exec, s[8:9]
	s_cbranch_vccz .LBB63_7
; %bb.6:
	buffer_load_dword v130, v133, s[0:3], 0 offen
	buffer_load_dword v131, v133, s[0:3], 0 offen offset:4
	ds_read_b64 v[134:135], v132
	s_waitcnt vmcnt(0) lgkmcnt(0)
	v_mul_f64 v[130:131], v[130:131], v[134:135]
	s_cbranch_execz .LBB63_8
	s_branch .LBB63_9
.LBB63_7:
                                        ; implicit-def: $vgpr130_vgpr131
.LBB63_8:
	ds_read_b64 v[130:131], v132
.LBB63_9:
	v_mov_b32_e32 v134, 0
	ds_read_b64 v[134:135], v134 offset:496
	s_waitcnt lgkmcnt(0)
	v_mul_f64 v[130:131], v[130:131], v[134:135]
	buffer_store_dword v131, off, s[0:3], 0 offset:500
	buffer_store_dword v130, off, s[0:3], 0 offset:496
.LBB63_10:
	s_or_b64 exec, exec, s[6:7]
	buffer_load_dword v130, off, s[0:3], 0 offset:488
	buffer_load_dword v131, off, s[0:3], 0 offset:492
	v_or_b32_e32 v134, 8, v194
	v_add_u32_e32 v135, 16, v194
	v_add_u32_e32 v136, 24, v194
	;; [unrolled: 1-line block ×60, first 2 shown]
	v_cmp_lt_u32_e64 s[6:7], 61, v0
	s_waitcnt vmcnt(0)
	ds_write_b64 v132, v[130:131]
	s_waitcnt lgkmcnt(0)
	; wave barrier
	s_waitcnt lgkmcnt(0)
	s_and_saveexec_b64 s[10:11], s[6:7]
	s_cbranch_execz .LBB63_16
; %bb.11:
	s_andn2_b64 vcc, exec, s[8:9]
	s_cbranch_vccnz .LBB63_13
; %bb.12:
	buffer_load_dword v130, v133, s[0:3], 0 offen
	buffer_load_dword v131, v133, s[0:3], 0 offen offset:4
	ds_read_b64 v[196:197], v132
	s_waitcnt vmcnt(0) lgkmcnt(0)
	v_mul_f64 v[130:131], v[130:131], v[196:197]
	s_cbranch_execz .LBB63_14
	s_branch .LBB63_15
.LBB63_13:
                                        ; implicit-def: $vgpr130_vgpr131
.LBB63_14:
	ds_read_b64 v[130:131], v132
.LBB63_15:
	buffer_load_dword v200, off, s[0:3], 0 offset:496
	buffer_load_dword v201, off, s[0:3], 0 offset:500
	v_mov_b32_e32 v195, 0
	ds_read2_b64 v[196:199], v195 offset0:61 offset1:126
	s_waitcnt vmcnt(0) lgkmcnt(0)
	v_fma_f64 v[198:199], v[200:201], v[198:199], v[130:131]
	v_cndmask_b32_e64 v131, v131, v199, s[4:5]
	v_cndmask_b32_e64 v130, v130, v198, s[4:5]
	v_mul_f64 v[130:131], v[130:131], v[196:197]
	buffer_store_dword v131, off, s[0:3], 0 offset:492
	buffer_store_dword v130, off, s[0:3], 0 offset:488
.LBB63_16:
	s_or_b64 exec, exec, s[10:11]
	buffer_load_dword v130, off, s[0:3], 0 offset:480
	buffer_load_dword v131, off, s[0:3], 0 offset:484
	v_cmp_lt_u32_e64 s[4:5], 60, v0
	s_waitcnt vmcnt(0)
	ds_write_b64 v132, v[130:131]
	s_waitcnt lgkmcnt(0)
	; wave barrier
	s_waitcnt lgkmcnt(0)
	s_and_saveexec_b64 s[10:11], s[4:5]
	s_cbranch_execz .LBB63_26
; %bb.17:
	s_andn2_b64 vcc, exec, s[8:9]
	s_cbranch_vccnz .LBB63_19
; %bb.18:
	buffer_load_dword v130, v133, s[0:3], 0 offen
	buffer_load_dword v131, v133, s[0:3], 0 offen offset:4
	ds_read_b64 v[196:197], v132
	s_waitcnt vmcnt(0) lgkmcnt(0)
	v_mul_f64 v[130:131], v[130:131], v[196:197]
	s_cbranch_execz .LBB63_20
	s_branch .LBB63_21
.LBB63_19:
                                        ; implicit-def: $vgpr130_vgpr131
.LBB63_20:
	ds_read_b64 v[130:131], v132
.LBB63_21:
	s_and_saveexec_b64 s[12:13], s[6:7]
	s_cbranch_execz .LBB63_25
; %bb.22:
	v_subrev_u32_e32 v195, 61, v0
	s_movk_i32 s14, 0x3e8
	s_mov_b64 s[6:7], 0
.LBB63_23:                              ; =>This Inner Loop Header: Depth=1
	buffer_load_dword v196, v194, s[0:3], 0 offen
	buffer_load_dword v197, v194, s[0:3], 0 offen offset:4
	v_mov_b32_e32 v198, s14
	ds_read_b64 v[198:199], v198
	v_add_u32_e32 v195, -1, v195
	s_add_i32 s14, s14, 8
	v_cmp_eq_u32_e32 vcc, 0, v195
	v_add_u32_e32 v194, 8, v194
	s_or_b64 s[6:7], vcc, s[6:7]
	s_waitcnt vmcnt(0) lgkmcnt(0)
	v_fmac_f64_e32 v[130:131], v[196:197], v[198:199]
	s_andn2_b64 exec, exec, s[6:7]
	s_cbranch_execnz .LBB63_23
; %bb.24:
	s_or_b64 exec, exec, s[6:7]
.LBB63_25:
	s_or_b64 exec, exec, s[12:13]
	v_mov_b32_e32 v194, 0
	ds_read_b64 v[194:195], v194 offset:480
	s_waitcnt lgkmcnt(0)
	v_mul_f64 v[130:131], v[130:131], v[194:195]
	buffer_store_dword v131, off, s[0:3], 0 offset:484
	buffer_store_dword v130, off, s[0:3], 0 offset:480
.LBB63_26:
	s_or_b64 exec, exec, s[10:11]
	buffer_load_dword v130, off, s[0:3], 0 offset:472
	buffer_load_dword v131, off, s[0:3], 0 offset:476
	v_cmp_lt_u32_e64 s[6:7], 59, v0
	s_waitcnt vmcnt(0)
	ds_write_b64 v132, v[130:131]
	s_waitcnt lgkmcnt(0)
	; wave barrier
	s_waitcnt lgkmcnt(0)
	s_and_saveexec_b64 s[10:11], s[6:7]
	s_cbranch_execz .LBB63_36
; %bb.27:
	s_andn2_b64 vcc, exec, s[8:9]
	s_cbranch_vccnz .LBB63_29
; %bb.28:
	buffer_load_dword v130, v133, s[0:3], 0 offen
	buffer_load_dword v131, v133, s[0:3], 0 offen offset:4
	ds_read_b64 v[194:195], v132
	s_waitcnt vmcnt(0) lgkmcnt(0)
	v_mul_f64 v[130:131], v[130:131], v[194:195]
	s_cbranch_execz .LBB63_30
	s_branch .LBB63_31
.LBB63_29:
                                        ; implicit-def: $vgpr130_vgpr131
.LBB63_30:
	ds_read_b64 v[130:131], v132
.LBB63_31:
	s_and_saveexec_b64 s[12:13], s[4:5]
	s_cbranch_execz .LBB63_35
; %bb.32:
	v_subrev_u32_e32 v194, 60, v0
	s_movk_i32 s14, 0x3e0
	s_mov_b64 s[4:5], 0
.LBB63_33:                              ; =>This Inner Loop Header: Depth=1
	buffer_load_dword v196, v193, s[0:3], 0 offen
	buffer_load_dword v197, v193, s[0:3], 0 offen offset:4
	v_mov_b32_e32 v195, s14
	ds_read_b64 v[198:199], v195
	v_add_u32_e32 v194, -1, v194
	s_add_i32 s14, s14, 8
	v_cmp_eq_u32_e32 vcc, 0, v194
	v_add_u32_e32 v193, 8, v193
	s_or_b64 s[4:5], vcc, s[4:5]
	s_waitcnt vmcnt(0) lgkmcnt(0)
	v_fmac_f64_e32 v[130:131], v[196:197], v[198:199]
	s_andn2_b64 exec, exec, s[4:5]
	s_cbranch_execnz .LBB63_33
; %bb.34:
	s_or_b64 exec, exec, s[4:5]
.LBB63_35:
	s_or_b64 exec, exec, s[12:13]
	v_mov_b32_e32 v193, 0
	ds_read_b64 v[194:195], v193 offset:472
	s_waitcnt lgkmcnt(0)
	v_mul_f64 v[130:131], v[130:131], v[194:195]
	buffer_store_dword v131, off, s[0:3], 0 offset:476
	buffer_store_dword v130, off, s[0:3], 0 offset:472
.LBB63_36:
	;; [unrolled: 58-line block ×8, first 2 shown]
	s_or_b64 exec, exec, s[10:11]
	buffer_load_dword v130, off, s[0:3], 0 offset:416
	buffer_load_dword v131, off, s[0:3], 0 offset:420
	v_cmp_lt_u32_e64 s[4:5], 52, v0
	s_waitcnt vmcnt(0)
	ds_write_b64 v132, v[130:131]
	s_waitcnt lgkmcnt(0)
	; wave barrier
	s_waitcnt lgkmcnt(0)
	s_and_saveexec_b64 s[10:11], s[4:5]
	s_cbranch_execz .LBB63_106
; %bb.97:
	s_andn2_b64 vcc, exec, s[8:9]
	s_cbranch_vccnz .LBB63_99
; %bb.98:
	buffer_load_dword v130, v133, s[0:3], 0 offen
	buffer_load_dword v131, v133, s[0:3], 0 offen offset:4
	ds_read_b64 v[188:189], v132
	s_waitcnt vmcnt(0) lgkmcnt(0)
	v_mul_f64 v[130:131], v[130:131], v[188:189]
	s_cbranch_execz .LBB63_100
	s_branch .LBB63_101
.LBB63_99:
                                        ; implicit-def: $vgpr130_vgpr131
.LBB63_100:
	ds_read_b64 v[130:131], v132
.LBB63_101:
	s_and_saveexec_b64 s[12:13], s[6:7]
	s_cbranch_execz .LBB63_105
; %bb.102:
	v_subrev_u32_e32 v187, 53, v0
	s_movk_i32 s14, 0x3a8
	s_mov_b64 s[6:7], 0
.LBB63_103:                             ; =>This Inner Loop Header: Depth=1
	buffer_load_dword v188, v186, s[0:3], 0 offen
	buffer_load_dword v189, v186, s[0:3], 0 offen offset:4
	v_mov_b32_e32 v190, s14
	ds_read_b64 v[190:191], v190
	v_add_u32_e32 v187, -1, v187
	s_add_i32 s14, s14, 8
	v_cmp_eq_u32_e32 vcc, 0, v187
	v_add_u32_e32 v186, 8, v186
	s_or_b64 s[6:7], vcc, s[6:7]
	s_waitcnt vmcnt(0) lgkmcnt(0)
	v_fmac_f64_e32 v[130:131], v[188:189], v[190:191]
	s_andn2_b64 exec, exec, s[6:7]
	s_cbranch_execnz .LBB63_103
; %bb.104:
	s_or_b64 exec, exec, s[6:7]
.LBB63_105:
	s_or_b64 exec, exec, s[12:13]
	v_mov_b32_e32 v186, 0
	ds_read_b64 v[186:187], v186 offset:416
	s_waitcnt lgkmcnt(0)
	v_mul_f64 v[130:131], v[130:131], v[186:187]
	buffer_store_dword v131, off, s[0:3], 0 offset:420
	buffer_store_dword v130, off, s[0:3], 0 offset:416
.LBB63_106:
	s_or_b64 exec, exec, s[10:11]
	buffer_load_dword v130, off, s[0:3], 0 offset:408
	buffer_load_dword v131, off, s[0:3], 0 offset:412
	v_cmp_lt_u32_e64 s[6:7], 51, v0
	s_waitcnt vmcnt(0)
	ds_write_b64 v132, v[130:131]
	s_waitcnt lgkmcnt(0)
	; wave barrier
	s_waitcnt lgkmcnt(0)
	s_and_saveexec_b64 s[10:11], s[6:7]
	s_cbranch_execz .LBB63_116
; %bb.107:
	s_andn2_b64 vcc, exec, s[8:9]
	s_cbranch_vccnz .LBB63_109
; %bb.108:
	buffer_load_dword v130, v133, s[0:3], 0 offen
	buffer_load_dword v131, v133, s[0:3], 0 offen offset:4
	ds_read_b64 v[186:187], v132
	s_waitcnt vmcnt(0) lgkmcnt(0)
	v_mul_f64 v[130:131], v[130:131], v[186:187]
	s_cbranch_execz .LBB63_110
	s_branch .LBB63_111
.LBB63_109:
                                        ; implicit-def: $vgpr130_vgpr131
.LBB63_110:
	ds_read_b64 v[130:131], v132
.LBB63_111:
	s_and_saveexec_b64 s[12:13], s[4:5]
	s_cbranch_execz .LBB63_115
; %bb.112:
	v_subrev_u32_e32 v186, 52, v0
	s_movk_i32 s14, 0x3a0
	s_mov_b64 s[4:5], 0
.LBB63_113:                             ; =>This Inner Loop Header: Depth=1
	buffer_load_dword v188, v185, s[0:3], 0 offen
	buffer_load_dword v189, v185, s[0:3], 0 offen offset:4
	v_mov_b32_e32 v187, s14
	ds_read_b64 v[190:191], v187
	v_add_u32_e32 v186, -1, v186
	s_add_i32 s14, s14, 8
	v_cmp_eq_u32_e32 vcc, 0, v186
	v_add_u32_e32 v185, 8, v185
	s_or_b64 s[4:5], vcc, s[4:5]
	s_waitcnt vmcnt(0) lgkmcnt(0)
	v_fmac_f64_e32 v[130:131], v[188:189], v[190:191]
	s_andn2_b64 exec, exec, s[4:5]
	s_cbranch_execnz .LBB63_113
; %bb.114:
	s_or_b64 exec, exec, s[4:5]
.LBB63_115:
	s_or_b64 exec, exec, s[12:13]
	v_mov_b32_e32 v185, 0
	ds_read_b64 v[186:187], v185 offset:408
	s_waitcnt lgkmcnt(0)
	v_mul_f64 v[130:131], v[130:131], v[186:187]
	buffer_store_dword v131, off, s[0:3], 0 offset:412
	buffer_store_dword v130, off, s[0:3], 0 offset:408
.LBB63_116:
	;; [unrolled: 58-line block ×37, first 2 shown]
	s_or_b64 exec, exec, s[10:11]
	buffer_load_dword v130, off, s[0:3], 0 offset:120
	buffer_load_dword v131, off, s[0:3], 0 offset:124
	v_cmp_lt_u32_e64 s[6:7], 15, v0
	s_waitcnt vmcnt(0)
	ds_write_b64 v132, v[130:131]
	s_waitcnt lgkmcnt(0)
	; wave barrier
	s_waitcnt lgkmcnt(0)
	s_and_saveexec_b64 s[10:11], s[6:7]
	s_cbranch_execz .LBB63_476
; %bb.467:
	s_andn2_b64 vcc, exec, s[8:9]
	s_cbranch_vccnz .LBB63_469
; %bb.468:
	buffer_load_dword v130, v133, s[0:3], 0 offen
	buffer_load_dword v131, v133, s[0:3], 0 offen offset:4
	ds_read_b64 v[150:151], v132
	s_waitcnt vmcnt(0) lgkmcnt(0)
	v_mul_f64 v[130:131], v[130:131], v[150:151]
	s_cbranch_execz .LBB63_470
	s_branch .LBB63_471
.LBB63_469:
                                        ; implicit-def: $vgpr130_vgpr131
.LBB63_470:
	ds_read_b64 v[130:131], v132
.LBB63_471:
	s_and_saveexec_b64 s[12:13], s[4:5]
	s_cbranch_execz .LBB63_475
; %bb.472:
	v_add_u32_e32 v150, -16, v0
	s_movk_i32 s14, 0x280
	s_mov_b64 s[4:5], 0
.LBB63_473:                             ; =>This Inner Loop Header: Depth=1
	buffer_load_dword v152, v149, s[0:3], 0 offen
	buffer_load_dword v153, v149, s[0:3], 0 offen offset:4
	v_mov_b32_e32 v151, s14
	ds_read_b64 v[154:155], v151
	v_add_u32_e32 v150, -1, v150
	s_add_i32 s14, s14, 8
	v_cmp_eq_u32_e32 vcc, 0, v150
	v_add_u32_e32 v149, 8, v149
	s_or_b64 s[4:5], vcc, s[4:5]
	s_waitcnt vmcnt(0) lgkmcnt(0)
	v_fmac_f64_e32 v[130:131], v[152:153], v[154:155]
	s_andn2_b64 exec, exec, s[4:5]
	s_cbranch_execnz .LBB63_473
; %bb.474:
	s_or_b64 exec, exec, s[4:5]
.LBB63_475:
	s_or_b64 exec, exec, s[12:13]
	v_mov_b32_e32 v149, 0
	ds_read_b64 v[150:151], v149 offset:120
	s_waitcnt lgkmcnt(0)
	v_mul_f64 v[130:131], v[130:131], v[150:151]
	buffer_store_dword v131, off, s[0:3], 0 offset:124
	buffer_store_dword v130, off, s[0:3], 0 offset:120
.LBB63_476:
	s_or_b64 exec, exec, s[10:11]
	buffer_load_dword v130, off, s[0:3], 0 offset:112
	buffer_load_dword v131, off, s[0:3], 0 offset:116
	v_cmp_lt_u32_e64 s[4:5], 14, v0
	s_waitcnt vmcnt(0)
	ds_write_b64 v132, v[130:131]
	s_waitcnt lgkmcnt(0)
	; wave barrier
	s_waitcnt lgkmcnt(0)
	s_and_saveexec_b64 s[10:11], s[4:5]
	s_cbranch_execz .LBB63_486
; %bb.477:
	s_andn2_b64 vcc, exec, s[8:9]
	s_cbranch_vccnz .LBB63_479
; %bb.478:
	buffer_load_dword v130, v133, s[0:3], 0 offen
	buffer_load_dword v131, v133, s[0:3], 0 offen offset:4
	ds_read_b64 v[150:151], v132
	s_waitcnt vmcnt(0) lgkmcnt(0)
	v_mul_f64 v[130:131], v[130:131], v[150:151]
	s_cbranch_execz .LBB63_480
	s_branch .LBB63_481
.LBB63_479:
                                        ; implicit-def: $vgpr130_vgpr131
.LBB63_480:
	ds_read_b64 v[130:131], v132
.LBB63_481:
	s_and_saveexec_b64 s[12:13], s[6:7]
	s_cbranch_execz .LBB63_485
; %bb.482:
	v_add_u32_e32 v149, -15, v0
	s_movk_i32 s14, 0x278
	s_mov_b64 s[6:7], 0
.LBB63_483:                             ; =>This Inner Loop Header: Depth=1
	buffer_load_dword v150, v148, s[0:3], 0 offen
	buffer_load_dword v151, v148, s[0:3], 0 offen offset:4
	v_mov_b32_e32 v152, s14
	ds_read_b64 v[152:153], v152
	v_add_u32_e32 v149, -1, v149
	s_add_i32 s14, s14, 8
	v_cmp_eq_u32_e32 vcc, 0, v149
	v_add_u32_e32 v148, 8, v148
	s_or_b64 s[6:7], vcc, s[6:7]
	s_waitcnt vmcnt(0) lgkmcnt(0)
	v_fmac_f64_e32 v[130:131], v[150:151], v[152:153]
	s_andn2_b64 exec, exec, s[6:7]
	s_cbranch_execnz .LBB63_483
; %bb.484:
	s_or_b64 exec, exec, s[6:7]
.LBB63_485:
	s_or_b64 exec, exec, s[12:13]
	v_mov_b32_e32 v148, 0
	ds_read_b64 v[148:149], v148 offset:112
	s_waitcnt lgkmcnt(0)
	v_mul_f64 v[130:131], v[130:131], v[148:149]
	buffer_store_dword v131, off, s[0:3], 0 offset:116
	buffer_store_dword v130, off, s[0:3], 0 offset:112
.LBB63_486:
	;; [unrolled: 58-line block ×15, first 2 shown]
	s_or_b64 exec, exec, s[10:11]
	buffer_load_dword v130, off, s[0:3], 0
	buffer_load_dword v131, off, s[0:3], 0 offset:4
	v_cmp_ne_u32_e32 vcc, 0, v0
	s_waitcnt vmcnt(0)
	ds_write_b64 v132, v[130:131]
	s_waitcnt lgkmcnt(0)
	; wave barrier
	s_waitcnt lgkmcnt(0)
	s_and_saveexec_b64 s[4:5], vcc
	s_cbranch_execz .LBB63_626
; %bb.617:
	s_andn2_b64 vcc, exec, s[8:9]
	s_cbranch_vccnz .LBB63_619
; %bb.618:
	buffer_load_dword v130, v133, s[0:3], 0 offen
	buffer_load_dword v131, v133, s[0:3], 0 offen offset:4
	ds_read_b64 v[136:137], v132
	s_waitcnt vmcnt(0) lgkmcnt(0)
	v_mul_f64 v[130:131], v[130:131], v[136:137]
	s_cbranch_execz .LBB63_620
	s_branch .LBB63_621
.LBB63_619:
                                        ; implicit-def: $vgpr130_vgpr131
.LBB63_620:
	ds_read_b64 v[130:131], v132
.LBB63_621:
	s_and_saveexec_b64 s[10:11], s[6:7]
	s_cbranch_execz .LBB63_625
; %bb.622:
	v_add_u32_e32 v135, -1, v0
	s_movk_i32 s12, 0x208
	s_mov_b64 s[6:7], 0
.LBB63_623:                             ; =>This Inner Loop Header: Depth=1
	buffer_load_dword v136, v134, s[0:3], 0 offen
	buffer_load_dword v137, v134, s[0:3], 0 offen offset:4
	v_mov_b32_e32 v138, s12
	ds_read_b64 v[138:139], v138
	v_add_u32_e32 v135, -1, v135
	s_add_i32 s12, s12, 8
	v_cmp_eq_u32_e32 vcc, 0, v135
	v_add_u32_e32 v134, 8, v134
	s_or_b64 s[6:7], vcc, s[6:7]
	s_waitcnt vmcnt(0) lgkmcnt(0)
	v_fmac_f64_e32 v[130:131], v[136:137], v[138:139]
	s_andn2_b64 exec, exec, s[6:7]
	s_cbranch_execnz .LBB63_623
; %bb.624:
	s_or_b64 exec, exec, s[6:7]
.LBB63_625:
	s_or_b64 exec, exec, s[10:11]
	v_mov_b32_e32 v134, 0
	ds_read_b64 v[134:135], v134
	s_waitcnt lgkmcnt(0)
	v_mul_f64 v[130:131], v[130:131], v[134:135]
	buffer_store_dword v131, off, s[0:3], 0 offset:4
	buffer_store_dword v130, off, s[0:3], 0
.LBB63_626:
	s_or_b64 exec, exec, s[4:5]
	s_mov_b64 s[4:5], 0
.LBB63_627:
	s_and_b64 vcc, exec, s[4:5]
	s_cbranch_vccz .LBB63_1251
; %bb.628:
	buffer_load_dword v130, off, s[0:3], 0 offset:8
	buffer_load_dword v131, off, s[0:3], 0 offset:12
	v_cmp_eq_u32_e64 s[6:7], 0, v0
	s_waitcnt vmcnt(0)
	ds_write_b64 v132, v[130:131]
	s_waitcnt lgkmcnt(0)
	; wave barrier
	s_waitcnt lgkmcnt(0)
	s_and_saveexec_b64 s[4:5], s[6:7]
	s_cbranch_execz .LBB63_634
; %bb.629:
	s_and_b64 vcc, exec, s[8:9]
	s_cbranch_vccz .LBB63_631
; %bb.630:
	buffer_load_dword v130, v133, s[0:3], 0 offen
	buffer_load_dword v131, v133, s[0:3], 0 offen offset:4
	ds_read_b64 v[134:135], v132
	s_waitcnt vmcnt(0) lgkmcnt(0)
	v_mul_f64 v[130:131], v[130:131], v[134:135]
	s_cbranch_execz .LBB63_632
	s_branch .LBB63_633
.LBB63_631:
                                        ; implicit-def: $vgpr130_vgpr131
.LBB63_632:
	ds_read_b64 v[130:131], v132
.LBB63_633:
	v_mov_b32_e32 v134, 0
	ds_read_b64 v[134:135], v134 offset:8
	s_waitcnt lgkmcnt(0)
	v_mul_f64 v[130:131], v[130:131], v[134:135]
	buffer_store_dword v131, off, s[0:3], 0 offset:12
	buffer_store_dword v130, off, s[0:3], 0 offset:8
.LBB63_634:
	s_or_b64 exec, exec, s[4:5]
	buffer_load_dword v130, off, s[0:3], 0 offset:16
	buffer_load_dword v131, off, s[0:3], 0 offset:20
	v_cndmask_b32_e64 v134, 0, 1, s[8:9]
	v_cmp_gt_u32_e32 vcc, 2, v0
	v_cmp_ne_u32_e64 s[4:5], 1, v134
	s_waitcnt vmcnt(0)
	ds_write_b64 v132, v[130:131]
	s_waitcnt lgkmcnt(0)
	; wave barrier
	s_waitcnt lgkmcnt(0)
	s_and_saveexec_b64 s[8:9], vcc
	s_cbranch_execz .LBB63_642
; %bb.635:
	s_and_b64 vcc, exec, s[4:5]
	s_cbranch_vccnz .LBB63_637
; %bb.636:
	buffer_load_dword v130, v133, s[0:3], 0 offen
	buffer_load_dword v131, v133, s[0:3], 0 offen offset:4
	ds_read_b64 v[134:135], v132
	s_waitcnt vmcnt(0) lgkmcnt(0)
	v_mul_f64 v[130:131], v[130:131], v[134:135]
	s_cbranch_execz .LBB63_638
	s_branch .LBB63_639
.LBB63_637:
                                        ; implicit-def: $vgpr130_vgpr131
.LBB63_638:
	ds_read_b64 v[130:131], v132
.LBB63_639:
	s_and_saveexec_b64 s[10:11], s[6:7]
	s_cbranch_execz .LBB63_641
; %bb.640:
	buffer_load_dword v134, v133, s[0:3], 0 offen offset:8
	buffer_load_dword v135, v133, s[0:3], 0 offen offset:12
	ds_read_b64 v[136:137], v132 offset:8
	s_waitcnt vmcnt(0) lgkmcnt(0)
	v_fmac_f64_e32 v[130:131], v[134:135], v[136:137]
.LBB63_641:
	s_or_b64 exec, exec, s[10:11]
	v_mov_b32_e32 v134, 0
	ds_read_b64 v[134:135], v134 offset:16
	s_waitcnt lgkmcnt(0)
	v_mul_f64 v[130:131], v[130:131], v[134:135]
	buffer_store_dword v131, off, s[0:3], 0 offset:20
	buffer_store_dword v130, off, s[0:3], 0 offset:16
.LBB63_642:
	s_or_b64 exec, exec, s[8:9]
	buffer_load_dword v130, off, s[0:3], 0 offset:24
	buffer_load_dword v131, off, s[0:3], 0 offset:28
	v_cmp_gt_u32_e32 vcc, 3, v0
	s_waitcnt vmcnt(0)
	ds_write_b64 v132, v[130:131]
	s_waitcnt lgkmcnt(0)
	; wave barrier
	s_waitcnt lgkmcnt(0)
	s_and_saveexec_b64 s[8:9], vcc
	s_cbranch_execz .LBB63_650
; %bb.643:
	s_and_b64 vcc, exec, s[4:5]
	s_cbranch_vccnz .LBB63_645
; %bb.644:
	buffer_load_dword v130, v133, s[0:3], 0 offen
	buffer_load_dword v131, v133, s[0:3], 0 offen offset:4
	ds_read_b64 v[134:135], v132
	s_waitcnt vmcnt(0) lgkmcnt(0)
	v_mul_f64 v[130:131], v[130:131], v[134:135]
	s_cbranch_execz .LBB63_646
	s_branch .LBB63_647
.LBB63_645:
                                        ; implicit-def: $vgpr130_vgpr131
.LBB63_646:
	ds_read_b64 v[130:131], v132
.LBB63_647:
	v_cmp_ne_u32_e32 vcc, 2, v0
	s_and_saveexec_b64 s[10:11], vcc
	s_cbranch_execz .LBB63_649
; %bb.648:
	buffer_load_dword v135, v133, s[0:3], 0 offen offset:12
	buffer_load_dword v136, off, s[0:3], 0 offset:16
	buffer_load_dword v134, v133, s[0:3], 0 offen offset:8
	buffer_load_dword v137, off, s[0:3], 0 offset:20
	v_mov_b32_e32 v140, 0
	ds_read_b64 v[138:139], v132 offset:8
	ds_read_b64 v[140:141], v140 offset:528
	s_waitcnt vmcnt(1) lgkmcnt(1)
	v_fmac_f64_e32 v[130:131], v[134:135], v[138:139]
	s_waitcnt vmcnt(0) lgkmcnt(0)
	v_fma_f64 v[134:135], v[136:137], v[140:141], v[130:131]
	v_cndmask_b32_e64 v131, v131, v135, s[6:7]
	v_cndmask_b32_e64 v130, v130, v134, s[6:7]
.LBB63_649:
	s_or_b64 exec, exec, s[10:11]
	v_mov_b32_e32 v134, 0
	ds_read_b64 v[134:135], v134 offset:24
	s_waitcnt lgkmcnt(0)
	v_mul_f64 v[130:131], v[130:131], v[134:135]
	buffer_store_dword v131, off, s[0:3], 0 offset:28
	buffer_store_dword v130, off, s[0:3], 0 offset:24
.LBB63_650:
	s_or_b64 exec, exec, s[8:9]
	buffer_load_dword v130, off, s[0:3], 0 offset:32
	buffer_load_dword v131, off, s[0:3], 0 offset:36
	v_cmp_gt_u32_e32 vcc, 4, v0
	s_waitcnt vmcnt(0)
	ds_write_b64 v132, v[130:131]
	s_waitcnt lgkmcnt(0)
	; wave barrier
	s_waitcnt lgkmcnt(0)
	s_and_saveexec_b64 s[6:7], vcc
	s_cbranch_execz .LBB63_660
; %bb.651:
	s_and_b64 vcc, exec, s[4:5]
	s_cbranch_vccnz .LBB63_653
; %bb.652:
	buffer_load_dword v130, v133, s[0:3], 0 offen
	buffer_load_dword v131, v133, s[0:3], 0 offen offset:4
	ds_read_b64 v[134:135], v132
	s_waitcnt vmcnt(0) lgkmcnt(0)
	v_mul_f64 v[130:131], v[130:131], v[134:135]
	s_cbranch_execz .LBB63_654
	s_branch .LBB63_655
.LBB63_653:
                                        ; implicit-def: $vgpr130_vgpr131
.LBB63_654:
	ds_read_b64 v[130:131], v132
.LBB63_655:
	v_cmp_ne_u32_e32 vcc, 3, v0
	s_and_saveexec_b64 s[8:9], vcc
	s_cbranch_execz .LBB63_659
; %bb.656:
	v_mov_b32_e32 v135, 0
	v_add_u32_e32 v134, 0x208, v1
	v_add3_u32 v135, v1, v135, 8
	s_mov_b64 s[10:11], 0
	v_mov_b32_e32 v136, v0
.LBB63_657:                             ; =>This Inner Loop Header: Depth=1
	buffer_load_dword v138, v135, s[0:3], 0 offen
	buffer_load_dword v139, v135, s[0:3], 0 offen offset:4
	ds_read_b64 v[140:141], v134
	v_add_u32_e32 v136, 1, v136
	v_cmp_lt_u32_e32 vcc, 2, v136
	v_add_u32_e32 v134, 8, v134
	v_add_u32_e32 v135, 8, v135
	s_or_b64 s[10:11], vcc, s[10:11]
	s_waitcnt vmcnt(0) lgkmcnt(0)
	v_fmac_f64_e32 v[130:131], v[138:139], v[140:141]
	s_andn2_b64 exec, exec, s[10:11]
	s_cbranch_execnz .LBB63_657
; %bb.658:
	s_or_b64 exec, exec, s[10:11]
.LBB63_659:
	s_or_b64 exec, exec, s[8:9]
	v_mov_b32_e32 v134, 0
	ds_read_b64 v[134:135], v134 offset:32
	s_waitcnt lgkmcnt(0)
	v_mul_f64 v[130:131], v[130:131], v[134:135]
	buffer_store_dword v131, off, s[0:3], 0 offset:36
	buffer_store_dword v130, off, s[0:3], 0 offset:32
.LBB63_660:
	s_or_b64 exec, exec, s[6:7]
	buffer_load_dword v130, off, s[0:3], 0 offset:40
	buffer_load_dword v131, off, s[0:3], 0 offset:44
	v_cmp_gt_u32_e32 vcc, 5, v0
	s_waitcnt vmcnt(0)
	ds_write_b64 v132, v[130:131]
	s_waitcnt lgkmcnt(0)
	; wave barrier
	s_waitcnt lgkmcnt(0)
	s_and_saveexec_b64 s[6:7], vcc
	s_cbranch_execz .LBB63_670
; %bb.661:
	s_and_b64 vcc, exec, s[4:5]
	s_cbranch_vccnz .LBB63_663
; %bb.662:
	buffer_load_dword v130, v133, s[0:3], 0 offen
	buffer_load_dword v131, v133, s[0:3], 0 offen offset:4
	ds_read_b64 v[134:135], v132
	s_waitcnt vmcnt(0) lgkmcnt(0)
	v_mul_f64 v[130:131], v[130:131], v[134:135]
	s_cbranch_execz .LBB63_664
	s_branch .LBB63_665
.LBB63_663:
                                        ; implicit-def: $vgpr130_vgpr131
.LBB63_664:
	ds_read_b64 v[130:131], v132
.LBB63_665:
	v_cmp_ne_u32_e32 vcc, 4, v0
	s_and_saveexec_b64 s[8:9], vcc
	s_cbranch_execz .LBB63_669
; %bb.666:
	v_mov_b32_e32 v135, 0
	v_add_u32_e32 v134, 0x208, v1
	v_add3_u32 v135, v1, v135, 8
	s_mov_b64 s[10:11], 0
	v_mov_b32_e32 v136, v0
.LBB63_667:                             ; =>This Inner Loop Header: Depth=1
	buffer_load_dword v138, v135, s[0:3], 0 offen
	buffer_load_dword v139, v135, s[0:3], 0 offen offset:4
	ds_read_b64 v[140:141], v134
	v_add_u32_e32 v136, 1, v136
	v_cmp_lt_u32_e32 vcc, 3, v136
	v_add_u32_e32 v134, 8, v134
	v_add_u32_e32 v135, 8, v135
	s_or_b64 s[10:11], vcc, s[10:11]
	s_waitcnt vmcnt(0) lgkmcnt(0)
	v_fmac_f64_e32 v[130:131], v[138:139], v[140:141]
	s_andn2_b64 exec, exec, s[10:11]
	s_cbranch_execnz .LBB63_667
; %bb.668:
	s_or_b64 exec, exec, s[10:11]
.LBB63_669:
	s_or_b64 exec, exec, s[8:9]
	v_mov_b32_e32 v134, 0
	ds_read_b64 v[134:135], v134 offset:40
	s_waitcnt lgkmcnt(0)
	v_mul_f64 v[130:131], v[130:131], v[134:135]
	buffer_store_dword v131, off, s[0:3], 0 offset:44
	buffer_store_dword v130, off, s[0:3], 0 offset:40
.LBB63_670:
	;; [unrolled: 60-line block ×35, first 2 shown]
	s_or_b64 exec, exec, s[6:7]
	buffer_load_dword v130, off, s[0:3], 0 offset:312
	buffer_load_dword v131, off, s[0:3], 0 offset:316
	v_cmp_gt_u32_e32 vcc, 39, v0
	s_waitcnt vmcnt(0)
	ds_write_b64 v132, v[130:131]
	s_waitcnt lgkmcnt(0)
	; wave barrier
	s_waitcnt lgkmcnt(0)
	s_and_saveexec_b64 s[6:7], vcc
	s_cbranch_execz .LBB63_1010
; %bb.1001:
	s_and_b64 vcc, exec, s[4:5]
	s_cbranch_vccnz .LBB63_1003
; %bb.1002:
	buffer_load_dword v130, v133, s[0:3], 0 offen
	buffer_load_dword v131, v133, s[0:3], 0 offen offset:4
	ds_read_b64 v[134:135], v132
	s_waitcnt vmcnt(0) lgkmcnt(0)
	v_mul_f64 v[130:131], v[130:131], v[134:135]
	s_cbranch_execz .LBB63_1004
	s_branch .LBB63_1005
.LBB63_1003:
                                        ; implicit-def: $vgpr130_vgpr131
.LBB63_1004:
	ds_read_b64 v[130:131], v132
.LBB63_1005:
	v_cmp_ne_u32_e32 vcc, 38, v0
	s_and_saveexec_b64 s[8:9], vcc
	s_cbranch_execz .LBB63_1009
; %bb.1006:
	v_mov_b32_e32 v135, 0
	v_add_u32_e32 v134, 0x208, v1
	v_add3_u32 v135, v1, v135, 8
	s_mov_b64 s[10:11], 0
	v_mov_b32_e32 v136, v0
.LBB63_1007:                            ; =>This Inner Loop Header: Depth=1
	buffer_load_dword v138, v135, s[0:3], 0 offen
	buffer_load_dword v139, v135, s[0:3], 0 offen offset:4
	ds_read_b64 v[140:141], v134
	v_add_u32_e32 v136, 1, v136
	v_cmp_lt_u32_e32 vcc, 37, v136
	v_add_u32_e32 v134, 8, v134
	v_add_u32_e32 v135, 8, v135
	s_or_b64 s[10:11], vcc, s[10:11]
	s_waitcnt vmcnt(0) lgkmcnt(0)
	v_fmac_f64_e32 v[130:131], v[138:139], v[140:141]
	s_andn2_b64 exec, exec, s[10:11]
	s_cbranch_execnz .LBB63_1007
; %bb.1008:
	s_or_b64 exec, exec, s[10:11]
.LBB63_1009:
	s_or_b64 exec, exec, s[8:9]
	v_mov_b32_e32 v134, 0
	ds_read_b64 v[134:135], v134 offset:312
	s_waitcnt lgkmcnt(0)
	v_mul_f64 v[130:131], v[130:131], v[134:135]
	buffer_store_dword v131, off, s[0:3], 0 offset:316
	buffer_store_dword v130, off, s[0:3], 0 offset:312
.LBB63_1010:
	s_or_b64 exec, exec, s[6:7]
	buffer_load_dword v130, off, s[0:3], 0 offset:320
	buffer_load_dword v131, off, s[0:3], 0 offset:324
	v_cmp_gt_u32_e32 vcc, 40, v0
	s_waitcnt vmcnt(0)
	ds_write_b64 v132, v[130:131]
	s_waitcnt lgkmcnt(0)
	; wave barrier
	s_waitcnt lgkmcnt(0)
	s_and_saveexec_b64 s[6:7], vcc
	s_cbranch_execz .LBB63_1020
; %bb.1011:
	s_and_b64 vcc, exec, s[4:5]
	s_cbranch_vccnz .LBB63_1013
; %bb.1012:
	buffer_load_dword v130, v133, s[0:3], 0 offen
	buffer_load_dword v131, v133, s[0:3], 0 offen offset:4
	ds_read_b64 v[134:135], v132
	s_waitcnt vmcnt(0) lgkmcnt(0)
	v_mul_f64 v[130:131], v[130:131], v[134:135]
	s_cbranch_execz .LBB63_1014
	s_branch .LBB63_1015
.LBB63_1013:
                                        ; implicit-def: $vgpr130_vgpr131
.LBB63_1014:
	ds_read_b64 v[130:131], v132
.LBB63_1015:
	v_cmp_ne_u32_e32 vcc, 39, v0
	s_and_saveexec_b64 s[8:9], vcc
	s_cbranch_execz .LBB63_1019
; %bb.1016:
	v_mov_b32_e32 v135, 0
	v_add_u32_e32 v134, 0x208, v1
	v_add3_u32 v135, v1, v135, 8
	s_mov_b64 s[10:11], 0
	v_mov_b32_e32 v136, v0
.LBB63_1017:                            ; =>This Inner Loop Header: Depth=1
	buffer_load_dword v138, v135, s[0:3], 0 offen
	buffer_load_dword v139, v135, s[0:3], 0 offen offset:4
	ds_read_b64 v[140:141], v134
	v_add_u32_e32 v136, 1, v136
	v_cmp_lt_u32_e32 vcc, 38, v136
	v_add_u32_e32 v134, 8, v134
	v_add_u32_e32 v135, 8, v135
	s_or_b64 s[10:11], vcc, s[10:11]
	s_waitcnt vmcnt(0) lgkmcnt(0)
	v_fmac_f64_e32 v[130:131], v[138:139], v[140:141]
	s_andn2_b64 exec, exec, s[10:11]
	s_cbranch_execnz .LBB63_1017
; %bb.1018:
	s_or_b64 exec, exec, s[10:11]
.LBB63_1019:
	s_or_b64 exec, exec, s[8:9]
	v_mov_b32_e32 v134, 0
	ds_read_b64 v[134:135], v134 offset:320
	s_waitcnt lgkmcnt(0)
	v_mul_f64 v[130:131], v[130:131], v[134:135]
	buffer_store_dword v131, off, s[0:3], 0 offset:324
	buffer_store_dword v130, off, s[0:3], 0 offset:320
.LBB63_1020:
	;; [unrolled: 60-line block ×23, first 2 shown]
	s_or_b64 exec, exec, s[6:7]
	buffer_load_dword v130, off, s[0:3], 0 offset:496
	buffer_load_dword v131, off, s[0:3], 0 offset:500
	v_cmp_gt_u32_e64 s[6:7], 62, v0
	s_waitcnt vmcnt(0)
	ds_write_b64 v132, v[130:131]
	s_waitcnt lgkmcnt(0)
	; wave barrier
	s_waitcnt lgkmcnt(0)
	s_and_saveexec_b64 s[8:9], s[6:7]
	s_cbranch_execz .LBB63_1240
; %bb.1231:
	s_and_b64 vcc, exec, s[4:5]
	s_cbranch_vccnz .LBB63_1233
; %bb.1232:
	buffer_load_dword v130, v133, s[0:3], 0 offen
	buffer_load_dword v131, v133, s[0:3], 0 offen offset:4
	ds_read_b64 v[134:135], v132
	s_waitcnt vmcnt(0) lgkmcnt(0)
	v_mul_f64 v[130:131], v[130:131], v[134:135]
	s_cbranch_execz .LBB63_1234
	s_branch .LBB63_1235
.LBB63_1233:
                                        ; implicit-def: $vgpr130_vgpr131
.LBB63_1234:
	ds_read_b64 v[130:131], v132
.LBB63_1235:
	v_cmp_ne_u32_e32 vcc, 61, v0
	s_and_saveexec_b64 s[10:11], vcc
	s_cbranch_execz .LBB63_1239
; %bb.1236:
	v_mov_b32_e32 v135, 0
	v_add_u32_e32 v134, 0x208, v1
	v_add3_u32 v135, v1, v135, 8
	s_mov_b64 s[12:13], 0
	v_mov_b32_e32 v136, v0
.LBB63_1237:                            ; =>This Inner Loop Header: Depth=1
	buffer_load_dword v138, v135, s[0:3], 0 offen
	buffer_load_dword v139, v135, s[0:3], 0 offen offset:4
	ds_read_b64 v[140:141], v134
	v_add_u32_e32 v136, 1, v136
	v_cmp_lt_u32_e32 vcc, 60, v136
	v_add_u32_e32 v134, 8, v134
	v_add_u32_e32 v135, 8, v135
	s_or_b64 s[12:13], vcc, s[12:13]
	s_waitcnt vmcnt(0) lgkmcnt(0)
	v_fmac_f64_e32 v[130:131], v[138:139], v[140:141]
	s_andn2_b64 exec, exec, s[12:13]
	s_cbranch_execnz .LBB63_1237
; %bb.1238:
	s_or_b64 exec, exec, s[12:13]
.LBB63_1239:
	s_or_b64 exec, exec, s[10:11]
	v_mov_b32_e32 v134, 0
	ds_read_b64 v[134:135], v134 offset:496
	s_waitcnt lgkmcnt(0)
	v_mul_f64 v[130:131], v[130:131], v[134:135]
	buffer_store_dword v131, off, s[0:3], 0 offset:500
	buffer_store_dword v130, off, s[0:3], 0 offset:496
.LBB63_1240:
	s_or_b64 exec, exec, s[8:9]
	buffer_load_dword v130, off, s[0:3], 0 offset:504
	buffer_load_dword v131, off, s[0:3], 0 offset:508
	v_cmp_ne_u32_e32 vcc, 63, v0
	s_waitcnt vmcnt(0)
	ds_write_b64 v132, v[130:131]
	s_waitcnt lgkmcnt(0)
	; wave barrier
	s_waitcnt lgkmcnt(0)
	s_and_saveexec_b64 s[8:9], vcc
	s_cbranch_execz .LBB63_1250
; %bb.1241:
	s_and_b64 vcc, exec, s[4:5]
	s_cbranch_vccnz .LBB63_1243
; %bb.1242:
	buffer_load_dword v130, v133, s[0:3], 0 offen
	buffer_load_dword v131, v133, s[0:3], 0 offen offset:4
	ds_read_b64 v[134:135], v132
	s_waitcnt vmcnt(0) lgkmcnt(0)
	v_mul_f64 v[130:131], v[130:131], v[134:135]
	s_cbranch_execz .LBB63_1244
	s_branch .LBB63_1245
.LBB63_1243:
                                        ; implicit-def: $vgpr130_vgpr131
.LBB63_1244:
	ds_read_b64 v[130:131], v132
.LBB63_1245:
	s_and_saveexec_b64 s[4:5], s[6:7]
	s_cbranch_execz .LBB63_1249
; %bb.1246:
	v_mov_b32_e32 v133, 0
	v_add_u32_e32 v132, 0x208, v1
	v_add3_u32 v1, v1, v133, 8
	s_mov_b64 s[6:7], 0
.LBB63_1247:                            ; =>This Inner Loop Header: Depth=1
	buffer_load_dword v134, v1, s[0:3], 0 offen
	buffer_load_dword v135, v1, s[0:3], 0 offen offset:4
	ds_read_b64 v[136:137], v132
	v_add_u32_e32 v0, 1, v0
	v_cmp_lt_u32_e32 vcc, 61, v0
	v_add_u32_e32 v132, 8, v132
	v_add_u32_e32 v1, 8, v1
	s_or_b64 s[6:7], vcc, s[6:7]
	s_waitcnt vmcnt(0) lgkmcnt(0)
	v_fmac_f64_e32 v[130:131], v[134:135], v[136:137]
	s_andn2_b64 exec, exec, s[6:7]
	s_cbranch_execnz .LBB63_1247
; %bb.1248:
	s_or_b64 exec, exec, s[6:7]
.LBB63_1249:
	s_or_b64 exec, exec, s[4:5]
	v_mov_b32_e32 v0, 0
	ds_read_b64 v[0:1], v0 offset:504
	s_waitcnt lgkmcnt(0)
	v_mul_f64 v[0:1], v[130:131], v[0:1]
	buffer_store_dword v1, off, s[0:3], 0 offset:508
	buffer_store_dword v0, off, s[0:3], 0 offset:504
.LBB63_1250:
	s_or_b64 exec, exec, s[8:9]
.LBB63_1251:
	buffer_load_dword v0, off, s[0:3], 0
	buffer_load_dword v1, off, s[0:3], 0 offset:4
	buffer_load_dword v130, off, s[0:3], 0 offset:8
	;; [unrolled: 1-line block ×127, first 2 shown]
	s_waitcnt vmcnt(62)
	global_store_dwordx2 v[120:121], v[0:1], off
	global_store_dwordx2 v[122:123], v[130:131], off
	;; [unrolled: 1-line block ×33, first 2 shown]
	s_waitcnt vmcnt(62)
	global_store_dwordx2 v[64:65], v[194:195], off
	global_store_dwordx2 v[66:67], v[196:197], off
	;; [unrolled: 1-line block ×16, first 2 shown]
	s_waitcnt vmcnt(62)
	global_store_dwordx2 v[96:97], v[226:227], off
	global_store_dwordx2 v[98:99], v[228:229], off
	;; [unrolled: 1-line block ×8, first 2 shown]
	s_waitcnt vmcnt(62)
	global_store_dwordx2 v[112:113], v[242:243], off
	global_store_dwordx2 v[114:115], v[244:245], off
	;; [unrolled: 1-line block ×4, first 2 shown]
	s_waitcnt vmcnt(62)
	global_store_dwordx2 v[124:125], v[250:251], off
	global_store_dwordx2 v[126:127], v[252:253], off
	s_waitcnt vmcnt(62)
	global_store_dwordx2 v[128:129], v[254:255], off
.LBB63_1252:
	s_endpgm
	.section	.rodata,"a",@progbits
	.p2align	6, 0x0
	.amdhsa_kernel _ZN9rocsolver6v33100L18trti2_kernel_smallILi64EdPdEEv13rocblas_fill_17rocblas_diagonal_T1_iil
		.amdhsa_group_segment_fixed_size 1024
		.amdhsa_private_segment_fixed_size 528
		.amdhsa_kernarg_size 32
		.amdhsa_user_sgpr_count 8
		.amdhsa_user_sgpr_private_segment_buffer 1
		.amdhsa_user_sgpr_dispatch_ptr 0
		.amdhsa_user_sgpr_queue_ptr 0
		.amdhsa_user_sgpr_kernarg_segment_ptr 1
		.amdhsa_user_sgpr_dispatch_id 0
		.amdhsa_user_sgpr_flat_scratch_init 1
		.amdhsa_user_sgpr_kernarg_preload_length 0
		.amdhsa_user_sgpr_kernarg_preload_offset 0
		.amdhsa_user_sgpr_private_segment_size 0
		.amdhsa_uses_dynamic_stack 0
		.amdhsa_system_sgpr_private_segment_wavefront_offset 1
		.amdhsa_system_sgpr_workgroup_id_x 1
		.amdhsa_system_sgpr_workgroup_id_y 0
		.amdhsa_system_sgpr_workgroup_id_z 0
		.amdhsa_system_sgpr_workgroup_info 0
		.amdhsa_system_vgpr_workitem_id 0
		.amdhsa_next_free_vgpr 256
		.amdhsa_next_free_sgpr 20
		.amdhsa_accum_offset 256
		.amdhsa_reserve_vcc 1
		.amdhsa_reserve_flat_scratch 0
		.amdhsa_float_round_mode_32 0
		.amdhsa_float_round_mode_16_64 0
		.amdhsa_float_denorm_mode_32 3
		.amdhsa_float_denorm_mode_16_64 3
		.amdhsa_dx10_clamp 1
		.amdhsa_ieee_mode 1
		.amdhsa_fp16_overflow 0
		.amdhsa_tg_split 0
		.amdhsa_exception_fp_ieee_invalid_op 0
		.amdhsa_exception_fp_denorm_src 0
		.amdhsa_exception_fp_ieee_div_zero 0
		.amdhsa_exception_fp_ieee_overflow 0
		.amdhsa_exception_fp_ieee_underflow 0
		.amdhsa_exception_fp_ieee_inexact 0
		.amdhsa_exception_int_div_zero 0
	.end_amdhsa_kernel
	.section	.text._ZN9rocsolver6v33100L18trti2_kernel_smallILi64EdPdEEv13rocblas_fill_17rocblas_diagonal_T1_iil,"axG",@progbits,_ZN9rocsolver6v33100L18trti2_kernel_smallILi64EdPdEEv13rocblas_fill_17rocblas_diagonal_T1_iil,comdat
.Lfunc_end63:
	.size	_ZN9rocsolver6v33100L18trti2_kernel_smallILi64EdPdEEv13rocblas_fill_17rocblas_diagonal_T1_iil, .Lfunc_end63-_ZN9rocsolver6v33100L18trti2_kernel_smallILi64EdPdEEv13rocblas_fill_17rocblas_diagonal_T1_iil
                                        ; -- End function
	.section	.AMDGPU.csdata,"",@progbits
; Kernel info:
; codeLenInByte = 37240
; NumSgprs: 24
; NumVgprs: 256
; NumAgprs: 0
; TotalNumVgprs: 256
; ScratchSize: 528
; MemoryBound: 0
; FloatMode: 240
; IeeeMode: 1
; LDSByteSize: 1024 bytes/workgroup (compile time only)
; SGPRBlocks: 2
; VGPRBlocks: 31
; NumSGPRsForWavesPerEU: 24
; NumVGPRsForWavesPerEU: 256
; AccumOffset: 256
; Occupancy: 2
; WaveLimiterHint : 0
; COMPUTE_PGM_RSRC2:SCRATCH_EN: 1
; COMPUTE_PGM_RSRC2:USER_SGPR: 8
; COMPUTE_PGM_RSRC2:TRAP_HANDLER: 0
; COMPUTE_PGM_RSRC2:TGID_X_EN: 1
; COMPUTE_PGM_RSRC2:TGID_Y_EN: 0
; COMPUTE_PGM_RSRC2:TGID_Z_EN: 0
; COMPUTE_PGM_RSRC2:TIDIG_COMP_CNT: 0
; COMPUTE_PGM_RSRC3_GFX90A:ACCUM_OFFSET: 63
; COMPUTE_PGM_RSRC3_GFX90A:TG_SPLIT: 0
	.section	.text._ZN9rocsolver6v33100L18trti2_kernel_smallILi1EdPKPdEEv13rocblas_fill_17rocblas_diagonal_T1_iil,"axG",@progbits,_ZN9rocsolver6v33100L18trti2_kernel_smallILi1EdPKPdEEv13rocblas_fill_17rocblas_diagonal_T1_iil,comdat
	.globl	_ZN9rocsolver6v33100L18trti2_kernel_smallILi1EdPKPdEEv13rocblas_fill_17rocblas_diagonal_T1_iil ; -- Begin function _ZN9rocsolver6v33100L18trti2_kernel_smallILi1EdPKPdEEv13rocblas_fill_17rocblas_diagonal_T1_iil
	.p2align	8
	.type	_ZN9rocsolver6v33100L18trti2_kernel_smallILi1EdPKPdEEv13rocblas_fill_17rocblas_diagonal_T1_iil,@function
_ZN9rocsolver6v33100L18trti2_kernel_smallILi1EdPKPdEEv13rocblas_fill_17rocblas_diagonal_T1_iil: ; @_ZN9rocsolver6v33100L18trti2_kernel_smallILi1EdPKPdEEv13rocblas_fill_17rocblas_diagonal_T1_iil
; %bb.0:
	v_cmp_eq_u32_e32 vcc, 0, v0
	s_and_saveexec_b64 s[0:1], vcc
	s_cbranch_execz .LBB64_2
; %bb.1:
	s_load_dword s0, s[4:5], 0x10
	s_load_dwordx2 s[2:3], s[4:5], 0x8
	s_ashr_i32 s7, s6, 31
	s_lshl_b64 s[6:7], s[6:7], 3
	v_mov_b32_e32 v8, 0
	s_waitcnt lgkmcnt(0)
	s_ashr_i32 s1, s0, 31
	s_add_u32 s2, s2, s6
	s_addc_u32 s3, s3, s7
	s_load_dwordx2 s[6:7], s[2:3], 0x0
	s_load_dword s8, s[4:5], 0x4
	s_lshl_b64 s[0:1], s[0:1], 3
	s_waitcnt lgkmcnt(0)
	s_add_u32 s0, s6, s0
	s_addc_u32 s1, s7, s1
	s_load_dwordx2 s[2:3], s[0:1], 0x0
	s_cmpk_eq_i32 s8, 0x84
	s_waitcnt lgkmcnt(0)
	v_div_scale_f64 v[0:1], s[4:5], s[2:3], s[2:3], 1.0
	v_rcp_f64_e32 v[2:3], v[0:1]
	v_div_scale_f64 v[4:5], vcc, 1.0, s[2:3], 1.0
	v_mov_b32_e32 v9, s3
	v_fma_f64 v[6:7], -v[0:1], v[2:3], 1.0
	v_fmac_f64_e32 v[2:3], v[2:3], v[6:7]
	v_fma_f64 v[6:7], -v[0:1], v[2:3], 1.0
	v_fmac_f64_e32 v[2:3], v[2:3], v[6:7]
	v_mul_f64 v[6:7], v[4:5], v[2:3]
	v_fma_f64 v[0:1], -v[0:1], v[6:7], v[4:5]
	v_div_fmas_f64 v[0:1], v[0:1], v[2:3], v[6:7]
	v_mov_b32_e32 v10, s2
	v_div_fixup_f64 v[0:1], v[0:1], s[2:3], 1.0
	s_cselect_b64 vcc, -1, 0
	v_cndmask_b32_e32 v1, v1, v9, vcc
	v_cndmask_b32_e32 v0, v0, v10, vcc
	global_store_dwordx2 v8, v[0:1], s[0:1]
.LBB64_2:
	s_endpgm
	.section	.rodata,"a",@progbits
	.p2align	6, 0x0
	.amdhsa_kernel _ZN9rocsolver6v33100L18trti2_kernel_smallILi1EdPKPdEEv13rocblas_fill_17rocblas_diagonal_T1_iil
		.amdhsa_group_segment_fixed_size 0
		.amdhsa_private_segment_fixed_size 0
		.amdhsa_kernarg_size 32
		.amdhsa_user_sgpr_count 6
		.amdhsa_user_sgpr_private_segment_buffer 1
		.amdhsa_user_sgpr_dispatch_ptr 0
		.amdhsa_user_sgpr_queue_ptr 0
		.amdhsa_user_sgpr_kernarg_segment_ptr 1
		.amdhsa_user_sgpr_dispatch_id 0
		.amdhsa_user_sgpr_flat_scratch_init 0
		.amdhsa_user_sgpr_kernarg_preload_length 0
		.amdhsa_user_sgpr_kernarg_preload_offset 0
		.amdhsa_user_sgpr_private_segment_size 0
		.amdhsa_uses_dynamic_stack 0
		.amdhsa_system_sgpr_private_segment_wavefront_offset 0
		.amdhsa_system_sgpr_workgroup_id_x 1
		.amdhsa_system_sgpr_workgroup_id_y 0
		.amdhsa_system_sgpr_workgroup_id_z 0
		.amdhsa_system_sgpr_workgroup_info 0
		.amdhsa_system_vgpr_workitem_id 0
		.amdhsa_next_free_vgpr 11
		.amdhsa_next_free_sgpr 9
		.amdhsa_accum_offset 12
		.amdhsa_reserve_vcc 1
		.amdhsa_reserve_flat_scratch 0
		.amdhsa_float_round_mode_32 0
		.amdhsa_float_round_mode_16_64 0
		.amdhsa_float_denorm_mode_32 3
		.amdhsa_float_denorm_mode_16_64 3
		.amdhsa_dx10_clamp 1
		.amdhsa_ieee_mode 1
		.amdhsa_fp16_overflow 0
		.amdhsa_tg_split 0
		.amdhsa_exception_fp_ieee_invalid_op 0
		.amdhsa_exception_fp_denorm_src 0
		.amdhsa_exception_fp_ieee_div_zero 0
		.amdhsa_exception_fp_ieee_overflow 0
		.amdhsa_exception_fp_ieee_underflow 0
		.amdhsa_exception_fp_ieee_inexact 0
		.amdhsa_exception_int_div_zero 0
	.end_amdhsa_kernel
	.section	.text._ZN9rocsolver6v33100L18trti2_kernel_smallILi1EdPKPdEEv13rocblas_fill_17rocblas_diagonal_T1_iil,"axG",@progbits,_ZN9rocsolver6v33100L18trti2_kernel_smallILi1EdPKPdEEv13rocblas_fill_17rocblas_diagonal_T1_iil,comdat
.Lfunc_end64:
	.size	_ZN9rocsolver6v33100L18trti2_kernel_smallILi1EdPKPdEEv13rocblas_fill_17rocblas_diagonal_T1_iil, .Lfunc_end64-_ZN9rocsolver6v33100L18trti2_kernel_smallILi1EdPKPdEEv13rocblas_fill_17rocblas_diagonal_T1_iil
                                        ; -- End function
	.section	.AMDGPU.csdata,"",@progbits
; Kernel info:
; codeLenInByte = 212
; NumSgprs: 13
; NumVgprs: 11
; NumAgprs: 0
; TotalNumVgprs: 11
; ScratchSize: 0
; MemoryBound: 0
; FloatMode: 240
; IeeeMode: 1
; LDSByteSize: 0 bytes/workgroup (compile time only)
; SGPRBlocks: 1
; VGPRBlocks: 1
; NumSGPRsForWavesPerEU: 13
; NumVGPRsForWavesPerEU: 11
; AccumOffset: 12
; Occupancy: 8
; WaveLimiterHint : 1
; COMPUTE_PGM_RSRC2:SCRATCH_EN: 0
; COMPUTE_PGM_RSRC2:USER_SGPR: 6
; COMPUTE_PGM_RSRC2:TRAP_HANDLER: 0
; COMPUTE_PGM_RSRC2:TGID_X_EN: 1
; COMPUTE_PGM_RSRC2:TGID_Y_EN: 0
; COMPUTE_PGM_RSRC2:TGID_Z_EN: 0
; COMPUTE_PGM_RSRC2:TIDIG_COMP_CNT: 0
; COMPUTE_PGM_RSRC3_GFX90A:ACCUM_OFFSET: 2
; COMPUTE_PGM_RSRC3_GFX90A:TG_SPLIT: 0
	.section	.text._ZN9rocsolver6v33100L18trti2_kernel_smallILi2EdPKPdEEv13rocblas_fill_17rocblas_diagonal_T1_iil,"axG",@progbits,_ZN9rocsolver6v33100L18trti2_kernel_smallILi2EdPKPdEEv13rocblas_fill_17rocblas_diagonal_T1_iil,comdat
	.globl	_ZN9rocsolver6v33100L18trti2_kernel_smallILi2EdPKPdEEv13rocblas_fill_17rocblas_diagonal_T1_iil ; -- Begin function _ZN9rocsolver6v33100L18trti2_kernel_smallILi2EdPKPdEEv13rocblas_fill_17rocblas_diagonal_T1_iil
	.p2align	8
	.type	_ZN9rocsolver6v33100L18trti2_kernel_smallILi2EdPKPdEEv13rocblas_fill_17rocblas_diagonal_T1_iil,@function
_ZN9rocsolver6v33100L18trti2_kernel_smallILi2EdPKPdEEv13rocblas_fill_17rocblas_diagonal_T1_iil: ; @_ZN9rocsolver6v33100L18trti2_kernel_smallILi2EdPKPdEEv13rocblas_fill_17rocblas_diagonal_T1_iil
; %bb.0:
	v_cmp_gt_u32_e32 vcc, 2, v0
	s_and_saveexec_b64 s[0:1], vcc
	s_cbranch_execz .LBB65_20
; %bb.1:
	s_load_dwordx2 s[0:1], s[4:5], 0x10
	s_load_dwordx4 s[8:11], s[4:5], 0x0
	s_ashr_i32 s7, s6, 31
	s_lshl_b64 s[2:3], s[6:7], 3
	v_lshlrev_b32_e32 v1, 3, v0
	s_waitcnt lgkmcnt(0)
	s_ashr_i32 s5, s0, 31
	s_add_u32 s2, s10, s2
	s_addc_u32 s3, s11, s3
	s_load_dwordx2 s[2:3], s[2:3], 0x0
	s_mov_b32 s4, s0
	s_lshl_b64 s[4:5], s[4:5], 3
	v_mov_b32_e32 v6, 0
	v_mov_b32_e32 v7, 0xbff00000
	s_waitcnt lgkmcnt(0)
	s_add_u32 s2, s2, s4
	s_addc_u32 s3, s3, s5
	v_mov_b32_e32 v2, s3
	v_add_co_u32_e32 v10, vcc, s2, v1
	s_ashr_i32 s5, s1, 31
	s_mov_b32 s4, s1
	v_addc_co_u32_e32 v11, vcc, 0, v2, vcc
	s_lshl_b64 s[0:1], s[4:5], 3
	v_mov_b32_e32 v2, s1
	v_add_co_u32_e32 v12, vcc, s0, v10
	v_addc_co_u32_e32 v13, vcc, v11, v2, vcc
	global_load_dwordx2 v[2:3], v1, s[2:3]
	global_load_dwordx2 v[4:5], v[12:13], off
	s_cmpk_lg_i32 s9, 0x84
	s_cselect_b64 s[4:5], -1, 0
	s_cmpk_eq_i32 s9, 0x84
	v_cmp_eq_u32_e64 s[0:1], 0, v0
	s_cbranch_scc1 .LBB65_3
; %bb.2:
	v_cmp_eq_u32_e64 s[2:3], 1, v0
	s_waitcnt vmcnt(0)
	v_cndmask_b32_e64 v7, v3, v5, s[2:3]
	v_cndmask_b32_e64 v6, v2, v4, s[2:3]
	v_div_scale_f64 v[8:9], s[6:7], v[6:7], v[6:7], 1.0
	v_rcp_f64_e32 v[14:15], v[8:9]
	v_fma_f64 v[16:17], -v[8:9], v[14:15], 1.0
	v_fmac_f64_e32 v[14:15], v[14:15], v[16:17]
	v_fma_f64 v[16:17], -v[8:9], v[14:15], 1.0
	v_fmac_f64_e32 v[14:15], v[14:15], v[16:17]
	v_div_scale_f64 v[16:17], vcc, 1.0, v[6:7], 1.0
	v_mul_f64 v[18:19], v[16:17], v[14:15]
	v_fma_f64 v[8:9], -v[8:9], v[18:19], v[16:17]
	s_nop 1
	v_div_fmas_f64 v[8:9], v[8:9], v[14:15], v[18:19]
	v_div_fixup_f64 v[6:7], v[8:9], v[6:7], 1.0
	v_cndmask_b32_e64 v5, v5, v7, s[2:3]
	v_cndmask_b32_e64 v4, v4, v6, s[2:3]
	;; [unrolled: 1-line block ×4, first 2 shown]
	v_xor_b32_e32 v7, 0x80000000, v7
.LBB65_3:
	s_cmpk_lg_i32 s8, 0x79
	v_add_u32_e32 v16, 16, v1
	ds_write_b64 v1, v[6:7]
	s_cbranch_scc0 .LBB65_7
; %bb.4:
	s_waitcnt vmcnt(0)
	v_pk_mov_b32 v[8:9], v[4:5], v[4:5] op_sel:[0,1]
	v_cmp_eq_u32_e32 vcc, 1, v0
	v_pk_mov_b32 v[6:7], v[2:3], v[2:3] op_sel:[0,1]
	ds_write_b64 v16, v[2:3]
	s_waitcnt lgkmcnt(0)
	; wave barrier
	s_waitcnt lgkmcnt(0)
	s_and_saveexec_b64 s[0:1], vcc
	s_cbranch_execz .LBB65_11
; %bb.5:
	s_and_b64 vcc, exec, s[4:5]
	s_cbranch_vccz .LBB65_8
; %bb.6:
	ds_read_b64 v[6:7], v16
	v_cmp_eq_u32_e32 vcc, 1, v0
	v_cndmask_b32_e32 v9, v3, v5, vcc
	v_cndmask_b32_e32 v8, v2, v4, vcc
	s_waitcnt lgkmcnt(0)
	v_mul_f64 v[14:15], v[8:9], v[6:7]
	s_cbranch_execz .LBB65_9
	s_branch .LBB65_10
.LBB65_7:
                                        ; implicit-def: $vgpr6_vgpr7_vgpr8_vgpr9
	s_branch .LBB65_12
.LBB65_8:
                                        ; implicit-def: $vgpr14_vgpr15
.LBB65_9:
	ds_read_b64 v[14:15], v16
.LBB65_10:
	v_mov_b32_e32 v1, 0
	ds_read_b64 v[18:19], v1
	v_pk_mov_b32 v[8:9], v[4:5], v[4:5] op_sel:[0,1]
	v_pk_mov_b32 v[6:7], v[2:3], v[2:3] op_sel:[0,1]
	s_waitcnt lgkmcnt(0)
	v_mul_f64 v[6:7], v[14:15], v[18:19]
.LBB65_11:
	s_or_b64 exec, exec, s[0:1]
	s_cbranch_execnz .LBB65_19
.LBB65_12:
	v_cmp_eq_u32_e32 vcc, 0, v0
	s_waitcnt vmcnt(0)
	ds_write_b64 v16, v[4:5]
	s_waitcnt lgkmcnt(0)
	; wave barrier
	s_waitcnt lgkmcnt(0)
	s_and_saveexec_b64 s[0:1], vcc
	s_cbranch_execz .LBB65_18
; %bb.13:
	s_and_b64 vcc, exec, s[4:5]
	s_cbranch_vccz .LBB65_15
; %bb.14:
	ds_read_b64 v[6:7], v16
	v_cmp_eq_u32_e32 vcc, 1, v0
	v_cndmask_b32_e32 v1, v3, v5, vcc
	v_cndmask_b32_e32 v0, v2, v4, vcc
	s_waitcnt lgkmcnt(0)
	v_mul_f64 v[0:1], v[0:1], v[6:7]
	s_cbranch_execz .LBB65_16
	s_branch .LBB65_17
.LBB65_15:
                                        ; implicit-def: $vgpr0_vgpr1
.LBB65_16:
	ds_read_b64 v[0:1], v16
.LBB65_17:
	v_mov_b32_e32 v4, 0
	ds_read_b64 v[4:5], v4 offset:8
	s_waitcnt lgkmcnt(0)
	v_mul_f64 v[4:5], v[0:1], v[4:5]
.LBB65_18:
	s_or_b64 exec, exec, s[0:1]
	v_pk_mov_b32 v[8:9], v[4:5], v[4:5] op_sel:[0,1]
	v_pk_mov_b32 v[6:7], v[2:3], v[2:3] op_sel:[0,1]
.LBB65_19:
	global_store_dwordx2 v[10:11], v[6:7], off
	global_store_dwordx2 v[12:13], v[8:9], off
.LBB65_20:
	s_endpgm
	.section	.rodata,"a",@progbits
	.p2align	6, 0x0
	.amdhsa_kernel _ZN9rocsolver6v33100L18trti2_kernel_smallILi2EdPKPdEEv13rocblas_fill_17rocblas_diagonal_T1_iil
		.amdhsa_group_segment_fixed_size 32
		.amdhsa_private_segment_fixed_size 0
		.amdhsa_kernarg_size 32
		.amdhsa_user_sgpr_count 6
		.amdhsa_user_sgpr_private_segment_buffer 1
		.amdhsa_user_sgpr_dispatch_ptr 0
		.amdhsa_user_sgpr_queue_ptr 0
		.amdhsa_user_sgpr_kernarg_segment_ptr 1
		.amdhsa_user_sgpr_dispatch_id 0
		.amdhsa_user_sgpr_flat_scratch_init 0
		.amdhsa_user_sgpr_kernarg_preload_length 0
		.amdhsa_user_sgpr_kernarg_preload_offset 0
		.amdhsa_user_sgpr_private_segment_size 0
		.amdhsa_uses_dynamic_stack 0
		.amdhsa_system_sgpr_private_segment_wavefront_offset 0
		.amdhsa_system_sgpr_workgroup_id_x 1
		.amdhsa_system_sgpr_workgroup_id_y 0
		.amdhsa_system_sgpr_workgroup_id_z 0
		.amdhsa_system_sgpr_workgroup_info 0
		.amdhsa_system_vgpr_workitem_id 0
		.amdhsa_next_free_vgpr 20
		.amdhsa_next_free_sgpr 12
		.amdhsa_accum_offset 20
		.amdhsa_reserve_vcc 1
		.amdhsa_reserve_flat_scratch 0
		.amdhsa_float_round_mode_32 0
		.amdhsa_float_round_mode_16_64 0
		.amdhsa_float_denorm_mode_32 3
		.amdhsa_float_denorm_mode_16_64 3
		.amdhsa_dx10_clamp 1
		.amdhsa_ieee_mode 1
		.amdhsa_fp16_overflow 0
		.amdhsa_tg_split 0
		.amdhsa_exception_fp_ieee_invalid_op 0
		.amdhsa_exception_fp_denorm_src 0
		.amdhsa_exception_fp_ieee_div_zero 0
		.amdhsa_exception_fp_ieee_overflow 0
		.amdhsa_exception_fp_ieee_underflow 0
		.amdhsa_exception_fp_ieee_inexact 0
		.amdhsa_exception_int_div_zero 0
	.end_amdhsa_kernel
	.section	.text._ZN9rocsolver6v33100L18trti2_kernel_smallILi2EdPKPdEEv13rocblas_fill_17rocblas_diagonal_T1_iil,"axG",@progbits,_ZN9rocsolver6v33100L18trti2_kernel_smallILi2EdPKPdEEv13rocblas_fill_17rocblas_diagonal_T1_iil,comdat
.Lfunc_end65:
	.size	_ZN9rocsolver6v33100L18trti2_kernel_smallILi2EdPKPdEEv13rocblas_fill_17rocblas_diagonal_T1_iil, .Lfunc_end65-_ZN9rocsolver6v33100L18trti2_kernel_smallILi2EdPKPdEEv13rocblas_fill_17rocblas_diagonal_T1_iil
                                        ; -- End function
	.section	.AMDGPU.csdata,"",@progbits
; Kernel info:
; codeLenInByte = 648
; NumSgprs: 16
; NumVgprs: 20
; NumAgprs: 0
; TotalNumVgprs: 20
; ScratchSize: 0
; MemoryBound: 0
; FloatMode: 240
; IeeeMode: 1
; LDSByteSize: 32 bytes/workgroup (compile time only)
; SGPRBlocks: 1
; VGPRBlocks: 2
; NumSGPRsForWavesPerEU: 16
; NumVGPRsForWavesPerEU: 20
; AccumOffset: 20
; Occupancy: 8
; WaveLimiterHint : 1
; COMPUTE_PGM_RSRC2:SCRATCH_EN: 0
; COMPUTE_PGM_RSRC2:USER_SGPR: 6
; COMPUTE_PGM_RSRC2:TRAP_HANDLER: 0
; COMPUTE_PGM_RSRC2:TGID_X_EN: 1
; COMPUTE_PGM_RSRC2:TGID_Y_EN: 0
; COMPUTE_PGM_RSRC2:TGID_Z_EN: 0
; COMPUTE_PGM_RSRC2:TIDIG_COMP_CNT: 0
; COMPUTE_PGM_RSRC3_GFX90A:ACCUM_OFFSET: 4
; COMPUTE_PGM_RSRC3_GFX90A:TG_SPLIT: 0
	.section	.text._ZN9rocsolver6v33100L18trti2_kernel_smallILi3EdPKPdEEv13rocblas_fill_17rocblas_diagonal_T1_iil,"axG",@progbits,_ZN9rocsolver6v33100L18trti2_kernel_smallILi3EdPKPdEEv13rocblas_fill_17rocblas_diagonal_T1_iil,comdat
	.globl	_ZN9rocsolver6v33100L18trti2_kernel_smallILi3EdPKPdEEv13rocblas_fill_17rocblas_diagonal_T1_iil ; -- Begin function _ZN9rocsolver6v33100L18trti2_kernel_smallILi3EdPKPdEEv13rocblas_fill_17rocblas_diagonal_T1_iil
	.p2align	8
	.type	_ZN9rocsolver6v33100L18trti2_kernel_smallILi3EdPKPdEEv13rocblas_fill_17rocblas_diagonal_T1_iil,@function
_ZN9rocsolver6v33100L18trti2_kernel_smallILi3EdPKPdEEv13rocblas_fill_17rocblas_diagonal_T1_iil: ; @_ZN9rocsolver6v33100L18trti2_kernel_smallILi3EdPKPdEEv13rocblas_fill_17rocblas_diagonal_T1_iil
; %bb.0:
	v_cmp_gt_u32_e32 vcc, 3, v0
	s_and_saveexec_b64 s[0:1], vcc
	s_cbranch_execz .LBB66_34
; %bb.1:
	s_load_dwordx2 s[0:1], s[4:5], 0x10
	s_load_dwordx4 s[8:11], s[4:5], 0x0
	s_ashr_i32 s7, s6, 31
	s_lshl_b64 s[2:3], s[6:7], 3
	v_lshlrev_b32_e32 v1, 3, v0
	s_waitcnt lgkmcnt(0)
	s_ashr_i32 s5, s0, 31
	s_add_u32 s2, s10, s2
	s_addc_u32 s3, s11, s3
	s_load_dwordx2 s[2:3], s[2:3], 0x0
	s_mov_b32 s4, s0
	s_lshl_b64 s[4:5], s[4:5], 3
	v_mov_b32_e32 v8, 0
	v_mov_b32_e32 v9, 0xbff00000
	s_waitcnt lgkmcnt(0)
	s_add_u32 s2, s2, s4
	s_addc_u32 s3, s3, s5
	v_mov_b32_e32 v2, s3
	v_add_co_u32_e32 v14, vcc, s2, v1
	s_ashr_i32 s5, s1, 31
	s_mov_b32 s4, s1
	v_addc_co_u32_e32 v15, vcc, 0, v2, vcc
	s_lshl_b64 s[4:5], s[4:5], 3
	v_mov_b32_e32 v2, s5
	v_add_co_u32_e32 v16, vcc, s4, v14
	s_add_i32 s0, s1, s1
	v_addc_co_u32_e32 v17, vcc, v15, v2, vcc
	v_add_u32_e32 v2, s0, v0
	v_ashrrev_i32_e32 v3, 31, v2
	v_lshlrev_b64 v[2:3], 3, v[2:3]
	v_mov_b32_e32 v6, s3
	v_add_co_u32_e32 v18, vcc, s2, v2
	global_load_dwordx2 v[4:5], v[16:17], off
	v_addc_co_u32_e32 v19, vcc, v6, v3, vcc
	global_load_dwordx2 v[2:3], v1, s[2:3]
	global_load_dwordx2 v[6:7], v[18:19], off
	s_cmpk_lg_i32 s9, 0x84
	s_cselect_b64 s[6:7], -1, 0
	s_cmpk_eq_i32 s9, 0x84
	v_cmp_eq_u32_e64 s[0:1], 0, v0
	s_cbranch_scc1 .LBB66_3
; %bb.2:
	v_cmp_eq_u32_e64 s[2:3], 1, v0
	s_waitcnt vmcnt(1)
	v_cndmask_b32_e64 v8, v3, v5, s[2:3]
	v_cmp_eq_u32_e64 s[4:5], 2, v0
	s_waitcnt vmcnt(0)
	v_cndmask_b32_e64 v9, v8, v7, s[4:5]
	v_cndmask_b32_e64 v8, v2, v4, s[2:3]
	;; [unrolled: 1-line block ×3, first 2 shown]
	v_div_scale_f64 v[10:11], s[10:11], v[8:9], v[8:9], 1.0
	v_rcp_f64_e32 v[12:13], v[10:11]
	v_fma_f64 v[20:21], -v[10:11], v[12:13], 1.0
	v_fmac_f64_e32 v[12:13], v[12:13], v[20:21]
	v_fma_f64 v[20:21], -v[10:11], v[12:13], 1.0
	v_fmac_f64_e32 v[12:13], v[12:13], v[20:21]
	v_div_scale_f64 v[20:21], vcc, 1.0, v[8:9], 1.0
	v_mul_f64 v[22:23], v[20:21], v[12:13]
	v_fma_f64 v[10:11], -v[10:11], v[22:23], v[20:21]
	s_nop 1
	v_div_fmas_f64 v[10:11], v[10:11], v[12:13], v[22:23]
	v_div_fixup_f64 v[8:9], v[10:11], v[8:9], 1.0
	v_cndmask_b32_e64 v7, v7, v9, s[4:5]
	v_cndmask_b32_e64 v6, v6, v8, s[4:5]
	;; [unrolled: 1-line block ×6, first 2 shown]
	v_xor_b32_e32 v9, 0x80000000, v9
.LBB66_3:
	ds_write_b64 v1, v[8:9]
	s_cmpk_eq_i32 s8, 0x79
	v_add_u32_e32 v1, 32, v1
	s_cbranch_scc1 .LBB66_7
; %bb.4:
	s_waitcnt vmcnt(0)
	v_pk_mov_b32 v[12:13], v[6:7], v[6:7] op_sel:[0,1]
	v_cmp_eq_u32_e64 s[0:1], 2, v0
	v_pk_mov_b32 v[10:11], v[4:5], v[4:5] op_sel:[0,1]
	v_pk_mov_b32 v[8:9], v[2:3], v[2:3] op_sel:[0,1]
	ds_write_b64 v1, v[4:5]
	s_waitcnt lgkmcnt(0)
	; wave barrier
	s_waitcnt lgkmcnt(0)
	s_and_saveexec_b64 s[4:5], s[0:1]
	s_cbranch_execz .LBB66_11
; %bb.5:
	s_and_b64 vcc, exec, s[6:7]
	s_cbranch_vccz .LBB66_8
; %bb.6:
	ds_read_b64 v[8:9], v1
	v_cmp_eq_u32_e32 vcc, 1, v0
	v_cndmask_b32_e32 v10, v3, v5, vcc
	v_cmp_eq_u32_e64 s[2:3], 2, v0
	v_cndmask_b32_e64 v11, v10, v7, s[2:3]
	v_cndmask_b32_e32 v10, v2, v4, vcc
	v_cndmask_b32_e64 v10, v10, v6, s[2:3]
	s_waitcnt lgkmcnt(0)
	v_mul_f64 v[20:21], v[10:11], v[8:9]
	s_cbranch_execz .LBB66_9
	s_branch .LBB66_10
.LBB66_7:
                                        ; implicit-def: $vgpr8_vgpr9_vgpr10_vgpr11_vgpr12_vgpr13
	s_cbranch_execnz .LBB66_18
	s_branch .LBB66_33
.LBB66_8:
                                        ; implicit-def: $vgpr20_vgpr21
.LBB66_9:
	ds_read_b64 v[20:21], v1
.LBB66_10:
	v_mov_b32_e32 v8, 0
	ds_read_b64 v[22:23], v8 offset:8
	v_pk_mov_b32 v[12:13], v[6:7], v[6:7] op_sel:[0,1]
	v_pk_mov_b32 v[10:11], v[4:5], v[4:5] op_sel:[0,1]
	;; [unrolled: 1-line block ×3, first 2 shown]
	s_waitcnt lgkmcnt(0)
	v_mul_f64 v[10:11], v[20:21], v[22:23]
.LBB66_11:
	s_or_b64 exec, exec, s[4:5]
	v_cmp_ne_u32_e32 vcc, 0, v0
	ds_write_b64 v1, v[8:9]
	s_waitcnt lgkmcnt(0)
	; wave barrier
	s_waitcnt lgkmcnt(0)
	s_and_saveexec_b64 s[4:5], vcc
	s_cbranch_execz .LBB66_17
; %bb.12:
	s_andn2_b64 vcc, exec, s[6:7]
	s_cbranch_vccnz .LBB66_14
; %bb.13:
	ds_read_b64 v[20:21], v1
	v_cmp_eq_u32_e32 vcc, 1, v0
	v_cndmask_b32_e32 v9, v9, v11, vcc
	v_cmp_eq_u32_e64 s[2:3], 2, v0
	v_cndmask_b32_e32 v8, v8, v10, vcc
	v_cndmask_b32_e64 v9, v9, v13, s[2:3]
	v_cndmask_b32_e64 v8, v8, v12, s[2:3]
	s_waitcnt lgkmcnt(0)
	v_mul_f64 v[8:9], v[8:9], v[20:21]
	s_cbranch_execz .LBB66_15
	s_branch .LBB66_16
.LBB66_14:
                                        ; implicit-def: $vgpr8_vgpr9
.LBB66_15:
	ds_read_b64 v[8:9], v1
.LBB66_16:
	v_mov_b32_e32 v20, 0
	ds_read2_b64 v[20:23], v20 offset1:5
	s_waitcnt lgkmcnt(0)
	v_fma_f64 v[22:23], v[10:11], v[22:23], v[8:9]
	v_cndmask_b32_e64 v9, v9, v23, s[0:1]
	v_cndmask_b32_e64 v8, v8, v22, s[0:1]
	v_mul_f64 v[8:9], v[8:9], v[20:21]
.LBB66_17:
	s_or_b64 exec, exec, s[4:5]
	s_branch .LBB66_33
.LBB66_18:
	v_cmp_eq_u32_e64 s[0:1], 0, v0
	s_waitcnt vmcnt(2)
	ds_write_b64 v1, v[4:5]
	s_waitcnt lgkmcnt(0)
	; wave barrier
	s_waitcnt lgkmcnt(0)
	s_and_saveexec_b64 s[4:5], s[0:1]
	s_cbranch_execz .LBB66_24
; %bb.19:
	s_and_b64 vcc, exec, s[6:7]
	s_cbranch_vccz .LBB66_21
; %bb.20:
	ds_read_b64 v[8:9], v1
	v_cmp_eq_u32_e32 vcc, 1, v0
	s_waitcnt vmcnt(1)
	v_cndmask_b32_e32 v5, v3, v5, vcc
	v_cmp_eq_u32_e64 s[2:3], 2, v0
	v_cndmask_b32_e32 v4, v2, v4, vcc
	s_waitcnt vmcnt(0)
	v_cndmask_b32_e64 v5, v5, v7, s[2:3]
	v_cndmask_b32_e64 v4, v4, v6, s[2:3]
	s_waitcnt lgkmcnt(0)
	v_mul_f64 v[4:5], v[4:5], v[8:9]
	s_cbranch_execz .LBB66_22
	s_branch .LBB66_23
.LBB66_21:
                                        ; implicit-def: $vgpr4_vgpr5
.LBB66_22:
	ds_read_b64 v[4:5], v1
.LBB66_23:
	v_mov_b32_e32 v8, 0
	ds_read_b64 v[8:9], v8 offset:8
	s_waitcnt lgkmcnt(0)
	v_mul_f64 v[4:5], v[4:5], v[8:9]
.LBB66_24:
	s_or_b64 exec, exec, s[4:5]
	v_cmp_ne_u32_e32 vcc, 2, v0
	s_waitcnt vmcnt(0)
	ds_write_b64 v1, v[6:7]
	s_waitcnt lgkmcnt(0)
	; wave barrier
	s_waitcnt lgkmcnt(0)
	s_and_saveexec_b64 s[4:5], vcc
	s_cbranch_execz .LBB66_32
; %bb.25:
	s_andn2_b64 vcc, exec, s[6:7]
	s_cbranch_vccnz .LBB66_27
; %bb.26:
	ds_read_b64 v[8:9], v1
	v_cmp_eq_u32_e32 vcc, 1, v0
	v_cndmask_b32_e32 v10, v3, v5, vcc
	v_cmp_eq_u32_e64 s[2:3], 2, v0
	v_cndmask_b32_e64 v11, v10, v7, s[2:3]
	v_cndmask_b32_e32 v10, v2, v4, vcc
	v_cndmask_b32_e64 v10, v10, v6, s[2:3]
	s_waitcnt lgkmcnt(0)
	v_mul_f64 v[8:9], v[10:11], v[8:9]
	s_cbranch_execz .LBB66_28
	s_branch .LBB66_29
.LBB66_27:
                                        ; implicit-def: $vgpr8_vgpr9
.LBB66_28:
	ds_read_b64 v[8:9], v1
.LBB66_29:
	s_and_saveexec_b64 s[2:3], s[0:1]
	s_cbranch_execz .LBB66_31
; %bb.30:
	v_add_u32_e32 v10, 1, v0
	ds_read_b64 v[0:1], v1 offset:8
	v_cmp_eq_u32_e32 vcc, 1, v10
	v_cndmask_b32_e32 v11, v3, v5, vcc
	v_cmp_eq_u32_e64 s[0:1], 2, v10
	v_cndmask_b32_e32 v10, v2, v4, vcc
	v_cndmask_b32_e64 v7, v11, v7, s[0:1]
	v_cndmask_b32_e64 v6, v10, v6, s[0:1]
	s_waitcnt lgkmcnt(0)
	v_fmac_f64_e32 v[8:9], v[6:7], v[0:1]
.LBB66_31:
	s_or_b64 exec, exec, s[2:3]
	v_mov_b32_e32 v0, 0
	ds_read_b64 v[0:1], v0 offset:16
	s_waitcnt lgkmcnt(0)
	v_mul_f64 v[6:7], v[8:9], v[0:1]
.LBB66_32:
	s_or_b64 exec, exec, s[4:5]
	v_pk_mov_b32 v[12:13], v[6:7], v[6:7] op_sel:[0,1]
	v_pk_mov_b32 v[10:11], v[4:5], v[4:5] op_sel:[0,1]
	;; [unrolled: 1-line block ×3, first 2 shown]
.LBB66_33:
	global_store_dwordx2 v[14:15], v[8:9], off
	global_store_dwordx2 v[16:17], v[10:11], off
	;; [unrolled: 1-line block ×3, first 2 shown]
.LBB66_34:
	s_endpgm
	.section	.rodata,"a",@progbits
	.p2align	6, 0x0
	.amdhsa_kernel _ZN9rocsolver6v33100L18trti2_kernel_smallILi3EdPKPdEEv13rocblas_fill_17rocblas_diagonal_T1_iil
		.amdhsa_group_segment_fixed_size 56
		.amdhsa_private_segment_fixed_size 0
		.amdhsa_kernarg_size 32
		.amdhsa_user_sgpr_count 6
		.amdhsa_user_sgpr_private_segment_buffer 1
		.amdhsa_user_sgpr_dispatch_ptr 0
		.amdhsa_user_sgpr_queue_ptr 0
		.amdhsa_user_sgpr_kernarg_segment_ptr 1
		.amdhsa_user_sgpr_dispatch_id 0
		.amdhsa_user_sgpr_flat_scratch_init 0
		.amdhsa_user_sgpr_kernarg_preload_length 0
		.amdhsa_user_sgpr_kernarg_preload_offset 0
		.amdhsa_user_sgpr_private_segment_size 0
		.amdhsa_uses_dynamic_stack 0
		.amdhsa_system_sgpr_private_segment_wavefront_offset 0
		.amdhsa_system_sgpr_workgroup_id_x 1
		.amdhsa_system_sgpr_workgroup_id_y 0
		.amdhsa_system_sgpr_workgroup_id_z 0
		.amdhsa_system_sgpr_workgroup_info 0
		.amdhsa_system_vgpr_workitem_id 0
		.amdhsa_next_free_vgpr 24
		.amdhsa_next_free_sgpr 12
		.amdhsa_accum_offset 24
		.amdhsa_reserve_vcc 1
		.amdhsa_reserve_flat_scratch 0
		.amdhsa_float_round_mode_32 0
		.amdhsa_float_round_mode_16_64 0
		.amdhsa_float_denorm_mode_32 3
		.amdhsa_float_denorm_mode_16_64 3
		.amdhsa_dx10_clamp 1
		.amdhsa_ieee_mode 1
		.amdhsa_fp16_overflow 0
		.amdhsa_tg_split 0
		.amdhsa_exception_fp_ieee_invalid_op 0
		.amdhsa_exception_fp_denorm_src 0
		.amdhsa_exception_fp_ieee_div_zero 0
		.amdhsa_exception_fp_ieee_overflow 0
		.amdhsa_exception_fp_ieee_underflow 0
		.amdhsa_exception_fp_ieee_inexact 0
		.amdhsa_exception_int_div_zero 0
	.end_amdhsa_kernel
	.section	.text._ZN9rocsolver6v33100L18trti2_kernel_smallILi3EdPKPdEEv13rocblas_fill_17rocblas_diagonal_T1_iil,"axG",@progbits,_ZN9rocsolver6v33100L18trti2_kernel_smallILi3EdPKPdEEv13rocblas_fill_17rocblas_diagonal_T1_iil,comdat
.Lfunc_end66:
	.size	_ZN9rocsolver6v33100L18trti2_kernel_smallILi3EdPKPdEEv13rocblas_fill_17rocblas_diagonal_T1_iil, .Lfunc_end66-_ZN9rocsolver6v33100L18trti2_kernel_smallILi3EdPKPdEEv13rocblas_fill_17rocblas_diagonal_T1_iil
                                        ; -- End function
	.section	.AMDGPU.csdata,"",@progbits
; Kernel info:
; codeLenInByte = 1200
; NumSgprs: 16
; NumVgprs: 24
; NumAgprs: 0
; TotalNumVgprs: 24
; ScratchSize: 0
; MemoryBound: 0
; FloatMode: 240
; IeeeMode: 1
; LDSByteSize: 56 bytes/workgroup (compile time only)
; SGPRBlocks: 1
; VGPRBlocks: 2
; NumSGPRsForWavesPerEU: 16
; NumVGPRsForWavesPerEU: 24
; AccumOffset: 24
; Occupancy: 8
; WaveLimiterHint : 1
; COMPUTE_PGM_RSRC2:SCRATCH_EN: 0
; COMPUTE_PGM_RSRC2:USER_SGPR: 6
; COMPUTE_PGM_RSRC2:TRAP_HANDLER: 0
; COMPUTE_PGM_RSRC2:TGID_X_EN: 1
; COMPUTE_PGM_RSRC2:TGID_Y_EN: 0
; COMPUTE_PGM_RSRC2:TGID_Z_EN: 0
; COMPUTE_PGM_RSRC2:TIDIG_COMP_CNT: 0
; COMPUTE_PGM_RSRC3_GFX90A:ACCUM_OFFSET: 5
; COMPUTE_PGM_RSRC3_GFX90A:TG_SPLIT: 0
	.section	.text._ZN9rocsolver6v33100L18trti2_kernel_smallILi4EdPKPdEEv13rocblas_fill_17rocblas_diagonal_T1_iil,"axG",@progbits,_ZN9rocsolver6v33100L18trti2_kernel_smallILi4EdPKPdEEv13rocblas_fill_17rocblas_diagonal_T1_iil,comdat
	.globl	_ZN9rocsolver6v33100L18trti2_kernel_smallILi4EdPKPdEEv13rocblas_fill_17rocblas_diagonal_T1_iil ; -- Begin function _ZN9rocsolver6v33100L18trti2_kernel_smallILi4EdPKPdEEv13rocblas_fill_17rocblas_diagonal_T1_iil
	.p2align	8
	.type	_ZN9rocsolver6v33100L18trti2_kernel_smallILi4EdPKPdEEv13rocblas_fill_17rocblas_diagonal_T1_iil,@function
_ZN9rocsolver6v33100L18trti2_kernel_smallILi4EdPKPdEEv13rocblas_fill_17rocblas_diagonal_T1_iil: ; @_ZN9rocsolver6v33100L18trti2_kernel_smallILi4EdPKPdEEv13rocblas_fill_17rocblas_diagonal_T1_iil
; %bb.0:
	v_cmp_gt_u32_e32 vcc, 4, v0
	s_and_saveexec_b64 s[0:1], vcc
	s_cbranch_execz .LBB67_58
; %bb.1:
	s_load_dwordx2 s[0:1], s[4:5], 0x10
	s_load_dwordx4 s[8:11], s[4:5], 0x0
	s_ashr_i32 s7, s6, 31
	s_lshl_b64 s[2:3], s[6:7], 3
	v_lshlrev_b32_e32 v1, 3, v0
	s_waitcnt lgkmcnt(0)
	s_ashr_i32 s5, s0, 31
	s_add_u32 s2, s10, s2
	s_addc_u32 s3, s11, s3
	s_load_dwordx2 s[2:3], s[2:3], 0x0
	s_mov_b32 s4, s0
	s_lshl_b64 s[4:5], s[4:5], 3
	v_mov_b32_e32 v10, 0
	v_mov_b32_e32 v11, 0xbff00000
	s_waitcnt lgkmcnt(0)
	s_add_u32 s2, s2, s4
	s_addc_u32 s3, s3, s5
	v_mov_b32_e32 v2, s3
	v_add_co_u32_e32 v18, vcc, s2, v1
	s_ashr_i32 s5, s1, 31
	s_mov_b32 s4, s1
	v_addc_co_u32_e32 v19, vcc, 0, v2, vcc
	s_lshl_b64 s[4:5], s[4:5], 3
	v_mov_b32_e32 v2, s5
	v_add_co_u32_e32 v20, vcc, s4, v18
	s_add_i32 s0, s1, s1
	v_addc_co_u32_e32 v21, vcc, v19, v2, vcc
	v_add_u32_e32 v2, s0, v0
	v_ashrrev_i32_e32 v3, 31, v2
	v_lshlrev_b64 v[4:5], 3, v[2:3]
	v_mov_b32_e32 v3, s3
	v_add_co_u32_e32 v22, vcc, s2, v4
	v_add_u32_e32 v2, s1, v2
	v_addc_co_u32_e32 v23, vcc, v3, v5, vcc
	v_ashrrev_i32_e32 v3, 31, v2
	v_lshlrev_b64 v[2:3], 3, v[2:3]
	v_mov_b32_e32 v8, s3
	v_add_co_u32_e32 v24, vcc, s2, v2
	global_load_dwordx2 v[4:5], v[20:21], off
	global_load_dwordx2 v[6:7], v[22:23], off
	v_addc_co_u32_e32 v25, vcc, v8, v3, vcc
	global_load_dwordx2 v[2:3], v1, s[2:3]
	global_load_dwordx2 v[8:9], v[24:25], off
	s_cmpk_lg_i32 s9, 0x84
	s_cselect_b64 s[10:11], -1, 0
	s_cmpk_eq_i32 s9, 0x84
	v_cmp_eq_u32_e64 s[0:1], 0, v0
	s_cbranch_scc1 .LBB67_3
; %bb.2:
	v_cmp_eq_u32_e64 s[2:3], 1, v0
	s_waitcnt vmcnt(1)
	v_cndmask_b32_e64 v10, v3, v5, s[2:3]
	v_cmp_eq_u32_e64 s[4:5], 2, v0
	v_cndmask_b32_e64 v10, v10, v7, s[4:5]
	v_cmp_eq_u32_e64 s[6:7], 3, v0
	s_waitcnt vmcnt(0)
	v_cndmask_b32_e64 v11, v10, v9, s[6:7]
	v_cndmask_b32_e64 v10, v2, v4, s[2:3]
	;; [unrolled: 1-line block ×4, first 2 shown]
	v_div_scale_f64 v[12:13], s[12:13], v[10:11], v[10:11], 1.0
	v_rcp_f64_e32 v[14:15], v[12:13]
	v_fma_f64 v[16:17], -v[12:13], v[14:15], 1.0
	v_fmac_f64_e32 v[14:15], v[14:15], v[16:17]
	v_fma_f64 v[16:17], -v[12:13], v[14:15], 1.0
	v_fmac_f64_e32 v[14:15], v[14:15], v[16:17]
	v_div_scale_f64 v[16:17], vcc, 1.0, v[10:11], 1.0
	v_mul_f64 v[26:27], v[16:17], v[14:15]
	v_fma_f64 v[12:13], -v[12:13], v[26:27], v[16:17]
	s_nop 1
	v_div_fmas_f64 v[12:13], v[12:13], v[14:15], v[26:27]
	v_div_fixup_f64 v[10:11], v[12:13], v[10:11], 1.0
	v_cndmask_b32_e64 v9, v9, v11, s[6:7]
	v_cndmask_b32_e64 v8, v8, v10, s[6:7]
	;; [unrolled: 1-line block ×8, first 2 shown]
	v_xor_b32_e32 v11, 0x80000000, v11
.LBB67_3:
	s_cmpk_eq_i32 s8, 0x79
	v_add_u32_e32 v29, 32, v1
	ds_write_b64 v1, v[10:11]
	s_cbranch_scc1 .LBB67_7
; %bb.4:
	s_waitcnt vmcnt(0)
	v_pk_mov_b32 v[16:17], v[8:9], v[8:9] op_sel:[0,1]
	v_cmp_eq_u32_e64 s[2:3], 3, v0
	v_pk_mov_b32 v[14:15], v[6:7], v[6:7] op_sel:[0,1]
	v_pk_mov_b32 v[12:13], v[4:5], v[4:5] op_sel:[0,1]
	;; [unrolled: 1-line block ×3, first 2 shown]
	ds_write_b64 v29, v[6:7]
	s_waitcnt lgkmcnt(0)
	; wave barrier
	s_waitcnt lgkmcnt(0)
	s_and_saveexec_b64 s[6:7], s[2:3]
	s_cbranch_execz .LBB67_11
; %bb.5:
	s_and_b64 vcc, exec, s[10:11]
	s_cbranch_vccz .LBB67_8
; %bb.6:
	v_cmp_eq_u32_e32 vcc, 1, v0
	v_cndmask_b32_e32 v1, v3, v5, vcc
	v_cmp_eq_u32_e64 s[0:1], 2, v0
	ds_read_b64 v[10:11], v29
	v_cndmask_b32_e64 v1, v1, v7, s[0:1]
	v_cmp_eq_u32_e64 s[4:5], 3, v0
	v_cndmask_b32_e64 v13, v1, v9, s[4:5]
	v_cndmask_b32_e32 v1, v2, v4, vcc
	v_cndmask_b32_e64 v1, v1, v6, s[0:1]
	v_cndmask_b32_e64 v12, v1, v8, s[4:5]
	s_waitcnt lgkmcnt(0)
	v_mul_f64 v[26:27], v[12:13], v[10:11]
	s_cbranch_execz .LBB67_9
	s_branch .LBB67_10
.LBB67_7:
                                        ; implicit-def: $vgpr10_vgpr11_vgpr12_vgpr13_vgpr14_vgpr15_vgpr16_vgpr17
	s_cbranch_execnz .LBB67_34
	s_branch .LBB67_57
.LBB67_8:
                                        ; implicit-def: $vgpr26_vgpr27
.LBB67_9:
	ds_read_b64 v[26:27], v29
.LBB67_10:
	v_mov_b32_e32 v1, 0
	ds_read_b64 v[30:31], v1 offset:16
	v_pk_mov_b32 v[16:17], v[8:9], v[8:9] op_sel:[0,1]
	v_pk_mov_b32 v[14:15], v[6:7], v[6:7] op_sel:[0,1]
	;; [unrolled: 1-line block ×4, first 2 shown]
	s_waitcnt lgkmcnt(0)
	v_mul_f64 v[14:15], v[26:27], v[30:31]
.LBB67_11:
	s_or_b64 exec, exec, s[6:7]
	v_cmp_lt_u32_e64 s[0:1], 1, v0
	ds_write_b64 v29, v[12:13]
	s_waitcnt lgkmcnt(0)
	; wave barrier
	s_waitcnt lgkmcnt(0)
	s_and_saveexec_b64 s[8:9], s[0:1]
	s_cbranch_execz .LBB67_17
; %bb.12:
	s_andn2_b64 vcc, exec, s[10:11]
	s_cbranch_vccnz .LBB67_14
; %bb.13:
	v_cmp_eq_u32_e32 vcc, 1, v0
	v_cndmask_b32_e32 v1, v11, v13, vcc
	v_cmp_eq_u32_e64 s[4:5], 2, v0
	ds_read_b64 v[26:27], v29
	v_cndmask_b32_e64 v1, v1, v15, s[4:5]
	v_cmp_eq_u32_e64 s[6:7], 3, v0
	v_cndmask_b32_e64 v13, v1, v17, s[6:7]
	v_cndmask_b32_e32 v1, v10, v12, vcc
	v_cndmask_b32_e64 v1, v1, v14, s[4:5]
	v_cndmask_b32_e64 v12, v1, v16, s[6:7]
	s_waitcnt lgkmcnt(0)
	v_mul_f64 v[12:13], v[12:13], v[26:27]
	s_cbranch_execz .LBB67_15
	s_branch .LBB67_16
.LBB67_14:
                                        ; implicit-def: $vgpr12_vgpr13
.LBB67_15:
	ds_read_b64 v[12:13], v29
.LBB67_16:
	v_mov_b32_e32 v1, 0
	ds_read2_b64 v[30:33], v1 offset0:1 offset1:6
	s_waitcnt lgkmcnt(0)
	v_fma_f64 v[26:27], v[14:15], v[32:33], v[12:13]
	v_cndmask_b32_e64 v13, v13, v27, s[2:3]
	v_cndmask_b32_e64 v12, v12, v26, s[2:3]
	v_mul_f64 v[12:13], v[12:13], v[30:31]
.LBB67_17:
	s_or_b64 exec, exec, s[8:9]
	v_cmp_ne_u32_e32 vcc, 0, v0
	ds_write_b64 v29, v[10:11]
	s_waitcnt lgkmcnt(0)
	; wave barrier
	s_waitcnt lgkmcnt(0)
	s_and_saveexec_b64 s[6:7], vcc
	s_cbranch_execz .LBB67_33
; %bb.18:
	s_andn2_b64 vcc, exec, s[10:11]
	s_cbranch_vccnz .LBB67_20
; %bb.19:
	v_cmp_eq_u32_e32 vcc, 1, v0
	v_cndmask_b32_e32 v1, v11, v13, vcc
	v_cmp_eq_u32_e64 s[2:3], 2, v0
	ds_read_b64 v[26:27], v29
	v_cndmask_b32_e64 v1, v1, v15, s[2:3]
	v_cmp_eq_u32_e64 s[4:5], 3, v0
	v_cndmask_b32_e64 v31, v1, v17, s[4:5]
	v_cndmask_b32_e32 v1, v10, v12, vcc
	v_cndmask_b32_e64 v1, v1, v14, s[2:3]
	v_cndmask_b32_e64 v30, v1, v16, s[4:5]
	s_waitcnt lgkmcnt(0)
	v_mul_f64 v[26:27], v[30:31], v[26:27]
	s_cbranch_execz .LBB67_21
	s_branch .LBB67_22
.LBB67_20:
                                        ; implicit-def: $vgpr26_vgpr27
.LBB67_21:
	ds_read_b64 v[26:27], v29
.LBB67_22:
	s_and_saveexec_b64 s[4:5], s[0:1]
	s_cbranch_execz .LBB67_32
; %bb.23:
	v_add_u32_e32 v28, -2, v0
	v_add_u32_e32 v1, -1, v0
	v_cmp_lt_u32_e32 vcc, 6, v28
	v_mov_b32_e32 v30, 1
	s_and_saveexec_b64 s[2:3], vcc
	s_cbranch_execz .LBB67_27
; %bb.24:
	v_and_b32_e32 v28, -8, v1
	v_sub_u32_e32 v28, 0, v28
	s_mov_b64 s[8:9], 8
	s_mov_b32 s14, 40
	s_mov_b64 s[12:13], 0
.LBB67_25:                              ; =>This Inner Loop Header: Depth=1
	s_add_i32 s15, s8, -7
	s_cmp_eq_u32 s15, 1
	s_cselect_b64 vcc, -1, 0
	s_cmp_eq_u32 s15, 2
	v_cndmask_b32_e32 v46, v11, v13, vcc
	s_cselect_b64 s[0:1], -1, 0
	s_cmp_eq_u32 s15, 3
	v_mov_b32_e32 v42, s14
	v_cndmask_b32_e64 v46, v46, v15, s[0:1]
	v_cndmask_b32_e32 v48, v10, v12, vcc
	s_cselect_b64 vcc, -1, 0
	s_add_i32 s15, s8, -6
	ds_read2_b64 v[30:33], v42 offset1:1
	ds_read2_b64 v[34:37], v42 offset0:2 offset1:3
	ds_read2_b64 v[38:41], v42 offset0:4 offset1:5
	ds_read2_b64 v[42:45], v42 offset0:6 offset1:7
	v_cndmask_b32_e32 v47, v46, v17, vcc
	v_cndmask_b32_e64 v46, v48, v14, s[0:1]
	s_cmp_eq_u32 s15, 1
	v_cndmask_b32_e32 v46, v46, v16, vcc
	s_cselect_b64 vcc, -1, 0
	s_cmp_eq_u32 s15, 2
	s_waitcnt lgkmcnt(3)
	v_fmac_f64_e32 v[26:27], v[46:47], v[30:31]
	v_cndmask_b32_e32 v30, v11, v13, vcc
	s_cselect_b64 s[0:1], -1, 0
	s_cmp_eq_u32 s15, 3
	v_cndmask_b32_e64 v30, v30, v15, s[0:1]
	v_cndmask_b32_e32 v46, v10, v12, vcc
	s_cselect_b64 vcc, -1, 0
	s_add_i32 s15, s8, -5
	v_cndmask_b32_e32 v31, v30, v17, vcc
	v_cndmask_b32_e64 v30, v46, v14, s[0:1]
	s_cmp_eq_u32 s15, 1
	v_cndmask_b32_e32 v30, v30, v16, vcc
	s_cselect_b64 vcc, -1, 0
	s_cmp_eq_u32 s15, 2
	v_fmac_f64_e32 v[26:27], v[30:31], v[32:33]
	v_cndmask_b32_e32 v30, v11, v13, vcc
	s_cselect_b64 s[0:1], -1, 0
	s_cmp_eq_u32 s15, 3
	v_cndmask_b32_e64 v30, v30, v15, s[0:1]
	v_cndmask_b32_e32 v32, v10, v12, vcc
	s_cselect_b64 vcc, -1, 0
	s_add_i32 s15, s8, -4
	v_cndmask_b32_e32 v31, v30, v17, vcc
	v_cndmask_b32_e64 v30, v32, v14, s[0:1]
	s_cmp_eq_u32 s15, 1
	v_cndmask_b32_e32 v30, v30, v16, vcc
	s_cselect_b64 vcc, -1, 0
	s_cmp_eq_u32 s15, 2
	s_waitcnt lgkmcnt(2)
	v_fmac_f64_e32 v[26:27], v[30:31], v[34:35]
	v_cndmask_b32_e32 v30, v11, v13, vcc
	s_cselect_b64 s[0:1], -1, 0
	s_cmp_eq_u32 s15, 3
	v_cndmask_b32_e64 v30, v30, v15, s[0:1]
	v_cndmask_b32_e32 v32, v10, v12, vcc
	s_cselect_b64 vcc, -1, 0
	s_add_i32 s15, s8, -3
	v_cndmask_b32_e32 v31, v30, v17, vcc
	v_cndmask_b32_e64 v30, v32, v14, s[0:1]
	s_cmp_eq_u32 s15, 1
	v_cndmask_b32_e32 v30, v30, v16, vcc
	s_cselect_b64 vcc, -1, 0
	s_cmp_eq_u32 s15, 2
	v_fmac_f64_e32 v[26:27], v[30:31], v[36:37]
	v_cndmask_b32_e32 v30, v11, v13, vcc
	s_cselect_b64 s[0:1], -1, 0
	s_cmp_eq_u32 s15, 3
	v_cndmask_b32_e64 v30, v30, v15, s[0:1]
	v_cndmask_b32_e32 v32, v10, v12, vcc
	s_cselect_b64 vcc, -1, 0
	s_add_i32 s15, s8, -2
	v_cndmask_b32_e32 v31, v30, v17, vcc
	v_cndmask_b32_e64 v30, v32, v14, s[0:1]
	s_cmp_eq_u32 s15, 1
	v_cndmask_b32_e32 v30, v30, v16, vcc
	s_cselect_b64 vcc, -1, 0
	s_cmp_eq_u32 s15, 2
	s_waitcnt lgkmcnt(1)
	v_fmac_f64_e32 v[26:27], v[30:31], v[38:39]
	v_cndmask_b32_e32 v30, v11, v13, vcc
	s_cselect_b64 s[0:1], -1, 0
	s_cmp_eq_u32 s15, 3
	v_cndmask_b32_e64 v30, v30, v15, s[0:1]
	v_cndmask_b32_e32 v32, v10, v12, vcc
	s_cselect_b64 vcc, -1, 0
	s_add_i32 s15, s8, -1
	v_cndmask_b32_e32 v31, v30, v17, vcc
	v_cndmask_b32_e64 v30, v32, v14, s[0:1]
	s_cmp_eq_u32 s15, 1
	v_cndmask_b32_e32 v30, v30, v16, vcc
	s_cselect_b64 vcc, -1, 0
	s_cmp_eq_u32 s15, 2
	v_fmac_f64_e32 v[26:27], v[30:31], v[40:41]
	v_cndmask_b32_e32 v30, v11, v13, vcc
	s_cselect_b64 s[0:1], -1, 0
	s_cmp_eq_u32 s15, 3
	v_cndmask_b32_e64 v30, v30, v15, s[0:1]
	v_cndmask_b32_e32 v32, v10, v12, vcc
	s_cselect_b64 vcc, -1, 0
	v_cndmask_b32_e32 v31, v30, v17, vcc
	v_cndmask_b32_e64 v30, v32, v14, s[0:1]
	s_cmp_eq_u32 s8, 1
	v_cndmask_b32_e32 v30, v30, v16, vcc
	s_cselect_b64 vcc, -1, 0
	s_cmp_eq_u32 s8, 2
	v_cndmask_b32_e32 v32, v11, v13, vcc
	s_cselect_b64 s[0:1], -1, 0
	s_cmp_eq_u32 s8, 3
	s_waitcnt lgkmcnt(0)
	v_fmac_f64_e32 v[26:27], v[30:31], v[42:43]
	v_cndmask_b32_e64 v30, v32, v15, s[0:1]
	v_cndmask_b32_e32 v32, v10, v12, vcc
	s_cselect_b64 vcc, -1, 0
	s_add_u32 s8, s8, 8
	v_cndmask_b32_e32 v31, v30, v17, vcc
	v_cndmask_b32_e64 v30, v32, v14, s[0:1]
	v_add_u32_e32 v32, s8, v28
	v_cndmask_b32_e32 v30, v30, v16, vcc
	s_addc_u32 s9, s9, 0
	s_add_i32 s14, s14, 64
	s_add_i32 s0, s8, -7
	v_cmp_eq_u32_e32 vcc, 8, v32
	v_fmac_f64_e32 v[26:27], v[30:31], v[44:45]
	s_or_b64 s[12:13], vcc, s[12:13]
	v_mov_b32_e32 v30, s0
	s_andn2_b64 exec, exec, s[12:13]
	s_cbranch_execnz .LBB67_25
; %bb.26:
	s_or_b64 exec, exec, s[12:13]
.LBB67_27:
	s_or_b64 exec, exec, s[2:3]
	v_and_b32_e32 v28, 7, v1
	v_cmp_ne_u32_e32 vcc, 0, v28
	s_and_saveexec_b64 s[8:9], vcc
	s_cbranch_execz .LBB67_31
; %bb.28:
	v_lshl_add_u32 v31, v30, 3, 32
	v_mov_b32_e32 v1, 0
	s_mov_b64 s[12:13], 0
.LBB67_29:                              ; =>This Inner Loop Header: Depth=1
	v_cmp_eq_u32_e32 vcc, 1, v30
	ds_read_b64 v[32:33], v31
	v_cndmask_b32_e32 v34, v11, v13, vcc
	v_cmp_eq_u32_e64 s[0:1], 2, v30
	v_cndmask_b32_e64 v34, v34, v15, s[0:1]
	v_cmp_eq_u32_e64 s[2:3], 3, v30
	v_cndmask_b32_e32 v36, v10, v12, vcc
	v_add_co_u32_e32 v30, vcc, 1, v30
	v_add_u32_e32 v28, -1, v28
	v_addc_co_u32_e32 v1, vcc, 0, v1, vcc
	v_cndmask_b32_e64 v35, v34, v17, s[2:3]
	v_cndmask_b32_e64 v34, v36, v14, s[0:1]
	v_cmp_eq_u32_e32 vcc, 0, v28
	v_cndmask_b32_e64 v34, v34, v16, s[2:3]
	v_add_u32_e32 v31, 8, v31
	s_or_b64 s[12:13], vcc, s[12:13]
	s_waitcnt lgkmcnt(0)
	v_fmac_f64_e32 v[26:27], v[34:35], v[32:33]
	s_andn2_b64 exec, exec, s[12:13]
	s_cbranch_execnz .LBB67_29
; %bb.30:
	s_or_b64 exec, exec, s[12:13]
.LBB67_31:
	s_or_b64 exec, exec, s[8:9]
.LBB67_32:
	s_or_b64 exec, exec, s[4:5]
	v_mov_b32_e32 v1, 0
	ds_read_b64 v[10:11], v1
	s_waitcnt lgkmcnt(0)
	v_mul_f64 v[10:11], v[26:27], v[10:11]
.LBB67_33:
	s_or_b64 exec, exec, s[6:7]
	s_branch .LBB67_57
.LBB67_34:
	v_cmp_eq_u32_e64 s[0:1], 0, v0
	s_waitcnt vmcnt(3)
	ds_write_b64 v29, v[4:5]
	s_waitcnt lgkmcnt(0)
	; wave barrier
	s_waitcnt lgkmcnt(0)
	s_and_saveexec_b64 s[6:7], s[0:1]
	s_cbranch_execz .LBB67_40
; %bb.35:
	s_and_b64 vcc, exec, s[10:11]
	s_cbranch_vccz .LBB67_37
; %bb.36:
	v_cmp_eq_u32_e32 vcc, 1, v0
	s_waitcnt vmcnt(1)
	v_cndmask_b32_e32 v1, v3, v5, vcc
	v_cmp_eq_u32_e64 s[2:3], 2, v0
	ds_read_b64 v[10:11], v29
	v_cndmask_b32_e64 v1, v1, v7, s[2:3]
	v_cmp_eq_u32_e64 s[4:5], 3, v0
	s_waitcnt vmcnt(0)
	v_cndmask_b32_e64 v5, v1, v9, s[4:5]
	v_cndmask_b32_e32 v1, v2, v4, vcc
	v_cndmask_b32_e64 v1, v1, v6, s[2:3]
	v_cndmask_b32_e64 v4, v1, v8, s[4:5]
	s_waitcnt lgkmcnt(0)
	v_mul_f64 v[4:5], v[4:5], v[10:11]
	s_cbranch_execz .LBB67_38
	s_branch .LBB67_39
.LBB67_37:
                                        ; implicit-def: $vgpr4_vgpr5
.LBB67_38:
	ds_read_b64 v[4:5], v29
.LBB67_39:
	v_mov_b32_e32 v1, 0
	ds_read_b64 v[10:11], v1 offset:8
	s_waitcnt lgkmcnt(0)
	v_mul_f64 v[4:5], v[4:5], v[10:11]
.LBB67_40:
	s_or_b64 exec, exec, s[6:7]
	v_cndmask_b32_e64 v1, 0, 1, s[10:11]
	v_add_u32_e32 v12, 1, v0
	v_cmp_gt_u32_e64 s[2:3], 2, v0
	v_cmp_ne_u32_e64 s[4:5], 1, v1
	s_waitcnt vmcnt(2)
	ds_write_b64 v29, v[6:7]
	s_waitcnt lgkmcnt(0)
	; wave barrier
	s_waitcnt lgkmcnt(0)
	s_and_saveexec_b64 s[10:11], s[2:3]
	s_cbranch_execz .LBB67_48
; %bb.41:
	s_and_b64 vcc, exec, s[4:5]
	s_cbranch_vccnz .LBB67_43
; %bb.42:
	v_cmp_eq_u32_e32 vcc, 1, v0
	s_waitcnt vmcnt(1)
	v_cndmask_b32_e32 v1, v3, v5, vcc
	v_cmp_eq_u32_e64 s[6:7], 2, v0
	ds_read_b64 v[10:11], v29
	v_cndmask_b32_e64 v1, v1, v7, s[6:7]
	v_cmp_eq_u32_e64 s[8:9], 3, v0
	s_waitcnt vmcnt(0)
	v_cndmask_b32_e64 v15, v1, v9, s[8:9]
	v_cndmask_b32_e32 v1, v2, v4, vcc
	v_cndmask_b32_e64 v1, v1, v6, s[6:7]
	v_cndmask_b32_e64 v14, v1, v8, s[8:9]
	s_waitcnt lgkmcnt(0)
	v_mul_f64 v[10:11], v[14:15], v[10:11]
	s_cbranch_execz .LBB67_44
	s_branch .LBB67_45
.LBB67_43:
                                        ; implicit-def: $vgpr10_vgpr11
.LBB67_44:
	ds_read_b64 v[10:11], v29
.LBB67_45:
	s_and_saveexec_b64 s[12:13], s[0:1]
	s_cbranch_execz .LBB67_47
; %bb.46:
	v_cmp_eq_u32_e32 vcc, 1, v12
	s_waitcnt vmcnt(1)
	v_cndmask_b32_e32 v1, v3, v5, vcc
	v_cmp_eq_u32_e64 s[6:7], 2, v12
	ds_read_b64 v[14:15], v29 offset:8
	v_cndmask_b32_e64 v1, v1, v7, s[6:7]
	v_cmp_eq_u32_e64 s[8:9], 3, v12
	s_waitcnt vmcnt(0)
	v_cndmask_b32_e64 v7, v1, v9, s[8:9]
	v_cndmask_b32_e32 v1, v2, v4, vcc
	v_cndmask_b32_e64 v1, v1, v6, s[6:7]
	v_cndmask_b32_e64 v6, v1, v8, s[8:9]
	s_waitcnt lgkmcnt(0)
	v_fmac_f64_e32 v[10:11], v[6:7], v[14:15]
.LBB67_47:
	s_or_b64 exec, exec, s[12:13]
	v_mov_b32_e32 v1, 0
	ds_read_b64 v[6:7], v1 offset:16
	s_waitcnt lgkmcnt(0)
	v_mul_f64 v[6:7], v[10:11], v[6:7]
.LBB67_48:
	s_or_b64 exec, exec, s[10:11]
	v_cmp_ne_u32_e32 vcc, 3, v0
	s_waitcnt vmcnt(0)
	ds_write_b64 v29, v[8:9]
	s_waitcnt lgkmcnt(0)
	; wave barrier
	s_waitcnt lgkmcnt(0)
	s_and_saveexec_b64 s[8:9], vcc
	s_cbranch_execz .LBB67_56
; %bb.49:
	s_and_b64 vcc, exec, s[4:5]
	s_cbranch_vccnz .LBB67_51
; %bb.50:
	ds_read_b64 v[10:11], v29
	v_cmp_eq_u32_e32 vcc, 1, v0
	v_cndmask_b32_e32 v1, v3, v5, vcc
	v_cmp_eq_u32_e64 s[4:5], 2, v0
	v_cmp_eq_u32_e64 s[6:7], 3, v0
	v_cndmask_b32_e32 v0, v2, v4, vcc
	v_cndmask_b32_e64 v1, v1, v7, s[4:5]
	v_cndmask_b32_e64 v0, v0, v6, s[4:5]
	;; [unrolled: 1-line block ×4, first 2 shown]
	s_waitcnt lgkmcnt(0)
	v_mul_f64 v[0:1], v[0:1], v[10:11]
	s_cbranch_execz .LBB67_52
	s_branch .LBB67_53
.LBB67_51:
                                        ; implicit-def: $vgpr0_vgpr1
.LBB67_52:
	ds_read_b64 v[0:1], v29
.LBB67_53:
	s_and_saveexec_b64 s[6:7], s[2:3]
	s_cbranch_execz .LBB67_55
; %bb.54:
	v_cmp_eq_u32_e32 vcc, 1, v12
	v_cndmask_b32_e32 v10, v3, v5, vcc
	v_cmp_eq_u32_e64 s[2:3], 2, v12
	v_cndmask_b32_e64 v10, v10, v7, s[2:3]
	v_cmp_eq_u32_e64 s[4:5], 3, v12
	v_mov_b32_e32 v12, 0
	v_cndmask_b32_e64 v9, v10, v9, s[4:5]
	ds_read_b64 v[10:11], v29 offset:8
	ds_read_b64 v[12:13], v12 offset:48
	v_cndmask_b32_e32 v14, v2, v4, vcc
	v_cndmask_b32_e64 v14, v14, v6, s[2:3]
	v_cndmask_b32_e64 v8, v14, v8, s[4:5]
	s_waitcnt lgkmcnt(1)
	v_fmac_f64_e32 v[0:1], v[8:9], v[10:11]
	s_waitcnt lgkmcnt(0)
	v_fma_f64 v[8:9], v[6:7], v[12:13], v[0:1]
	v_cndmask_b32_e64 v1, v1, v9, s[0:1]
	v_cndmask_b32_e64 v0, v0, v8, s[0:1]
.LBB67_55:
	s_or_b64 exec, exec, s[6:7]
	v_mov_b32_e32 v8, 0
	ds_read_b64 v[8:9], v8 offset:24
	s_waitcnt lgkmcnt(0)
	v_mul_f64 v[8:9], v[0:1], v[8:9]
.LBB67_56:
	s_or_b64 exec, exec, s[8:9]
	v_pk_mov_b32 v[16:17], v[8:9], v[8:9] op_sel:[0,1]
	v_pk_mov_b32 v[14:15], v[6:7], v[6:7] op_sel:[0,1]
	;; [unrolled: 1-line block ×4, first 2 shown]
.LBB67_57:
	global_store_dwordx2 v[18:19], v[10:11], off
	global_store_dwordx2 v[20:21], v[12:13], off
	global_store_dwordx2 v[22:23], v[14:15], off
	global_store_dwordx2 v[24:25], v[16:17], off
.LBB67_58:
	s_endpgm
	.section	.rodata,"a",@progbits
	.p2align	6, 0x0
	.amdhsa_kernel _ZN9rocsolver6v33100L18trti2_kernel_smallILi4EdPKPdEEv13rocblas_fill_17rocblas_diagonal_T1_iil
		.amdhsa_group_segment_fixed_size 64
		.amdhsa_private_segment_fixed_size 0
		.amdhsa_kernarg_size 32
		.amdhsa_user_sgpr_count 6
		.amdhsa_user_sgpr_private_segment_buffer 1
		.amdhsa_user_sgpr_dispatch_ptr 0
		.amdhsa_user_sgpr_queue_ptr 0
		.amdhsa_user_sgpr_kernarg_segment_ptr 1
		.amdhsa_user_sgpr_dispatch_id 0
		.amdhsa_user_sgpr_flat_scratch_init 0
		.amdhsa_user_sgpr_kernarg_preload_length 0
		.amdhsa_user_sgpr_kernarg_preload_offset 0
		.amdhsa_user_sgpr_private_segment_size 0
		.amdhsa_uses_dynamic_stack 0
		.amdhsa_system_sgpr_private_segment_wavefront_offset 0
		.amdhsa_system_sgpr_workgroup_id_x 1
		.amdhsa_system_sgpr_workgroup_id_y 0
		.amdhsa_system_sgpr_workgroup_id_z 0
		.amdhsa_system_sgpr_workgroup_info 0
		.amdhsa_system_vgpr_workitem_id 0
		.amdhsa_next_free_vgpr 49
		.amdhsa_next_free_sgpr 16
		.amdhsa_accum_offset 52
		.amdhsa_reserve_vcc 1
		.amdhsa_reserve_flat_scratch 0
		.amdhsa_float_round_mode_32 0
		.amdhsa_float_round_mode_16_64 0
		.amdhsa_float_denorm_mode_32 3
		.amdhsa_float_denorm_mode_16_64 3
		.amdhsa_dx10_clamp 1
		.amdhsa_ieee_mode 1
		.amdhsa_fp16_overflow 0
		.amdhsa_tg_split 0
		.amdhsa_exception_fp_ieee_invalid_op 0
		.amdhsa_exception_fp_denorm_src 0
		.amdhsa_exception_fp_ieee_div_zero 0
		.amdhsa_exception_fp_ieee_overflow 0
		.amdhsa_exception_fp_ieee_underflow 0
		.amdhsa_exception_fp_ieee_inexact 0
		.amdhsa_exception_int_div_zero 0
	.end_amdhsa_kernel
	.section	.text._ZN9rocsolver6v33100L18trti2_kernel_smallILi4EdPKPdEEv13rocblas_fill_17rocblas_diagonal_T1_iil,"axG",@progbits,_ZN9rocsolver6v33100L18trti2_kernel_smallILi4EdPKPdEEv13rocblas_fill_17rocblas_diagonal_T1_iil,comdat
.Lfunc_end67:
	.size	_ZN9rocsolver6v33100L18trti2_kernel_smallILi4EdPKPdEEv13rocblas_fill_17rocblas_diagonal_T1_iil, .Lfunc_end67-_ZN9rocsolver6v33100L18trti2_kernel_smallILi4EdPKPdEEv13rocblas_fill_17rocblas_diagonal_T1_iil
                                        ; -- End function
	.section	.AMDGPU.csdata,"",@progbits
; Kernel info:
; codeLenInByte = 2732
; NumSgprs: 20
; NumVgprs: 49
; NumAgprs: 0
; TotalNumVgprs: 49
; ScratchSize: 0
; MemoryBound: 0
; FloatMode: 240
; IeeeMode: 1
; LDSByteSize: 64 bytes/workgroup (compile time only)
; SGPRBlocks: 2
; VGPRBlocks: 6
; NumSGPRsForWavesPerEU: 20
; NumVGPRsForWavesPerEU: 49
; AccumOffset: 52
; Occupancy: 8
; WaveLimiterHint : 1
; COMPUTE_PGM_RSRC2:SCRATCH_EN: 0
; COMPUTE_PGM_RSRC2:USER_SGPR: 6
; COMPUTE_PGM_RSRC2:TRAP_HANDLER: 0
; COMPUTE_PGM_RSRC2:TGID_X_EN: 1
; COMPUTE_PGM_RSRC2:TGID_Y_EN: 0
; COMPUTE_PGM_RSRC2:TGID_Z_EN: 0
; COMPUTE_PGM_RSRC2:TIDIG_COMP_CNT: 0
; COMPUTE_PGM_RSRC3_GFX90A:ACCUM_OFFSET: 12
; COMPUTE_PGM_RSRC3_GFX90A:TG_SPLIT: 0
	.section	.text._ZN9rocsolver6v33100L18trti2_kernel_smallILi5EdPKPdEEv13rocblas_fill_17rocblas_diagonal_T1_iil,"axG",@progbits,_ZN9rocsolver6v33100L18trti2_kernel_smallILi5EdPKPdEEv13rocblas_fill_17rocblas_diagonal_T1_iil,comdat
	.globl	_ZN9rocsolver6v33100L18trti2_kernel_smallILi5EdPKPdEEv13rocblas_fill_17rocblas_diagonal_T1_iil ; -- Begin function _ZN9rocsolver6v33100L18trti2_kernel_smallILi5EdPKPdEEv13rocblas_fill_17rocblas_diagonal_T1_iil
	.p2align	8
	.type	_ZN9rocsolver6v33100L18trti2_kernel_smallILi5EdPKPdEEv13rocblas_fill_17rocblas_diagonal_T1_iil,@function
_ZN9rocsolver6v33100L18trti2_kernel_smallILi5EdPKPdEEv13rocblas_fill_17rocblas_diagonal_T1_iil: ; @_ZN9rocsolver6v33100L18trti2_kernel_smallILi5EdPKPdEEv13rocblas_fill_17rocblas_diagonal_T1_iil
; %bb.0:
	v_cmp_gt_u32_e32 vcc, 5, v0
	s_and_saveexec_b64 s[0:1], vcc
	s_cbranch_execz .LBB68_84
; %bb.1:
	s_load_dwordx2 s[0:1], s[4:5], 0x10
	s_load_dwordx4 s[12:15], s[4:5], 0x0
	s_ashr_i32 s7, s6, 31
	s_lshl_b64 s[2:3], s[6:7], 3
	v_lshlrev_b32_e32 v20, 3, v0
	s_waitcnt lgkmcnt(0)
	s_ashr_i32 s5, s0, 31
	s_add_u32 s2, s14, s2
	s_addc_u32 s3, s15, s3
	s_load_dwordx2 s[2:3], s[2:3], 0x0
	s_mov_b32 s4, s0
	s_lshl_b64 s[4:5], s[4:5], 3
	v_mov_b32_e32 v18, 0
	v_mov_b32_e32 v19, 0xbff00000
	s_waitcnt lgkmcnt(0)
	s_add_u32 s2, s2, s4
	s_addc_u32 s3, s3, s5
	v_mov_b32_e32 v1, s3
	v_add_co_u32_e32 v34, vcc, s2, v20
	s_ashr_i32 s5, s1, 31
	s_mov_b32 s4, s1
	s_add_i32 s0, s1, s1
	v_addc_co_u32_e32 v35, vcc, 0, v1, vcc
	s_lshl_b64 s[4:5], s[4:5], 3
	v_add_u32_e32 v4, s0, v0
	v_mov_b32_e32 v1, s5
	v_add_co_u32_e32 v36, vcc, s4, v34
	v_ashrrev_i32_e32 v5, 31, v4
	v_addc_co_u32_e32 v37, vcc, v35, v1, vcc
	v_lshlrev_b64 v[6:7], 3, v[4:5]
	v_add_u32_e32 v4, s1, v4
	v_mov_b32_e32 v1, s3
	v_add_co_u32_e32 v38, vcc, s2, v6
	v_ashrrev_i32_e32 v5, 31, v4
	v_addc_co_u32_e32 v39, vcc, v1, v7, vcc
	v_lshlrev_b64 v[6:7], 3, v[4:5]
	v_add_u32_e32 v4, s1, v4
	v_add_co_u32_e32 v40, vcc, s2, v6
	v_ashrrev_i32_e32 v5, 31, v4
	v_addc_co_u32_e32 v41, vcc, v1, v7, vcc
	v_lshlrev_b64 v[4:5], 3, v[4:5]
	v_add_co_u32_e32 v42, vcc, s2, v4
	global_load_dwordx2 v[2:3], v20, s[2:3]
	v_addc_co_u32_e32 v43, vcc, v1, v5, vcc
	global_load_dwordx2 v[4:5], v[36:37], off
	global_load_dwordx2 v[6:7], v[38:39], off
	;; [unrolled: 1-line block ×4, first 2 shown]
	s_cmpk_lg_i32 s13, 0x84
	v_mov_b32_e32 v1, 0
	s_cselect_b64 s[10:11], -1, 0
	s_cmpk_eq_i32 s13, 0x84
	v_cmp_eq_u32_e64 s[0:1], 0, v0
	s_cbranch_scc1 .LBB68_3
; %bb.2:
	v_cmp_eq_u32_e64 s[2:3], 1, v0
	s_waitcnt vmcnt(3)
	v_cndmask_b32_e64 v12, v3, v5, s[2:3]
	v_cmp_eq_u32_e64 s[4:5], 2, v0
	s_waitcnt vmcnt(2)
	v_cndmask_b32_e64 v12, v12, v7, s[4:5]
	;; [unrolled: 3-line block ×4, first 2 shown]
	v_cndmask_b32_e64 v12, v2, v4, s[2:3]
	v_cndmask_b32_e64 v12, v12, v6, s[4:5]
	v_cndmask_b32_e64 v12, v12, v8, s[6:7]
	v_cndmask_b32_e64 v12, v12, v10, s[8:9]
	v_div_scale_f64 v[14:15], s[14:15], v[12:13], v[12:13], 1.0
	v_rcp_f64_e32 v[16:17], v[14:15]
	v_fma_f64 v[18:19], -v[14:15], v[16:17], 1.0
	v_fmac_f64_e32 v[16:17], v[16:17], v[18:19]
	v_fma_f64 v[18:19], -v[14:15], v[16:17], 1.0
	v_fmac_f64_e32 v[16:17], v[16:17], v[18:19]
	v_div_scale_f64 v[18:19], vcc, 1.0, v[12:13], 1.0
	v_mul_f64 v[22:23], v[18:19], v[16:17]
	v_fma_f64 v[14:15], -v[14:15], v[22:23], v[18:19]
	s_nop 1
	v_div_fmas_f64 v[14:15], v[14:15], v[16:17], v[22:23]
	v_div_fixup_f64 v[18:19], v[14:15], v[12:13], 1.0
	v_cndmask_b32_e64 v11, v11, v19, s[8:9]
	v_cndmask_b32_e64 v10, v10, v18, s[8:9]
	;; [unrolled: 1-line block ×10, first 2 shown]
	v_xor_b32_e32 v19, 0x80000000, v19
.LBB68_3:
	s_cmpk_eq_i32 s12, 0x79
	v_add_u32_e32 v44, 48, v20
	ds_write_b64 v20, v[18:19]
	s_cbranch_scc1 .LBB68_7
; %bb.4:
	s_waitcnt vmcnt(0)
	v_pk_mov_b32 v[32:33], v[16:17], v[16:17] op_sel:[0,1]
	v_cmp_eq_u32_e64 s[0:1], 4, v0
	v_pk_mov_b32 v[26:27], v[10:11], v[10:11] op_sel:[0,1]
	v_pk_mov_b32 v[24:25], v[8:9], v[8:9] op_sel:[0,1]
	v_pk_mov_b32 v[22:23], v[6:7], v[6:7] op_sel:[0,1]
	v_pk_mov_b32 v[20:21], v[4:5], v[4:5] op_sel:[0,1]
	v_pk_mov_b32 v[18:19], v[2:3], v[2:3] op_sel:[0,1]
	ds_write_b64 v44, v[8:9]
	s_waitcnt lgkmcnt(0)
	; wave barrier
	s_waitcnt lgkmcnt(0)
	v_pk_mov_b32 v[30:31], v[14:15], v[14:15] op_sel:[0,1]
	v_pk_mov_b32 v[28:29], v[12:13], v[12:13] op_sel:[0,1]
	s_and_saveexec_b64 s[8:9], s[0:1]
	s_cbranch_execz .LBB68_11
; %bb.5:
	s_and_b64 vcc, exec, s[10:11]
	s_cbranch_vccz .LBB68_8
; %bb.6:
	v_cmp_eq_u32_e32 vcc, 1, v0
	v_cndmask_b32_e32 v18, v3, v5, vcc
	v_cmp_eq_u32_e64 s[2:3], 2, v0
	v_cndmask_b32_e64 v18, v18, v7, s[2:3]
	v_cmp_eq_u32_e64 s[4:5], 3, v0
	v_cndmask_b32_e64 v18, v18, v9, s[4:5]
	v_cmp_eq_u32_e64 s[6:7], 4, v0
	ds_read_b64 v[20:21], v44
	v_cndmask_b32_e64 v19, v18, v11, s[6:7]
	v_cndmask_b32_e32 v18, v2, v4, vcc
	v_cndmask_b32_e64 v18, v18, v6, s[2:3]
	v_cndmask_b32_e64 v18, v18, v8, s[4:5]
	;; [unrolled: 1-line block ×3, first 2 shown]
	s_waitcnt lgkmcnt(0)
	v_mul_f64 v[22:23], v[18:19], v[20:21]
	s_cbranch_execz .LBB68_9
	s_branch .LBB68_10
.LBB68_7:
                                        ; implicit-def: $vgpr18_vgpr19_vgpr20_vgpr21_vgpr22_vgpr23_vgpr24_vgpr25_vgpr26_vgpr27_vgpr28_vgpr29_vgpr30_vgpr31_vgpr32_vgpr33
	s_cbranch_execnz .LBB68_50
	s_branch .LBB68_83
.LBB68_8:
                                        ; implicit-def: $vgpr22_vgpr23
.LBB68_9:
	ds_read_b64 v[22:23], v44
.LBB68_10:
	v_mov_b32_e32 v18, 0
	ds_read_b64 v[24:25], v18 offset:24
	v_mov_b32_e32 v18, v2
	v_mov_b32_e32 v19, v3
	;; [unrolled: 1-line block ×4, first 2 shown]
	s_waitcnt lgkmcnt(0)
	v_mul_f64 v[24:25], v[22:23], v[24:25]
	v_mov_b32_e32 v22, v6
	v_mov_b32_e32 v23, v7
	;; [unrolled: 1-line block ×4, first 2 shown]
.LBB68_11:
	s_or_b64 exec, exec, s[8:9]
	v_cmp_lt_u32_e64 s[2:3], 2, v0
	ds_write_b64 v44, v[22:23]
	s_waitcnt lgkmcnt(0)
	; wave barrier
	s_waitcnt lgkmcnt(0)
	s_and_saveexec_b64 s[12:13], s[2:3]
	s_cbranch_execz .LBB68_17
; %bb.12:
	s_andn2_b64 vcc, exec, s[10:11]
	s_cbranch_vccnz .LBB68_14
; %bb.13:
	v_cmp_eq_u32_e32 vcc, 1, v0
	v_cndmask_b32_e32 v28, v19, v21, vcc
	v_cmp_eq_u32_e64 s[4:5], 2, v0
	v_cndmask_b32_e64 v23, v28, v23, s[4:5]
	ds_read_b64 v[28:29], v44
	v_cndmask_b32_e32 v30, v18, v20, vcc
	v_cmp_eq_u32_e64 s[6:7], 3, v0
	v_cndmask_b32_e64 v22, v30, v22, s[4:5]
	v_cndmask_b32_e64 v23, v23, v25, s[6:7]
	v_cmp_eq_u32_e64 s[8:9], 4, v0
	v_cndmask_b32_e64 v22, v22, v24, s[6:7]
	v_cndmask_b32_e64 v23, v23, v27, s[8:9]
	;; [unrolled: 1-line block ×3, first 2 shown]
	s_waitcnt lgkmcnt(0)
	v_mul_f64 v[22:23], v[22:23], v[28:29]
	s_cbranch_execz .LBB68_15
	s_branch .LBB68_16
.LBB68_14:
                                        ; implicit-def: $vgpr22_vgpr23
.LBB68_15:
	ds_read_b64 v[22:23], v44
.LBB68_16:
	v_mov_b32_e32 v28, 0
	ds_read2_b64 v[28:31], v28 offset0:2 offset1:9
	s_waitcnt lgkmcnt(0)
	v_fma_f64 v[30:31], v[24:25], v[30:31], v[22:23]
	v_cndmask_b32_e64 v23, v23, v31, s[0:1]
	v_cndmask_b32_e64 v22, v22, v30, s[0:1]
	v_mul_f64 v[22:23], v[22:23], v[28:29]
.LBB68_17:
	s_or_b64 exec, exec, s[12:13]
	v_cmp_lt_u32_e64 s[0:1], 1, v0
	ds_write_b64 v44, v[20:21]
	s_waitcnt lgkmcnt(0)
	; wave barrier
	s_waitcnt lgkmcnt(0)
	s_and_saveexec_b64 s[12:13], s[0:1]
	s_cbranch_execz .LBB68_33
; %bb.18:
	s_andn2_b64 vcc, exec, s[10:11]
	s_cbranch_vccnz .LBB68_20
; %bb.19:
	v_cmp_eq_u32_e32 vcc, 1, v0
	v_cndmask_b32_e32 v28, v19, v21, vcc
	v_cmp_eq_u32_e64 s[4:5], 2, v0
	v_cndmask_b32_e64 v28, v28, v23, s[4:5]
	v_cmp_eq_u32_e64 s[6:7], 3, v0
	v_cndmask_b32_e64 v28, v28, v25, s[6:7]
	v_cmp_eq_u32_e64 s[8:9], 4, v0
	ds_read_b64 v[30:31], v44
	v_cndmask_b32_e64 v29, v28, v27, s[8:9]
	v_cndmask_b32_e32 v28, v18, v20, vcc
	v_cndmask_b32_e64 v28, v28, v22, s[4:5]
	v_cndmask_b32_e64 v28, v28, v24, s[6:7]
	;; [unrolled: 1-line block ×3, first 2 shown]
	s_waitcnt lgkmcnt(0)
	v_mul_f64 v[28:29], v[28:29], v[30:31]
	s_cbranch_execz .LBB68_21
	s_branch .LBB68_22
.LBB68_20:
                                        ; implicit-def: $vgpr28_vgpr29
.LBB68_21:
	ds_read_b64 v[28:29], v44
.LBB68_22:
	s_and_saveexec_b64 s[8:9], s[2:3]
	s_cbranch_execz .LBB68_32
; %bb.23:
	v_add_u32_e32 v30, -3, v0
	v_add_u32_e32 v31, -2, v0
	v_cmp_lt_u32_e32 vcc, 6, v30
	v_mov_b32_e32 v32, 2
	s_and_saveexec_b64 s[4:5], vcc
	s_cbranch_execz .LBB68_27
; %bb.24:
	v_and_b32_e32 v30, -8, v31
	v_sub_u32_e32 v30, 0, v30
	s_mov_b64 s[6:7], 9
	s_mov_b32 s16, 64
	s_mov_b64 s[14:15], 0
.LBB68_25:                              ; =>This Inner Loop Header: Depth=1
	s_add_i32 s17, s6, -7
	s_cmp_eq_u32 s17, 1
	v_mov_b32_e32 v32, s16
	s_cselect_b64 vcc, -1, 0
	s_cmp_eq_u32 s17, 2
	ds_read_b128 v[46:49], v32
	ds_read_b128 v[50:53], v32 offset:16
	ds_read_b128 v[54:57], v32 offset:32
	;; [unrolled: 1-line block ×3, first 2 shown]
	v_cndmask_b32_e32 v32, v19, v21, vcc
	s_cselect_b64 s[2:3], -1, 0
	s_cmp_eq_u32 s17, 3
	v_cndmask_b32_e64 v32, v32, v23, s[2:3]
	v_cndmask_b32_e32 v33, v18, v20, vcc
	s_cselect_b64 vcc, -1, 0
	s_cmp_eq_u32 s17, 4
	v_cndmask_b32_e32 v32, v32, v25, vcc
	v_cndmask_b32_e64 v45, v33, v22, s[2:3]
	s_cselect_b64 s[2:3], -1, 0
	s_add_i32 s17, s6, -6
	v_cndmask_b32_e64 v33, v32, v27, s[2:3]
	v_cndmask_b32_e32 v32, v45, v24, vcc
	s_cmp_eq_u32 s17, 1
	v_cndmask_b32_e64 v32, v32, v26, s[2:3]
	s_cselect_b64 vcc, -1, 0
	s_cmp_eq_u32 s17, 2
	s_waitcnt lgkmcnt(3)
	v_fmac_f64_e32 v[28:29], v[32:33], v[46:47]
	v_cndmask_b32_e32 v32, v19, v21, vcc
	s_cselect_b64 s[2:3], -1, 0
	s_cmp_eq_u32 s17, 3
	v_cndmask_b32_e64 v32, v32, v23, s[2:3]
	v_cndmask_b32_e32 v33, v18, v20, vcc
	s_cselect_b64 vcc, -1, 0
	s_cmp_eq_u32 s17, 4
	v_cndmask_b32_e32 v32, v32, v25, vcc
	v_cndmask_b32_e64 v45, v33, v22, s[2:3]
	s_cselect_b64 s[2:3], -1, 0
	s_add_i32 s17, s6, -5
	v_cndmask_b32_e64 v33, v32, v27, s[2:3]
	v_cndmask_b32_e32 v32, v45, v24, vcc
	s_cmp_eq_u32 s17, 1
	v_cndmask_b32_e64 v32, v32, v26, s[2:3]
	s_cselect_b64 vcc, -1, 0
	s_cmp_eq_u32 s17, 2
	v_fmac_f64_e32 v[28:29], v[32:33], v[48:49]
	v_cndmask_b32_e32 v32, v19, v21, vcc
	s_cselect_b64 s[2:3], -1, 0
	s_cmp_eq_u32 s17, 3
	v_cndmask_b32_e64 v32, v32, v23, s[2:3]
	v_cndmask_b32_e32 v33, v18, v20, vcc
	s_cselect_b64 vcc, -1, 0
	s_cmp_eq_u32 s17, 4
	v_cndmask_b32_e32 v32, v32, v25, vcc
	v_cndmask_b32_e64 v45, v33, v22, s[2:3]
	s_cselect_b64 s[2:3], -1, 0
	s_add_i32 s17, s6, -4
	v_cndmask_b32_e64 v33, v32, v27, s[2:3]
	v_cndmask_b32_e32 v32, v45, v24, vcc
	s_cmp_eq_u32 s17, 1
	v_cndmask_b32_e64 v32, v32, v26, s[2:3]
	s_cselect_b64 vcc, -1, 0
	s_cmp_eq_u32 s17, 2
	s_waitcnt lgkmcnt(2)
	v_fmac_f64_e32 v[28:29], v[32:33], v[50:51]
	v_cndmask_b32_e32 v32, v19, v21, vcc
	s_cselect_b64 s[2:3], -1, 0
	s_cmp_eq_u32 s17, 3
	v_cndmask_b32_e64 v32, v32, v23, s[2:3]
	v_cndmask_b32_e32 v33, v18, v20, vcc
	s_cselect_b64 vcc, -1, 0
	s_cmp_eq_u32 s17, 4
	v_cndmask_b32_e32 v32, v32, v25, vcc
	v_cndmask_b32_e64 v45, v33, v22, s[2:3]
	s_cselect_b64 s[2:3], -1, 0
	s_add_i32 s17, s6, -3
	v_cndmask_b32_e64 v33, v32, v27, s[2:3]
	v_cndmask_b32_e32 v32, v45, v24, vcc
	s_cmp_eq_u32 s17, 1
	v_cndmask_b32_e64 v32, v32, v26, s[2:3]
	s_cselect_b64 vcc, -1, 0
	s_cmp_eq_u32 s17, 2
	v_fmac_f64_e32 v[28:29], v[32:33], v[52:53]
	;; [unrolled: 37-line block ×3, first 2 shown]
	v_cndmask_b32_e32 v32, v19, v21, vcc
	s_cselect_b64 s[2:3], -1, 0
	s_cmp_eq_u32 s17, 3
	v_cndmask_b32_e64 v32, v32, v23, s[2:3]
	v_cndmask_b32_e32 v33, v18, v20, vcc
	s_cselect_b64 vcc, -1, 0
	s_cmp_eq_u32 s17, 4
	v_cndmask_b32_e32 v32, v32, v25, vcc
	v_cndmask_b32_e64 v45, v33, v22, s[2:3]
	s_cselect_b64 s[2:3], -1, 0
	s_cmp_eq_u32 s6, 1
	v_cndmask_b32_e64 v33, v32, v27, s[2:3]
	v_cndmask_b32_e32 v32, v45, v24, vcc
	s_cselect_b64 vcc, -1, 0
	s_cmp_eq_u32 s6, 2
	v_cndmask_b32_e64 v32, v32, v26, s[2:3]
	v_cndmask_b32_e32 v45, v19, v21, vcc
	s_cselect_b64 s[2:3], -1, 0
	s_cmp_eq_u32 s6, 3
	s_waitcnt lgkmcnt(0)
	v_fmac_f64_e32 v[28:29], v[32:33], v[58:59]
	v_cndmask_b32_e64 v32, v45, v23, s[2:3]
	v_cndmask_b32_e32 v33, v18, v20, vcc
	s_cselect_b64 vcc, -1, 0
	s_cmp_eq_u32 s6, 4
	v_cndmask_b32_e32 v32, v32, v25, vcc
	v_cndmask_b32_e64 v45, v33, v22, s[2:3]
	s_cselect_b64 s[2:3], -1, 0
	s_add_u32 s6, s6, 8
	v_cndmask_b32_e64 v33, v32, v27, s[2:3]
	v_cndmask_b32_e32 v32, v45, v24, vcc
	v_add_u32_e32 v45, s6, v30
	v_cndmask_b32_e64 v32, v32, v26, s[2:3]
	s_addc_u32 s7, s7, 0
	s_add_i32 s16, s16, 64
	s_add_i32 s2, s6, -7
	v_cmp_eq_u32_e32 vcc, 9, v45
	v_fmac_f64_e32 v[28:29], v[32:33], v[60:61]
	s_or_b64 s[14:15], vcc, s[14:15]
	v_mov_b32_e32 v32, s2
	s_andn2_b64 exec, exec, s[14:15]
	s_cbranch_execnz .LBB68_25
; %bb.26:
	s_or_b64 exec, exec, s[14:15]
.LBB68_27:
	s_or_b64 exec, exec, s[4:5]
	v_and_b32_e32 v30, 7, v31
	v_cmp_ne_u32_e32 vcc, 0, v30
	s_and_saveexec_b64 s[14:15], vcc
	s_cbranch_execz .LBB68_31
; %bb.28:
	v_lshl_add_u32 v33, v32, 3, 48
	v_mov_b32_e32 v31, 0
	s_mov_b64 s[16:17], 0
.LBB68_29:                              ; =>This Inner Loop Header: Depth=1
	v_cmp_eq_u32_e32 vcc, 1, v32
	v_cndmask_b32_e32 v45, v19, v21, vcc
	ds_read_b64 v[46:47], v33
	v_cmp_eq_u32_e64 s[2:3], 2, v32
	v_cndmask_b32_e64 v45, v45, v23, s[2:3]
	v_cndmask_b32_e32 v48, v18, v20, vcc
	v_cmp_eq_u32_e64 s[4:5], 3, v32
	v_cndmask_b32_e64 v45, v45, v25, s[4:5]
	v_cmp_eq_u32_e64 s[6:7], 4, v32
	v_cndmask_b32_e64 v48, v48, v22, s[2:3]
	v_add_u32_e32 v30, -1, v30
	v_cndmask_b32_e64 v49, v45, v27, s[6:7]
	v_cndmask_b32_e64 v45, v48, v24, s[4:5]
	v_cmp_eq_u32_e32 vcc, 0, v30
	v_add_co_u32_e64 v32, s[2:3], 1, v32
	v_cndmask_b32_e64 v48, v45, v26, s[6:7]
	v_add_u32_e32 v33, 8, v33
	v_addc_co_u32_e64 v31, s[2:3], 0, v31, s[2:3]
	s_or_b64 s[16:17], vcc, s[16:17]
	s_waitcnt lgkmcnt(0)
	v_fmac_f64_e32 v[28:29], v[48:49], v[46:47]
	s_andn2_b64 exec, exec, s[16:17]
	s_cbranch_execnz .LBB68_29
; %bb.30:
	s_or_b64 exec, exec, s[16:17]
.LBB68_31:
	s_or_b64 exec, exec, s[14:15]
.LBB68_32:
	s_or_b64 exec, exec, s[8:9]
	v_mov_b32_e32 v20, 0
	ds_read_b64 v[20:21], v20 offset:8
	s_waitcnt lgkmcnt(0)
	v_mul_f64 v[20:21], v[28:29], v[20:21]
.LBB68_33:
	s_or_b64 exec, exec, s[12:13]
	v_cmp_ne_u32_e32 vcc, 0, v0
	ds_write_b64 v44, v[18:19]
	s_waitcnt lgkmcnt(0)
	; wave barrier
	s_waitcnt lgkmcnt(0)
	s_and_saveexec_b64 s[8:9], vcc
	s_cbranch_execz .LBB68_49
; %bb.34:
	s_andn2_b64 vcc, exec, s[10:11]
	s_cbranch_vccnz .LBB68_36
; %bb.35:
	v_cmp_eq_u32_e32 vcc, 1, v0
	v_cndmask_b32_e32 v28, v19, v21, vcc
	v_cmp_eq_u32_e64 s[2:3], 2, v0
	v_cndmask_b32_e64 v28, v28, v23, s[2:3]
	v_cmp_eq_u32_e64 s[4:5], 3, v0
	v_cndmask_b32_e64 v28, v28, v25, s[4:5]
	v_cmp_eq_u32_e64 s[6:7], 4, v0
	ds_read_b64 v[30:31], v44
	v_cndmask_b32_e64 v29, v28, v27, s[6:7]
	v_cndmask_b32_e32 v28, v18, v20, vcc
	v_cndmask_b32_e64 v28, v28, v22, s[2:3]
	v_cndmask_b32_e64 v28, v28, v24, s[4:5]
	;; [unrolled: 1-line block ×3, first 2 shown]
	s_waitcnt lgkmcnt(0)
	v_mul_f64 v[28:29], v[28:29], v[30:31]
	s_cbranch_execz .LBB68_37
	s_branch .LBB68_38
.LBB68_36:
                                        ; implicit-def: $vgpr28_vgpr29
.LBB68_37:
	ds_read_b64 v[28:29], v44
.LBB68_38:
	s_and_saveexec_b64 s[6:7], s[0:1]
	s_cbranch_execz .LBB68_48
; %bb.39:
	v_add_u32_e32 v30, -2, v0
	v_add_u32_e32 v31, -1, v0
	v_cmp_lt_u32_e32 vcc, 6, v30
	v_mov_b32_e32 v32, 1
	s_and_saveexec_b64 s[2:3], vcc
	s_cbranch_execz .LBB68_43
; %bb.40:
	v_and_b32_e32 v30, -8, v31
	v_sub_u32_e32 v30, 0, v30
	s_mov_b64 s[4:5], 8
	s_mov_b32 s14, 56
	s_mov_b64 s[12:13], 0
.LBB68_41:                              ; =>This Inner Loop Header: Depth=1
	s_add_i32 s15, s4, -7
	s_cmp_eq_u32 s15, 1
	v_mov_b32_e32 v32, s14
	s_cselect_b64 vcc, -1, 0
	s_cmp_eq_u32 s15, 2
	ds_read2_b64 v[46:49], v32 offset1:1
	ds_read2_b64 v[50:53], v32 offset0:2 offset1:3
	ds_read2_b64 v[54:57], v32 offset0:4 offset1:5
	;; [unrolled: 1-line block ×3, first 2 shown]
	v_cndmask_b32_e32 v32, v19, v21, vcc
	s_cselect_b64 s[0:1], -1, 0
	s_cmp_eq_u32 s15, 3
	v_cndmask_b32_e64 v32, v32, v23, s[0:1]
	v_cndmask_b32_e32 v33, v18, v20, vcc
	s_cselect_b64 vcc, -1, 0
	s_cmp_eq_u32 s15, 4
	v_cndmask_b32_e32 v32, v32, v25, vcc
	v_cndmask_b32_e64 v45, v33, v22, s[0:1]
	s_cselect_b64 s[0:1], -1, 0
	s_add_i32 s15, s4, -6
	v_cndmask_b32_e64 v33, v32, v27, s[0:1]
	v_cndmask_b32_e32 v32, v45, v24, vcc
	s_cmp_eq_u32 s15, 1
	v_cndmask_b32_e64 v32, v32, v26, s[0:1]
	s_cselect_b64 vcc, -1, 0
	s_cmp_eq_u32 s15, 2
	s_waitcnt lgkmcnt(3)
	v_fmac_f64_e32 v[28:29], v[32:33], v[46:47]
	v_cndmask_b32_e32 v32, v19, v21, vcc
	s_cselect_b64 s[0:1], -1, 0
	s_cmp_eq_u32 s15, 3
	v_cndmask_b32_e64 v32, v32, v23, s[0:1]
	v_cndmask_b32_e32 v33, v18, v20, vcc
	s_cselect_b64 vcc, -1, 0
	s_cmp_eq_u32 s15, 4
	v_cndmask_b32_e32 v32, v32, v25, vcc
	v_cndmask_b32_e64 v45, v33, v22, s[0:1]
	s_cselect_b64 s[0:1], -1, 0
	s_add_i32 s15, s4, -5
	v_cndmask_b32_e64 v33, v32, v27, s[0:1]
	v_cndmask_b32_e32 v32, v45, v24, vcc
	s_cmp_eq_u32 s15, 1
	v_cndmask_b32_e64 v32, v32, v26, s[0:1]
	s_cselect_b64 vcc, -1, 0
	s_cmp_eq_u32 s15, 2
	v_fmac_f64_e32 v[28:29], v[32:33], v[48:49]
	v_cndmask_b32_e32 v32, v19, v21, vcc
	s_cselect_b64 s[0:1], -1, 0
	s_cmp_eq_u32 s15, 3
	v_cndmask_b32_e64 v32, v32, v23, s[0:1]
	v_cndmask_b32_e32 v33, v18, v20, vcc
	s_cselect_b64 vcc, -1, 0
	s_cmp_eq_u32 s15, 4
	v_cndmask_b32_e32 v32, v32, v25, vcc
	v_cndmask_b32_e64 v45, v33, v22, s[0:1]
	s_cselect_b64 s[0:1], -1, 0
	s_add_i32 s15, s4, -4
	v_cndmask_b32_e64 v33, v32, v27, s[0:1]
	v_cndmask_b32_e32 v32, v45, v24, vcc
	s_cmp_eq_u32 s15, 1
	v_cndmask_b32_e64 v32, v32, v26, s[0:1]
	s_cselect_b64 vcc, -1, 0
	s_cmp_eq_u32 s15, 2
	s_waitcnt lgkmcnt(2)
	v_fmac_f64_e32 v[28:29], v[32:33], v[50:51]
	v_cndmask_b32_e32 v32, v19, v21, vcc
	s_cselect_b64 s[0:1], -1, 0
	s_cmp_eq_u32 s15, 3
	v_cndmask_b32_e64 v32, v32, v23, s[0:1]
	v_cndmask_b32_e32 v33, v18, v20, vcc
	s_cselect_b64 vcc, -1, 0
	s_cmp_eq_u32 s15, 4
	v_cndmask_b32_e32 v32, v32, v25, vcc
	v_cndmask_b32_e64 v45, v33, v22, s[0:1]
	s_cselect_b64 s[0:1], -1, 0
	s_add_i32 s15, s4, -3
	v_cndmask_b32_e64 v33, v32, v27, s[0:1]
	v_cndmask_b32_e32 v32, v45, v24, vcc
	s_cmp_eq_u32 s15, 1
	v_cndmask_b32_e64 v32, v32, v26, s[0:1]
	s_cselect_b64 vcc, -1, 0
	s_cmp_eq_u32 s15, 2
	v_fmac_f64_e32 v[28:29], v[32:33], v[52:53]
	;; [unrolled: 37-line block ×3, first 2 shown]
	v_cndmask_b32_e32 v32, v19, v21, vcc
	s_cselect_b64 s[0:1], -1, 0
	s_cmp_eq_u32 s15, 3
	v_cndmask_b32_e64 v32, v32, v23, s[0:1]
	v_cndmask_b32_e32 v33, v18, v20, vcc
	s_cselect_b64 vcc, -1, 0
	s_cmp_eq_u32 s15, 4
	v_cndmask_b32_e32 v32, v32, v25, vcc
	v_cndmask_b32_e64 v45, v33, v22, s[0:1]
	s_cselect_b64 s[0:1], -1, 0
	s_cmp_eq_u32 s4, 1
	v_cndmask_b32_e64 v33, v32, v27, s[0:1]
	v_cndmask_b32_e32 v32, v45, v24, vcc
	s_cselect_b64 vcc, -1, 0
	s_cmp_eq_u32 s4, 2
	v_cndmask_b32_e64 v32, v32, v26, s[0:1]
	v_cndmask_b32_e32 v45, v19, v21, vcc
	s_cselect_b64 s[0:1], -1, 0
	s_cmp_eq_u32 s4, 3
	s_waitcnt lgkmcnt(0)
	v_fmac_f64_e32 v[28:29], v[32:33], v[58:59]
	v_cndmask_b32_e64 v32, v45, v23, s[0:1]
	v_cndmask_b32_e32 v33, v18, v20, vcc
	s_cselect_b64 vcc, -1, 0
	s_cmp_eq_u32 s4, 4
	v_cndmask_b32_e32 v32, v32, v25, vcc
	v_cndmask_b32_e64 v45, v33, v22, s[0:1]
	s_cselect_b64 s[0:1], -1, 0
	s_add_u32 s4, s4, 8
	v_cndmask_b32_e64 v33, v32, v27, s[0:1]
	v_cndmask_b32_e32 v32, v45, v24, vcc
	v_add_u32_e32 v45, s4, v30
	v_cndmask_b32_e64 v32, v32, v26, s[0:1]
	s_addc_u32 s5, s5, 0
	s_add_i32 s14, s14, 64
	s_add_i32 s0, s4, -7
	v_cmp_eq_u32_e32 vcc, 8, v45
	v_fmac_f64_e32 v[28:29], v[32:33], v[60:61]
	s_or_b64 s[12:13], vcc, s[12:13]
	v_mov_b32_e32 v32, s0
	s_andn2_b64 exec, exec, s[12:13]
	s_cbranch_execnz .LBB68_41
; %bb.42:
	s_or_b64 exec, exec, s[12:13]
.LBB68_43:
	s_or_b64 exec, exec, s[2:3]
	v_and_b32_e32 v30, 7, v31
	v_cmp_ne_u32_e32 vcc, 0, v30
	s_and_saveexec_b64 s[12:13], vcc
	s_cbranch_execz .LBB68_47
; %bb.44:
	v_lshl_add_u32 v33, v32, 3, 48
	v_mov_b32_e32 v31, 0
	s_mov_b64 s[14:15], 0
.LBB68_45:                              ; =>This Inner Loop Header: Depth=1
	v_cmp_eq_u32_e32 vcc, 1, v32
	v_cndmask_b32_e32 v45, v19, v21, vcc
	ds_read_b64 v[46:47], v33
	v_cmp_eq_u32_e64 s[0:1], 2, v32
	v_cndmask_b32_e64 v45, v45, v23, s[0:1]
	v_cndmask_b32_e32 v48, v18, v20, vcc
	v_cmp_eq_u32_e64 s[2:3], 3, v32
	v_cndmask_b32_e64 v45, v45, v25, s[2:3]
	v_cmp_eq_u32_e64 s[4:5], 4, v32
	v_cndmask_b32_e64 v48, v48, v22, s[0:1]
	v_add_u32_e32 v30, -1, v30
	v_cndmask_b32_e64 v49, v45, v27, s[4:5]
	v_cndmask_b32_e64 v45, v48, v24, s[2:3]
	v_cmp_eq_u32_e32 vcc, 0, v30
	v_add_co_u32_e64 v32, s[0:1], 1, v32
	v_cndmask_b32_e64 v48, v45, v26, s[4:5]
	v_add_u32_e32 v33, 8, v33
	v_addc_co_u32_e64 v31, s[0:1], 0, v31, s[0:1]
	s_or_b64 s[14:15], vcc, s[14:15]
	s_waitcnt lgkmcnt(0)
	v_fmac_f64_e32 v[28:29], v[48:49], v[46:47]
	s_andn2_b64 exec, exec, s[14:15]
	s_cbranch_execnz .LBB68_45
; %bb.46:
	s_or_b64 exec, exec, s[14:15]
.LBB68_47:
	s_or_b64 exec, exec, s[12:13]
.LBB68_48:
	s_or_b64 exec, exec, s[6:7]
	v_mov_b32_e32 v18, 0
	ds_read_b64 v[18:19], v18
	s_waitcnt lgkmcnt(0)
	v_mul_f64 v[18:19], v[28:29], v[18:19]
.LBB68_49:
	s_or_b64 exec, exec, s[8:9]
	s_branch .LBB68_83
.LBB68_50:
	v_cmp_eq_u32_e64 s[0:1], 0, v0
	s_waitcnt vmcnt(3)
	ds_write_b64 v44, v[4:5]
	s_waitcnt lgkmcnt(0)
	; wave barrier
	s_waitcnt lgkmcnt(0)
	s_and_saveexec_b64 s[8:9], s[0:1]
	s_cbranch_execz .LBB68_56
; %bb.51:
	s_and_b64 vcc, exec, s[10:11]
	s_cbranch_vccz .LBB68_53
; %bb.52:
	v_cmp_eq_u32_e32 vcc, 1, v0
	ds_read_b64 v[12:13], v44
	v_cndmask_b32_e32 v5, v3, v5, vcc
	v_cmp_eq_u32_e64 s[2:3], 2, v0
	v_cndmask_b32_e32 v4, v2, v4, vcc
	s_waitcnt vmcnt(2)
	v_cndmask_b32_e64 v5, v5, v7, s[2:3]
	v_cmp_eq_u32_e64 s[4:5], 3, v0
	v_cndmask_b32_e64 v4, v4, v6, s[2:3]
	s_waitcnt vmcnt(1)
	v_cndmask_b32_e64 v5, v5, v9, s[4:5]
	v_cmp_eq_u32_e64 s[6:7], 4, v0
	v_cndmask_b32_e64 v4, v4, v8, s[4:5]
	s_waitcnt vmcnt(0)
	v_cndmask_b32_e64 v5, v5, v11, s[6:7]
	v_cndmask_b32_e64 v4, v4, v10, s[6:7]
	s_waitcnt lgkmcnt(0)
	v_mul_f64 v[4:5], v[4:5], v[12:13]
	s_cbranch_execz .LBB68_54
	s_branch .LBB68_55
.LBB68_53:
                                        ; implicit-def: $vgpr4_vgpr5
.LBB68_54:
	ds_read_b64 v[4:5], v44
.LBB68_55:
	v_mov_b32_e32 v12, 0
	ds_read_b64 v[12:13], v12 offset:8
	s_waitcnt lgkmcnt(0)
	v_mul_f64 v[4:5], v[4:5], v[12:13]
.LBB68_56:
	s_or_b64 exec, exec, s[8:9]
	v_cndmask_b32_e64 v19, 0, 1, s[10:11]
	v_add_u32_e32 v18, 1, v0
	v_cmp_gt_u32_e32 vcc, 2, v0
	v_cmp_ne_u32_e64 s[2:3], 1, v19
	s_waitcnt vmcnt(2)
	ds_write_b64 v44, v[6:7]
	s_waitcnt lgkmcnt(0)
	; wave barrier
	s_waitcnt lgkmcnt(0)
	s_and_saveexec_b64 s[10:11], vcc
	s_cbranch_execz .LBB68_64
; %bb.57:
	s_and_b64 vcc, exec, s[2:3]
	s_cbranch_vccnz .LBB68_59
; %bb.58:
	v_cmp_eq_u32_e32 vcc, 1, v0
	v_cndmask_b32_e32 v12, v3, v5, vcc
	v_cmp_eq_u32_e64 s[4:5], 2, v0
	v_cndmask_b32_e64 v12, v12, v7, s[4:5]
	v_cmp_eq_u32_e64 s[6:7], 3, v0
	s_waitcnt vmcnt(1)
	v_cndmask_b32_e64 v12, v12, v9, s[6:7]
	v_cmp_eq_u32_e64 s[8:9], 4, v0
	ds_read_b64 v[14:15], v44
	s_waitcnt vmcnt(0)
	v_cndmask_b32_e64 v13, v12, v11, s[8:9]
	v_cndmask_b32_e32 v12, v2, v4, vcc
	v_cndmask_b32_e64 v12, v12, v6, s[4:5]
	v_cndmask_b32_e64 v12, v12, v8, s[6:7]
	v_cndmask_b32_e64 v12, v12, v10, s[8:9]
	s_waitcnt lgkmcnt(0)
	v_mul_f64 v[12:13], v[12:13], v[14:15]
	s_cbranch_execz .LBB68_60
	s_branch .LBB68_61
.LBB68_59:
                                        ; implicit-def: $vgpr12_vgpr13
.LBB68_60:
	ds_read_b64 v[12:13], v44
.LBB68_61:
	s_and_saveexec_b64 s[12:13], s[0:1]
	s_cbranch_execz .LBB68_63
; %bb.62:
	v_cmp_eq_u32_e32 vcc, 1, v18
	v_cndmask_b32_e32 v14, v3, v5, vcc
	v_cmp_eq_u32_e64 s[4:5], 2, v18
	v_cndmask_b32_e64 v7, v14, v7, s[4:5]
	ds_read_b64 v[14:15], v44 offset:8
	v_cndmask_b32_e32 v16, v2, v4, vcc
	v_cmp_eq_u32_e64 s[6:7], 3, v18
	v_cndmask_b32_e64 v6, v16, v6, s[4:5]
	s_waitcnt vmcnt(1)
	v_cndmask_b32_e64 v7, v7, v9, s[6:7]
	v_cmp_eq_u32_e64 s[8:9], 4, v18
	v_cndmask_b32_e64 v6, v6, v8, s[6:7]
	s_waitcnt vmcnt(0)
	v_cndmask_b32_e64 v7, v7, v11, s[8:9]
	v_cndmask_b32_e64 v6, v6, v10, s[8:9]
	s_waitcnt lgkmcnt(0)
	v_fmac_f64_e32 v[12:13], v[6:7], v[14:15]
.LBB68_63:
	s_or_b64 exec, exec, s[12:13]
	v_mov_b32_e32 v6, 0
	ds_read_b64 v[6:7], v6 offset:16
	s_waitcnt lgkmcnt(0)
	v_mul_f64 v[6:7], v[12:13], v[6:7]
.LBB68_64:
	s_or_b64 exec, exec, s[10:11]
	v_cmp_gt_u32_e64 s[4:5], 3, v0
	s_waitcnt vmcnt(1)
	ds_write_b64 v44, v[8:9]
	s_waitcnt lgkmcnt(0)
	; wave barrier
	s_waitcnt lgkmcnt(0)
	s_and_saveexec_b64 s[12:13], s[4:5]
	s_cbranch_execz .LBB68_72
; %bb.65:
	s_and_b64 vcc, exec, s[2:3]
	s_cbranch_vccnz .LBB68_67
; %bb.66:
	v_cmp_eq_u32_e32 vcc, 1, v0
	v_cndmask_b32_e32 v12, v3, v5, vcc
	v_cmp_eq_u32_e64 s[6:7], 2, v0
	v_cndmask_b32_e64 v12, v12, v7, s[6:7]
	v_cmp_eq_u32_e64 s[8:9], 3, v0
	v_cndmask_b32_e64 v12, v12, v9, s[8:9]
	v_cmp_eq_u32_e64 s[10:11], 4, v0
	ds_read_b64 v[14:15], v44
	s_waitcnt vmcnt(0)
	v_cndmask_b32_e64 v13, v12, v11, s[10:11]
	v_cndmask_b32_e32 v12, v2, v4, vcc
	v_cndmask_b32_e64 v12, v12, v6, s[6:7]
	v_cndmask_b32_e64 v12, v12, v8, s[8:9]
	;; [unrolled: 1-line block ×3, first 2 shown]
	s_waitcnt lgkmcnt(0)
	v_mul_f64 v[12:13], v[12:13], v[14:15]
	s_cbranch_execz .LBB68_68
	s_branch .LBB68_69
.LBB68_67:
                                        ; implicit-def: $vgpr12_vgpr13
.LBB68_68:
	ds_read_b64 v[12:13], v44
.LBB68_69:
	v_cmp_ne_u32_e32 vcc, 2, v0
	s_and_saveexec_b64 s[14:15], vcc
	s_cbranch_execz .LBB68_71
; %bb.70:
	v_cmp_eq_u32_e32 vcc, 1, v18
	v_cndmask_b32_e32 v14, v3, v5, vcc
	v_cmp_eq_u32_e64 s[6:7], 2, v18
	v_cndmask_b32_e64 v14, v14, v7, s[6:7]
	v_cmp_eq_u32_e64 s[8:9], 3, v18
	v_mov_b32_e32 v16, 0
	v_cndmask_b32_e64 v9, v14, v9, s[8:9]
	v_cmp_eq_u32_e64 s[10:11], 4, v18
	v_cndmask_b32_e32 v18, v2, v4, vcc
	ds_read_b64 v[14:15], v44 offset:8
	ds_read_b64 v[16:17], v16 offset:64
	v_cndmask_b32_e64 v18, v18, v6, s[6:7]
	v_cndmask_b32_e64 v8, v18, v8, s[8:9]
	s_waitcnt vmcnt(0)
	v_cndmask_b32_e64 v9, v9, v11, s[10:11]
	v_cndmask_b32_e64 v8, v8, v10, s[10:11]
	s_waitcnt lgkmcnt(1)
	v_fmac_f64_e32 v[12:13], v[8:9], v[14:15]
	s_waitcnt lgkmcnt(0)
	v_fma_f64 v[8:9], v[6:7], v[16:17], v[12:13]
	v_cndmask_b32_e64 v13, v13, v9, s[0:1]
	v_cndmask_b32_e64 v12, v12, v8, s[0:1]
.LBB68_71:
	s_or_b64 exec, exec, s[14:15]
	v_mov_b32_e32 v8, 0
	ds_read_b64 v[8:9], v8 offset:24
	s_waitcnt lgkmcnt(0)
	v_mul_f64 v[8:9], v[12:13], v[8:9]
.LBB68_72:
	s_or_b64 exec, exec, s[12:13]
	v_cmp_ne_u32_e32 vcc, 4, v0
	s_waitcnt vmcnt(0)
	ds_write_b64 v44, v[10:11]
	s_waitcnt lgkmcnt(0)
	; wave barrier
	s_waitcnt lgkmcnt(0)
	s_and_saveexec_b64 s[8:9], vcc
	s_cbranch_execz .LBB68_82
; %bb.73:
	s_and_b64 vcc, exec, s[2:3]
	s_cbranch_vccnz .LBB68_75
; %bb.74:
	v_cmp_eq_u32_e32 vcc, 1, v0
	v_cndmask_b32_e32 v12, v3, v5, vcc
	v_cmp_eq_u32_e64 s[0:1], 2, v0
	v_cndmask_b32_e64 v12, v12, v7, s[0:1]
	v_cmp_eq_u32_e64 s[2:3], 3, v0
	v_cndmask_b32_e64 v12, v12, v9, s[2:3]
	v_cmp_eq_u32_e64 s[6:7], 4, v0
	ds_read_b64 v[14:15], v44
	v_cndmask_b32_e64 v13, v12, v11, s[6:7]
	v_cndmask_b32_e32 v12, v2, v4, vcc
	v_cndmask_b32_e64 v12, v12, v6, s[0:1]
	v_cndmask_b32_e64 v12, v12, v8, s[2:3]
	;; [unrolled: 1-line block ×3, first 2 shown]
	s_waitcnt lgkmcnt(0)
	v_mul_f64 v[12:13], v[12:13], v[14:15]
	s_cbranch_execz .LBB68_76
	s_branch .LBB68_77
.LBB68_75:
                                        ; implicit-def: $vgpr12_vgpr13
.LBB68_76:
	ds_read_b64 v[12:13], v44
.LBB68_77:
	s_and_saveexec_b64 s[6:7], s[4:5]
	s_cbranch_execz .LBB68_81
; %bb.78:
	v_lshl_add_u32 v14, v0, 3, 56
	s_mov_b64 s[4:5], 0
.LBB68_79:                              ; =>This Inner Loop Header: Depth=1
	v_add_co_u32_e32 v0, vcc, 1, v0
	v_addc_co_u32_e32 v1, vcc, 0, v1, vcc
	v_cmp_eq_u32_e32 vcc, 1, v0
	ds_read_b64 v[16:17], v14
	v_cndmask_b32_e32 v15, v3, v5, vcc
	v_cmp_eq_u32_e64 s[2:3], 2, v0
	v_cmp_lt_u32_e64 s[0:1], 2, v0
	v_cndmask_b32_e64 v15, v15, v7, s[2:3]
	v_cndmask_b32_e32 v18, v2, v4, vcc
	v_cmp_eq_u32_e32 vcc, 3, v0
	s_or_b64 s[4:5], s[0:1], s[4:5]
	v_cndmask_b32_e32 v15, v15, v9, vcc
	v_cndmask_b32_e64 v18, v18, v6, s[2:3]
	v_cmp_eq_u32_e64 s[0:1], 4, v0
	v_cndmask_b32_e64 v19, v15, v11, s[0:1]
	v_cndmask_b32_e32 v15, v18, v8, vcc
	v_cndmask_b32_e64 v18, v15, v10, s[0:1]
	v_add_u32_e32 v14, 8, v14
	s_waitcnt lgkmcnt(0)
	v_fmac_f64_e32 v[12:13], v[18:19], v[16:17]
	s_andn2_b64 exec, exec, s[4:5]
	s_cbranch_execnz .LBB68_79
; %bb.80:
	s_or_b64 exec, exec, s[4:5]
.LBB68_81:
	s_or_b64 exec, exec, s[6:7]
	v_mov_b32_e32 v0, 0
	ds_read_b64 v[0:1], v0 offset:32
	s_waitcnt lgkmcnt(0)
	v_mul_f64 v[10:11], v[12:13], v[0:1]
.LBB68_82:
	s_or_b64 exec, exec, s[8:9]
	v_pk_mov_b32 v[32:33], v[16:17], v[16:17] op_sel:[0,1]
	v_pk_mov_b32 v[30:31], v[14:15], v[14:15] op_sel:[0,1]
	;; [unrolled: 1-line block ×8, first 2 shown]
.LBB68_83:
	global_store_dwordx2 v[34:35], v[18:19], off
	global_store_dwordx2 v[36:37], v[20:21], off
	;; [unrolled: 1-line block ×5, first 2 shown]
.LBB68_84:
	s_endpgm
	.section	.rodata,"a",@progbits
	.p2align	6, 0x0
	.amdhsa_kernel _ZN9rocsolver6v33100L18trti2_kernel_smallILi5EdPKPdEEv13rocblas_fill_17rocblas_diagonal_T1_iil
		.amdhsa_group_segment_fixed_size 88
		.amdhsa_private_segment_fixed_size 0
		.amdhsa_kernarg_size 32
		.amdhsa_user_sgpr_count 6
		.amdhsa_user_sgpr_private_segment_buffer 1
		.amdhsa_user_sgpr_dispatch_ptr 0
		.amdhsa_user_sgpr_queue_ptr 0
		.amdhsa_user_sgpr_kernarg_segment_ptr 1
		.amdhsa_user_sgpr_dispatch_id 0
		.amdhsa_user_sgpr_flat_scratch_init 0
		.amdhsa_user_sgpr_kernarg_preload_length 0
		.amdhsa_user_sgpr_kernarg_preload_offset 0
		.amdhsa_user_sgpr_private_segment_size 0
		.amdhsa_uses_dynamic_stack 0
		.amdhsa_system_sgpr_private_segment_wavefront_offset 0
		.amdhsa_system_sgpr_workgroup_id_x 1
		.amdhsa_system_sgpr_workgroup_id_y 0
		.amdhsa_system_sgpr_workgroup_id_z 0
		.amdhsa_system_sgpr_workgroup_info 0
		.amdhsa_system_vgpr_workitem_id 0
		.amdhsa_next_free_vgpr 62
		.amdhsa_next_free_sgpr 18
		.amdhsa_accum_offset 64
		.amdhsa_reserve_vcc 1
		.amdhsa_reserve_flat_scratch 0
		.amdhsa_float_round_mode_32 0
		.amdhsa_float_round_mode_16_64 0
		.amdhsa_float_denorm_mode_32 3
		.amdhsa_float_denorm_mode_16_64 3
		.amdhsa_dx10_clamp 1
		.amdhsa_ieee_mode 1
		.amdhsa_fp16_overflow 0
		.amdhsa_tg_split 0
		.amdhsa_exception_fp_ieee_invalid_op 0
		.amdhsa_exception_fp_denorm_src 0
		.amdhsa_exception_fp_ieee_div_zero 0
		.amdhsa_exception_fp_ieee_overflow 0
		.amdhsa_exception_fp_ieee_underflow 0
		.amdhsa_exception_fp_ieee_inexact 0
		.amdhsa_exception_int_div_zero 0
	.end_amdhsa_kernel
	.section	.text._ZN9rocsolver6v33100L18trti2_kernel_smallILi5EdPKPdEEv13rocblas_fill_17rocblas_diagonal_T1_iil,"axG",@progbits,_ZN9rocsolver6v33100L18trti2_kernel_smallILi5EdPKPdEEv13rocblas_fill_17rocblas_diagonal_T1_iil,comdat
.Lfunc_end68:
	.size	_ZN9rocsolver6v33100L18trti2_kernel_smallILi5EdPKPdEEv13rocblas_fill_17rocblas_diagonal_T1_iil, .Lfunc_end68-_ZN9rocsolver6v33100L18trti2_kernel_smallILi5EdPKPdEEv13rocblas_fill_17rocblas_diagonal_T1_iil
                                        ; -- End function
	.section	.AMDGPU.csdata,"",@progbits
; Kernel info:
; codeLenInByte = 4876
; NumSgprs: 22
; NumVgprs: 62
; NumAgprs: 0
; TotalNumVgprs: 62
; ScratchSize: 0
; MemoryBound: 0
; FloatMode: 240
; IeeeMode: 1
; LDSByteSize: 88 bytes/workgroup (compile time only)
; SGPRBlocks: 2
; VGPRBlocks: 7
; NumSGPRsForWavesPerEU: 22
; NumVGPRsForWavesPerEU: 62
; AccumOffset: 64
; Occupancy: 8
; WaveLimiterHint : 1
; COMPUTE_PGM_RSRC2:SCRATCH_EN: 0
; COMPUTE_PGM_RSRC2:USER_SGPR: 6
; COMPUTE_PGM_RSRC2:TRAP_HANDLER: 0
; COMPUTE_PGM_RSRC2:TGID_X_EN: 1
; COMPUTE_PGM_RSRC2:TGID_Y_EN: 0
; COMPUTE_PGM_RSRC2:TGID_Z_EN: 0
; COMPUTE_PGM_RSRC2:TIDIG_COMP_CNT: 0
; COMPUTE_PGM_RSRC3_GFX90A:ACCUM_OFFSET: 15
; COMPUTE_PGM_RSRC3_GFX90A:TG_SPLIT: 0
	.section	.text._ZN9rocsolver6v33100L18trti2_kernel_smallILi6EdPKPdEEv13rocblas_fill_17rocblas_diagonal_T1_iil,"axG",@progbits,_ZN9rocsolver6v33100L18trti2_kernel_smallILi6EdPKPdEEv13rocblas_fill_17rocblas_diagonal_T1_iil,comdat
	.globl	_ZN9rocsolver6v33100L18trti2_kernel_smallILi6EdPKPdEEv13rocblas_fill_17rocblas_diagonal_T1_iil ; -- Begin function _ZN9rocsolver6v33100L18trti2_kernel_smallILi6EdPKPdEEv13rocblas_fill_17rocblas_diagonal_T1_iil
	.p2align	8
	.type	_ZN9rocsolver6v33100L18trti2_kernel_smallILi6EdPKPdEEv13rocblas_fill_17rocblas_diagonal_T1_iil,@function
_ZN9rocsolver6v33100L18trti2_kernel_smallILi6EdPKPdEEv13rocblas_fill_17rocblas_diagonal_T1_iil: ; @_ZN9rocsolver6v33100L18trti2_kernel_smallILi6EdPKPdEEv13rocblas_fill_17rocblas_diagonal_T1_iil
; %bb.0:
	v_cmp_gt_u32_e32 vcc, 6, v0
	s_and_saveexec_b64 s[0:1], vcc
	s_cbranch_execz .LBB69_110
; %bb.1:
	s_load_dwordx2 s[0:1], s[4:5], 0x10
	s_load_dwordx4 s[12:15], s[4:5], 0x0
	s_ashr_i32 s7, s6, 31
	s_lshl_b64 s[2:3], s[6:7], 3
	v_lshlrev_b32_e32 v16, 3, v0
	s_waitcnt lgkmcnt(0)
	s_ashr_i32 s5, s0, 31
	s_add_u32 s2, s14, s2
	s_addc_u32 s3, s15, s3
	s_load_dwordx2 s[2:3], s[2:3], 0x0
	s_mov_b32 s4, s0
	s_lshl_b64 s[4:5], s[4:5], 3
	v_mov_b32_e32 v14, 0
	v_mov_b32_e32 v15, 0xbff00000
	s_waitcnt lgkmcnt(0)
	s_add_u32 s2, s2, s4
	s_addc_u32 s3, s3, s5
	v_mov_b32_e32 v1, s3
	v_add_co_u32_e32 v30, vcc, s2, v16
	s_ashr_i32 s5, s1, 31
	s_mov_b32 s4, s1
	s_add_i32 s0, s1, s1
	v_addc_co_u32_e32 v31, vcc, 0, v1, vcc
	s_lshl_b64 s[4:5], s[4:5], 3
	v_add_u32_e32 v2, s0, v0
	v_mov_b32_e32 v1, s5
	v_add_co_u32_e32 v32, vcc, s4, v30
	v_ashrrev_i32_e32 v3, 31, v2
	v_addc_co_u32_e32 v33, vcc, v31, v1, vcc
	v_lshlrev_b64 v[4:5], 3, v[2:3]
	v_add_u32_e32 v2, s1, v2
	v_mov_b32_e32 v1, s3
	v_add_co_u32_e32 v34, vcc, s2, v4
	v_ashrrev_i32_e32 v3, 31, v2
	v_addc_co_u32_e32 v35, vcc, v1, v5, vcc
	v_lshlrev_b64 v[4:5], 3, v[2:3]
	v_add_u32_e32 v2, s1, v2
	v_add_co_u32_e32 v36, vcc, s2, v4
	v_ashrrev_i32_e32 v3, 31, v2
	v_addc_co_u32_e32 v37, vcc, v1, v5, vcc
	v_lshlrev_b64 v[4:5], 3, v[2:3]
	v_add_u32_e32 v2, s1, v2
	v_add_co_u32_e32 v38, vcc, s2, v4
	v_ashrrev_i32_e32 v3, 31, v2
	v_addc_co_u32_e32 v39, vcc, v1, v5, vcc
	global_load_dwordx2 v[4:5], v[32:33], off
	global_load_dwordx2 v[6:7], v[34:35], off
	;; [unrolled: 1-line block ×4, first 2 shown]
	v_lshlrev_b64 v[2:3], 3, v[2:3]
	v_add_co_u32_e32 v40, vcc, s2, v2
	v_addc_co_u32_e32 v41, vcc, v1, v3, vcc
	global_load_dwordx2 v[2:3], v16, s[2:3]
	global_load_dwordx2 v[12:13], v[40:41], off
	s_cmpk_lg_i32 s13, 0x84
	v_mov_b32_e32 v1, 0
	s_cselect_b64 s[14:15], -1, 0
	s_cmpk_eq_i32 s13, 0x84
	v_cmp_eq_u32_e64 s[0:1], 0, v0
	s_cbranch_scc1 .LBB69_3
; %bb.2:
	v_cmp_eq_u32_e64 s[2:3], 1, v0
	s_waitcnt vmcnt(1)
	v_cndmask_b32_e64 v14, v3, v5, s[2:3]
	v_cmp_eq_u32_e64 s[4:5], 2, v0
	v_cndmask_b32_e64 v14, v14, v7, s[4:5]
	v_cmp_eq_u32_e64 s[6:7], 3, v0
	;; [unrolled: 2-line block ×4, first 2 shown]
	s_waitcnt vmcnt(0)
	v_cndmask_b32_e64 v15, v14, v13, s[10:11]
	v_cndmask_b32_e64 v14, v2, v4, s[2:3]
	;; [unrolled: 1-line block ×6, first 2 shown]
	v_div_scale_f64 v[18:19], s[16:17], v[14:15], v[14:15], 1.0
	v_rcp_f64_e32 v[20:21], v[18:19]
	v_fma_f64 v[22:23], -v[18:19], v[20:21], 1.0
	v_fmac_f64_e32 v[20:21], v[20:21], v[22:23]
	v_fma_f64 v[22:23], -v[18:19], v[20:21], 1.0
	v_fmac_f64_e32 v[20:21], v[20:21], v[22:23]
	v_div_scale_f64 v[22:23], vcc, 1.0, v[14:15], 1.0
	v_mul_f64 v[24:25], v[22:23], v[20:21]
	v_fma_f64 v[18:19], -v[18:19], v[24:25], v[22:23]
	s_nop 1
	v_div_fmas_f64 v[18:19], v[18:19], v[20:21], v[24:25]
	v_div_fixup_f64 v[14:15], v[18:19], v[14:15], 1.0
	v_cndmask_b32_e64 v13, v13, v15, s[10:11]
	v_cndmask_b32_e64 v12, v12, v14, s[10:11]
	v_cndmask_b32_e64 v11, v11, v15, s[8:9]
	v_cndmask_b32_e64 v10, v10, v14, s[8:9]
	v_cndmask_b32_e64 v9, v9, v15, s[6:7]
	v_cndmask_b32_e64 v8, v8, v14, s[6:7]
	v_cndmask_b32_e64 v7, v7, v15, s[4:5]
	v_cndmask_b32_e64 v6, v6, v14, s[4:5]
	v_cndmask_b32_e64 v5, v5, v15, s[2:3]
	v_cndmask_b32_e64 v4, v4, v14, s[2:3]
	v_cndmask_b32_e64 v3, v3, v15, s[0:1]
	v_cndmask_b32_e64 v2, v2, v14, s[0:1]
	v_xor_b32_e32 v15, 0x80000000, v15
.LBB69_3:
	s_cmpk_eq_i32 s12, 0x79
	v_add_u32_e32 v45, 48, v16
	ds_write_b64 v16, v[14:15]
	s_cbranch_scc1 .LBB69_7
; %bb.4:
	s_waitcnt vmcnt(0)
	v_pk_mov_b32 v[28:29], v[16:17], v[16:17] op_sel:[0,1]
	v_cmp_eq_u32_e64 s[0:1], 5, v0
	v_pk_mov_b32 v[26:27], v[14:15], v[14:15] op_sel:[0,1]
	v_pk_mov_b32 v[24:25], v[12:13], v[12:13] op_sel:[0,1]
	;; [unrolled: 1-line block ×7, first 2 shown]
	ds_write_b64 v45, v[10:11]
	s_waitcnt lgkmcnt(0)
	; wave barrier
	s_waitcnt lgkmcnt(0)
	s_and_saveexec_b64 s[10:11], s[0:1]
	s_cbranch_execz .LBB69_11
; %bb.5:
	s_and_b64 vcc, exec, s[14:15]
	s_cbranch_vccz .LBB69_8
; %bb.6:
	v_cmp_eq_u32_e32 vcc, 1, v0
	v_cndmask_b32_e32 v14, v3, v5, vcc
	v_cmp_eq_u32_e64 s[2:3], 2, v0
	v_cndmask_b32_e64 v14, v14, v7, s[2:3]
	v_cmp_eq_u32_e64 s[4:5], 3, v0
	v_cndmask_b32_e64 v14, v14, v9, s[4:5]
	;; [unrolled: 2-line block ×4, first 2 shown]
	v_cndmask_b32_e32 v14, v2, v4, vcc
	ds_read_b64 v[16:17], v45
	v_cndmask_b32_e64 v14, v14, v6, s[2:3]
	v_cndmask_b32_e64 v14, v14, v8, s[4:5]
	;; [unrolled: 1-line block ×4, first 2 shown]
	s_waitcnt lgkmcnt(0)
	v_mul_f64 v[18:19], v[14:15], v[16:17]
	s_cbranch_execz .LBB69_9
	s_branch .LBB69_10
.LBB69_7:
                                        ; implicit-def: $vgpr14_vgpr15_vgpr16_vgpr17_vgpr18_vgpr19_vgpr20_vgpr21_vgpr22_vgpr23_vgpr24_vgpr25_vgpr26_vgpr27_vgpr28_vgpr29
	s_cbranch_execnz .LBB69_66
	s_branch .LBB69_109
.LBB69_8:
                                        ; implicit-def: $vgpr18_vgpr19
.LBB69_9:
	ds_read_b64 v[18:19], v45
.LBB69_10:
	v_mov_b32_e32 v14, 0
	ds_read_b64 v[20:21], v14 offset:32
	v_mov_b32_e32 v14, v2
	v_mov_b32_e32 v15, v3
	v_mov_b32_e32 v16, v4
	v_mov_b32_e32 v17, v5
	s_waitcnt lgkmcnt(0)
	v_mul_f64 v[22:23], v[18:19], v[20:21]
	v_mov_b32_e32 v18, v6
	v_mov_b32_e32 v19, v7
	;; [unrolled: 1-line block ×6, first 2 shown]
.LBB69_11:
	s_or_b64 exec, exec, s[10:11]
	v_cmp_lt_u32_e64 s[2:3], 3, v0
	ds_write_b64 v45, v[20:21]
	s_waitcnt lgkmcnt(0)
	; wave barrier
	s_waitcnt lgkmcnt(0)
	s_and_saveexec_b64 s[12:13], s[2:3]
	s_cbranch_execz .LBB69_17
; %bb.12:
	s_andn2_b64 vcc, exec, s[14:15]
	s_cbranch_vccnz .LBB69_14
; %bb.13:
	v_cmp_eq_u32_e32 vcc, 1, v0
	v_cndmask_b32_e32 v26, v15, v17, vcc
	v_cmp_eq_u32_e64 s[4:5], 2, v0
	v_cndmask_b32_e64 v26, v26, v19, s[4:5]
	v_cmp_eq_u32_e64 s[6:7], 3, v0
	v_cndmask_b32_e64 v21, v26, v21, s[6:7]
	v_cndmask_b32_e32 v28, v14, v16, vcc
	ds_read_b64 v[26:27], v45
	v_cndmask_b32_e64 v28, v28, v18, s[4:5]
	v_cmp_eq_u32_e64 s[8:9], 4, v0
	v_cndmask_b32_e64 v20, v28, v20, s[6:7]
	v_cndmask_b32_e64 v21, v21, v23, s[8:9]
	v_cmp_eq_u32_e64 s[10:11], 5, v0
	v_cndmask_b32_e64 v20, v20, v22, s[8:9]
	v_cndmask_b32_e64 v21, v21, v25, s[10:11]
	;; [unrolled: 1-line block ×3, first 2 shown]
	s_waitcnt lgkmcnt(0)
	v_mul_f64 v[20:21], v[20:21], v[26:27]
	s_cbranch_execz .LBB69_15
	s_branch .LBB69_16
.LBB69_14:
                                        ; implicit-def: $vgpr20_vgpr21
.LBB69_15:
	ds_read_b64 v[20:21], v45
.LBB69_16:
	v_mov_b32_e32 v26, 0
	ds_read2_b64 v[26:29], v26 offset0:3 offset1:10
	s_waitcnt lgkmcnt(0)
	v_fma_f64 v[28:29], v[22:23], v[28:29], v[20:21]
	v_cndmask_b32_e64 v21, v21, v29, s[0:1]
	v_cndmask_b32_e64 v20, v20, v28, s[0:1]
	v_mul_f64 v[20:21], v[20:21], v[26:27]
.LBB69_17:
	s_or_b64 exec, exec, s[12:13]
	v_cmp_lt_u32_e64 s[0:1], 2, v0
	ds_write_b64 v45, v[18:19]
	s_waitcnt lgkmcnt(0)
	; wave barrier
	s_waitcnt lgkmcnt(0)
	s_and_saveexec_b64 s[12:13], s[0:1]
	s_cbranch_execz .LBB69_33
; %bb.18:
	s_andn2_b64 vcc, exec, s[14:15]
	s_cbranch_vccnz .LBB69_20
; %bb.19:
	v_cmp_eq_u32_e32 vcc, 1, v0
	v_cndmask_b32_e32 v42, v15, v17, vcc
	v_cmp_eq_u32_e64 s[4:5], 2, v0
	v_cndmask_b32_e64 v42, v42, v19, s[4:5]
	v_cmp_eq_u32_e64 s[6:7], 3, v0
	v_cndmask_b32_e64 v42, v42, v21, s[6:7]
	;; [unrolled: 2-line block ×4, first 2 shown]
	v_cndmask_b32_e32 v42, v14, v16, vcc
	ds_read_b64 v[46:47], v45
	v_cndmask_b32_e64 v42, v42, v18, s[4:5]
	v_cndmask_b32_e64 v42, v42, v20, s[6:7]
	;; [unrolled: 1-line block ×4, first 2 shown]
	s_waitcnt lgkmcnt(0)
	v_mul_f64 v[42:43], v[42:43], v[46:47]
	s_cbranch_execz .LBB69_21
	s_branch .LBB69_22
.LBB69_20:
                                        ; implicit-def: $vgpr42_vgpr43
.LBB69_21:
	ds_read_b64 v[42:43], v45
.LBB69_22:
	s_and_saveexec_b64 s[6:7], s[2:3]
	s_cbranch_execz .LBB69_32
; %bb.23:
	v_add_u32_e32 v44, -4, v0
	v_add_u32_e32 v47, -3, v0
	v_cmp_lt_u32_e32 vcc, 6, v44
	v_mov_b32_e32 v46, 3
	s_and_saveexec_b64 s[2:3], vcc
	s_cbranch_execz .LBB69_27
; %bb.24:
	v_and_b32_e32 v44, -8, v47
	v_sub_u32_e32 v44, 0, v44
	s_mov_b64 s[4:5], 10
	s_movk_i32 s10, 0x48
	s_mov_b64 s[8:9], 0
.LBB69_25:                              ; =>This Inner Loop Header: Depth=1
	s_lshl_b32 s11, s4, 1
	s_add_i32 s16, s11, -13
	v_mov_b32_e32 v62, s10
	s_add_i32 s17, s11, -14
	s_set_gpr_idx_on s16, gpr_idx(SRC0)
	v_mov_b32_e32 v57, v14
	s_set_gpr_idx_off
	s_add_i32 s18, s11, -11
	s_set_gpr_idx_on s17, gpr_idx(SRC0)
	v_mov_b32_e32 v56, v14
	s_set_gpr_idx_off
	ds_read2_b64 v[48:51], v62 offset1:1
	s_add_i32 s19, s11, -12
	s_set_gpr_idx_on s18, gpr_idx(SRC0)
	v_mov_b32_e32 v59, v14
	s_set_gpr_idx_off
	s_add_i32 s20, s11, -9
	s_set_gpr_idx_on s19, gpr_idx(SRC0)
	v_mov_b32_e32 v58, v14
	s_set_gpr_idx_off
	;; [unrolled: 4-line block ×4, first 2 shown]
	ds_read2_b64 v[52:55], v62 offset0:2 offset1:3
	s_add_i32 s23, s11, -8
	s_waitcnt lgkmcnt(1)
	v_fmac_f64_e32 v[42:43], v[56:57], v[48:49]
	s_set_gpr_idx_on s22, gpr_idx(SRC0)
	v_mov_b32_e32 v57, v14
	s_set_gpr_idx_off
	s_add_i32 s24, s11, -5
	v_fmac_f64_e32 v[42:43], v[58:59], v[50:51]
	s_set_gpr_idx_on s23, gpr_idx(SRC0)
	v_mov_b32_e32 v56, v14
	s_set_gpr_idx_off
	s_add_i32 s25, s11, -6
	s_set_gpr_idx_on s24, gpr_idx(SRC0)
	v_mov_b32_e32 v59, v14
	s_set_gpr_idx_off
	s_add_i32 s26, s11, -3
	s_set_gpr_idx_on s25, gpr_idx(SRC0)
	v_mov_b32_e32 v58, v14
	s_set_gpr_idx_off
	s_add_i32 s27, s11, -4
	ds_read2_b64 v[48:51], v62 offset0:4 offset1:5
	s_waitcnt lgkmcnt(1)
	v_fmac_f64_e32 v[42:43], v[60:61], v[52:53]
	s_set_gpr_idx_on s26, gpr_idx(SRC0)
	v_mov_b32_e32 v61, v14
	s_set_gpr_idx_off
	s_add_i32 s28, s11, -1
	v_fmac_f64_e32 v[42:43], v[56:57], v[54:55]
	s_set_gpr_idx_on s27, gpr_idx(SRC0)
	v_mov_b32_e32 v60, v14
	s_set_gpr_idx_off
	s_add_i32 s29, s11, -2
	s_set_gpr_idx_on s28, gpr_idx(SRC0)
	v_mov_b32_e32 v57, v14
	s_set_gpr_idx_off
	s_set_gpr_idx_on s29, gpr_idx(SRC0)
	v_mov_b32_e32 v56, v14
	s_set_gpr_idx_off
	ds_read2_b64 v[52:55], v62 offset0:6 offset1:7
	s_add_u32 s4, s4, 8
	s_waitcnt lgkmcnt(1)
	v_fmac_f64_e32 v[42:43], v[58:59], v[48:49]
	s_set_gpr_idx_on s11, gpr_idx(SRC0)
	v_mov_b32_e32 v49, v15
	s_set_gpr_idx_off
	v_add_u32_e32 v46, s4, v44
	v_fmac_f64_e32 v[42:43], v[60:61], v[50:51]
	s_set_gpr_idx_on s11, gpr_idx(SRC0)
	v_mov_b32_e32 v48, v14
	s_set_gpr_idx_off
	s_addc_u32 s5, s5, 0
	s_add_i32 s10, s10, 64
	s_add_i32 s16, s4, -7
	v_cmp_eq_u32_e32 vcc, 10, v46
	s_waitcnt lgkmcnt(0)
	v_fmac_f64_e32 v[42:43], v[56:57], v[52:53]
	v_mov_b32_e32 v46, s16
	s_or_b64 s[8:9], vcc, s[8:9]
	v_fmac_f64_e32 v[42:43], v[48:49], v[54:55]
	s_andn2_b64 exec, exec, s[8:9]
	s_cbranch_execnz .LBB69_25
; %bb.26:
	s_or_b64 exec, exec, s[8:9]
.LBB69_27:
	s_or_b64 exec, exec, s[2:3]
	v_and_b32_e32 v26, 7, v47
	v_cmp_ne_u32_e32 vcc, 0, v26
	s_and_saveexec_b64 s[8:9], vcc
	s_cbranch_execz .LBB69_31
; %bb.28:
	v_lshl_add_u32 v28, v46, 3, 48
	v_mov_b32_e32 v27, 0
	s_mov_b64 s[10:11], 0
.LBB69_29:                              ; =>This Inner Loop Header: Depth=1
	v_cmp_eq_u32_e32 vcc, 1, v46
	v_cndmask_b32_e32 v29, v15, v17, vcc
	v_add_u32_e32 v26, -1, v26
	v_cmp_eq_u32_e64 s[2:3], 2, v46
	ds_read_b64 v[48:49], v28
	v_cndmask_b32_e64 v29, v29, v19, s[2:3]
	v_cndmask_b32_e32 v44, v14, v16, vcc
	v_cmp_eq_u32_e32 vcc, 0, v26
	v_cmp_eq_u32_e64 s[4:5], 3, v46
	v_cndmask_b32_e64 v29, v29, v21, s[4:5]
	v_cndmask_b32_e64 v44, v44, v18, s[2:3]
	s_or_b64 s[10:11], vcc, s[10:11]
	v_cmp_eq_u32_e32 vcc, 4, v46
	v_cndmask_b32_e32 v29, v29, v23, vcc
	v_cmp_eq_u32_e64 s[2:3], 5, v46
	v_cndmask_b32_e64 v44, v44, v20, s[4:5]
	v_cndmask_b32_e64 v51, v29, v25, s[2:3]
	v_cndmask_b32_e32 v29, v44, v22, vcc
	v_add_co_u32_e64 v46, s[4:5], 1, v46
	v_cndmask_b32_e64 v50, v29, v24, s[2:3]
	v_add_u32_e32 v28, 8, v28
	v_addc_co_u32_e64 v27, s[4:5], 0, v27, s[4:5]
	s_waitcnt lgkmcnt(0)
	v_fmac_f64_e32 v[42:43], v[50:51], v[48:49]
	s_andn2_b64 exec, exec, s[10:11]
	s_cbranch_execnz .LBB69_29
; %bb.30:
	s_or_b64 exec, exec, s[10:11]
.LBB69_31:
	s_or_b64 exec, exec, s[8:9]
.LBB69_32:
	s_or_b64 exec, exec, s[6:7]
	v_mov_b32_e32 v18, 0
	ds_read_b64 v[18:19], v18 offset:16
	s_waitcnt lgkmcnt(0)
	v_mul_f64 v[18:19], v[42:43], v[18:19]
.LBB69_33:
	s_or_b64 exec, exec, s[12:13]
	v_cmp_lt_u32_e64 s[2:3], 1, v0
	ds_write_b64 v45, v[16:17]
	s_waitcnt lgkmcnt(0)
	; wave barrier
	s_waitcnt lgkmcnt(0)
	s_and_saveexec_b64 s[12:13], s[2:3]
	s_cbranch_execz .LBB69_49
; %bb.34:
	s_andn2_b64 vcc, exec, s[14:15]
	s_cbranch_vccnz .LBB69_36
; %bb.35:
	v_cmp_eq_u32_e32 vcc, 1, v0
	v_cndmask_b32_e32 v42, v15, v17, vcc
	v_cmp_eq_u32_e64 s[4:5], 2, v0
	v_cndmask_b32_e64 v42, v42, v19, s[4:5]
	v_cmp_eq_u32_e64 s[6:7], 3, v0
	v_cndmask_b32_e64 v42, v42, v21, s[6:7]
	v_cmp_eq_u32_e64 s[8:9], 4, v0
	v_cndmask_b32_e64 v42, v42, v23, s[8:9]
	v_cmp_eq_u32_e64 s[10:11], 5, v0
	v_cndmask_b32_e64 v43, v42, v25, s[10:11]
	v_cndmask_b32_e32 v42, v14, v16, vcc
	ds_read_b64 v[46:47], v45
	v_cndmask_b32_e64 v42, v42, v18, s[4:5]
	v_cndmask_b32_e64 v42, v42, v20, s[6:7]
	v_cndmask_b32_e64 v42, v42, v22, s[8:9]
	v_cndmask_b32_e64 v42, v42, v24, s[10:11]
	s_waitcnt lgkmcnt(0)
	v_mul_f64 v[42:43], v[42:43], v[46:47]
	s_cbranch_execz .LBB69_37
	s_branch .LBB69_38
.LBB69_36:
                                        ; implicit-def: $vgpr42_vgpr43
.LBB69_37:
	ds_read_b64 v[42:43], v45
.LBB69_38:
	s_and_saveexec_b64 s[6:7], s[0:1]
	s_cbranch_execz .LBB69_48
; %bb.39:
	v_add_u32_e32 v44, -3, v0
	v_add_u32_e32 v47, -2, v0
	v_cmp_lt_u32_e32 vcc, 6, v44
	v_mov_b32_e32 v46, 2
	s_and_saveexec_b64 s[0:1], vcc
	s_cbranch_execz .LBB69_43
; %bb.40:
	v_and_b32_e32 v44, -8, v47
	v_sub_u32_e32 v44, 0, v44
	s_mov_b64 s[4:5], 9
	s_mov_b32 s10, 64
	s_mov_b64 s[8:9], 0
.LBB69_41:                              ; =>This Inner Loop Header: Depth=1
	s_lshl_b32 s11, s4, 1
	s_add_i32 s16, s11, -13
	s_add_i32 s17, s11, -14
	s_set_gpr_idx_on s16, gpr_idx(SRC0)
	v_mov_b32_e32 v65, v14
	s_set_gpr_idx_off
	v_mov_b32_e32 v46, s10
	s_add_i32 s18, s11, -11
	s_set_gpr_idx_on s17, gpr_idx(SRC0)
	v_mov_b32_e32 v64, v14
	s_set_gpr_idx_off
	s_add_i32 s19, s11, -12
	ds_read_b128 v[48:51], v46
	ds_read_b128 v[52:55], v46 offset:16
	ds_read_b128 v[56:59], v46 offset:32
	;; [unrolled: 1-line block ×3, first 2 shown]
	s_set_gpr_idx_on s18, gpr_idx(SRC0)
	v_mov_b32_e32 v67, v14
	s_set_gpr_idx_off
	s_add_i32 s20, s11, -9
	s_set_gpr_idx_on s19, gpr_idx(SRC0)
	v_mov_b32_e32 v66, v14
	s_set_gpr_idx_off
	s_add_i32 s21, s11, -10
	;; [unrolled: 4-line block ×4, first 2 shown]
	s_waitcnt lgkmcnt(3)
	v_fmac_f64_e32 v[42:43], v[64:65], v[48:49]
	s_set_gpr_idx_on s22, gpr_idx(SRC0)
	v_mov_b32_e32 v49, v14
	s_set_gpr_idx_off
	s_add_i32 s24, s11, -5
	v_fmac_f64_e32 v[42:43], v[66:67], v[50:51]
	s_set_gpr_idx_on s23, gpr_idx(SRC0)
	v_mov_b32_e32 v48, v14
	s_set_gpr_idx_off
	s_add_i32 s25, s11, -6
	s_waitcnt lgkmcnt(2)
	v_fmac_f64_e32 v[42:43], v[68:69], v[52:53]
	s_set_gpr_idx_on s24, gpr_idx(SRC0)
	v_mov_b32_e32 v51, v14
	s_set_gpr_idx_off
	s_add_i32 s26, s11, -3
	v_fmac_f64_e32 v[42:43], v[48:49], v[54:55]
	s_set_gpr_idx_on s25, gpr_idx(SRC0)
	v_mov_b32_e32 v50, v14
	s_set_gpr_idx_off
	s_add_i32 s27, s11, -4
	s_waitcnt lgkmcnt(1)
	v_fmac_f64_e32 v[42:43], v[50:51], v[56:57]
	s_set_gpr_idx_on s26, gpr_idx(SRC0)
	v_mov_b32_e32 v49, v14
	s_set_gpr_idx_off
	s_add_i32 s28, s11, -1
	s_set_gpr_idx_on s27, gpr_idx(SRC0)
	v_mov_b32_e32 v48, v14
	s_set_gpr_idx_off
	s_add_i32 s29, s11, -2
	v_fmac_f64_e32 v[42:43], v[48:49], v[58:59]
	s_set_gpr_idx_on s28, gpr_idx(SRC0)
	v_mov_b32_e32 v49, v14
	s_set_gpr_idx_off
	s_add_u32 s4, s4, 8
	s_set_gpr_idx_on s29, gpr_idx(SRC0)
	v_mov_b32_e32 v48, v14
	s_set_gpr_idx_off
	v_add_u32_e32 v46, s4, v44
	s_waitcnt lgkmcnt(0)
	v_fmac_f64_e32 v[42:43], v[48:49], v[60:61]
	s_set_gpr_idx_on s11, gpr_idx(SRC0)
	v_mov_b32_e32 v49, v15
	s_set_gpr_idx_off
	s_addc_u32 s5, s5, 0
	s_add_i32 s10, s10, 64
	s_add_i32 s16, s4, -7
	v_cmp_eq_u32_e32 vcc, 9, v46
	s_set_gpr_idx_on s11, gpr_idx(SRC0)
	v_mov_b32_e32 v48, v14
	s_set_gpr_idx_off
	v_mov_b32_e32 v46, s16
	s_or_b64 s[8:9], vcc, s[8:9]
	v_fmac_f64_e32 v[42:43], v[48:49], v[62:63]
	s_andn2_b64 exec, exec, s[8:9]
	s_cbranch_execnz .LBB69_41
; %bb.42:
	s_or_b64 exec, exec, s[8:9]
.LBB69_43:
	s_or_b64 exec, exec, s[0:1]
	v_and_b32_e32 v26, 7, v47
	v_cmp_ne_u32_e32 vcc, 0, v26
	s_and_saveexec_b64 s[8:9], vcc
	s_cbranch_execz .LBB69_47
; %bb.44:
	v_lshl_add_u32 v28, v46, 3, 48
	v_mov_b32_e32 v27, 0
	s_mov_b64 s[10:11], 0
.LBB69_45:                              ; =>This Inner Loop Header: Depth=1
	v_cmp_eq_u32_e32 vcc, 1, v46
	v_cndmask_b32_e32 v29, v15, v17, vcc
	v_add_u32_e32 v26, -1, v26
	v_cmp_eq_u32_e64 s[0:1], 2, v46
	ds_read_b64 v[48:49], v28
	v_cndmask_b32_e64 v29, v29, v19, s[0:1]
	v_cndmask_b32_e32 v44, v14, v16, vcc
	v_cmp_eq_u32_e32 vcc, 0, v26
	v_cmp_eq_u32_e64 s[4:5], 3, v46
	v_cndmask_b32_e64 v29, v29, v21, s[4:5]
	v_cndmask_b32_e64 v44, v44, v18, s[0:1]
	s_or_b64 s[10:11], vcc, s[10:11]
	v_cmp_eq_u32_e32 vcc, 4, v46
	v_cndmask_b32_e32 v29, v29, v23, vcc
	v_cmp_eq_u32_e64 s[0:1], 5, v46
	v_cndmask_b32_e64 v44, v44, v20, s[4:5]
	v_cndmask_b32_e64 v51, v29, v25, s[0:1]
	v_cndmask_b32_e32 v29, v44, v22, vcc
	v_add_co_u32_e64 v46, s[4:5], 1, v46
	v_cndmask_b32_e64 v50, v29, v24, s[0:1]
	v_add_u32_e32 v28, 8, v28
	v_addc_co_u32_e64 v27, s[4:5], 0, v27, s[4:5]
	s_waitcnt lgkmcnt(0)
	v_fmac_f64_e32 v[42:43], v[50:51], v[48:49]
	s_andn2_b64 exec, exec, s[10:11]
	s_cbranch_execnz .LBB69_45
; %bb.46:
	s_or_b64 exec, exec, s[10:11]
.LBB69_47:
	s_or_b64 exec, exec, s[8:9]
.LBB69_48:
	s_or_b64 exec, exec, s[6:7]
	v_mov_b32_e32 v16, 0
	ds_read_b64 v[16:17], v16 offset:8
	s_waitcnt lgkmcnt(0)
	v_mul_f64 v[16:17], v[42:43], v[16:17]
.LBB69_49:
	s_or_b64 exec, exec, s[12:13]
	v_cmp_ne_u32_e32 vcc, 0, v0
	ds_write_b64 v45, v[14:15]
	s_waitcnt lgkmcnt(0)
	; wave barrier
	s_waitcnt lgkmcnt(0)
	s_and_saveexec_b64 s[10:11], vcc
	s_cbranch_execz .LBB69_65
; %bb.50:
	s_andn2_b64 vcc, exec, s[14:15]
	s_cbranch_vccnz .LBB69_52
; %bb.51:
	v_cmp_eq_u32_e32 vcc, 1, v0
	v_cndmask_b32_e32 v42, v15, v17, vcc
	v_cmp_eq_u32_e64 s[0:1], 2, v0
	v_cndmask_b32_e64 v42, v42, v19, s[0:1]
	v_cmp_eq_u32_e64 s[4:5], 3, v0
	v_cndmask_b32_e64 v42, v42, v21, s[4:5]
	;; [unrolled: 2-line block ×4, first 2 shown]
	v_cndmask_b32_e32 v42, v14, v16, vcc
	ds_read_b64 v[46:47], v45
	v_cndmask_b32_e64 v42, v42, v18, s[0:1]
	v_cndmask_b32_e64 v42, v42, v20, s[4:5]
	;; [unrolled: 1-line block ×4, first 2 shown]
	s_waitcnt lgkmcnt(0)
	v_mul_f64 v[42:43], v[42:43], v[46:47]
	s_cbranch_execz .LBB69_53
	s_branch .LBB69_54
.LBB69_52:
                                        ; implicit-def: $vgpr42_vgpr43
.LBB69_53:
	ds_read_b64 v[42:43], v45
.LBB69_54:
	s_and_saveexec_b64 s[4:5], s[2:3]
	s_cbranch_execz .LBB69_64
; %bb.55:
	v_add_u32_e32 v44, -2, v0
	v_add_u32_e32 v47, -1, v0
	v_cmp_lt_u32_e32 vcc, 6, v44
	v_mov_b32_e32 v46, 1
	s_and_saveexec_b64 s[0:1], vcc
	s_cbranch_execz .LBB69_59
; %bb.56:
	v_and_b32_e32 v44, -8, v47
	v_sub_u32_e32 v44, 0, v44
	s_mov_b64 s[2:3], 8
	s_mov_b32 s8, 56
	s_mov_b64 s[6:7], 0
.LBB69_57:                              ; =>This Inner Loop Header: Depth=1
	s_lshl_b32 s9, s2, 1
	s_add_i32 s12, s9, -13
	v_mov_b32_e32 v62, s8
	s_add_i32 s13, s9, -14
	s_set_gpr_idx_on s12, gpr_idx(SRC0)
	v_mov_b32_e32 v57, v14
	s_set_gpr_idx_off
	s_add_i32 s16, s9, -11
	s_set_gpr_idx_on s13, gpr_idx(SRC0)
	v_mov_b32_e32 v56, v14
	s_set_gpr_idx_off
	ds_read2_b64 v[48:51], v62 offset1:1
	s_add_i32 s17, s9, -12
	s_set_gpr_idx_on s16, gpr_idx(SRC0)
	v_mov_b32_e32 v59, v14
	s_set_gpr_idx_off
	s_add_i32 s18, s9, -9
	s_set_gpr_idx_on s17, gpr_idx(SRC0)
	v_mov_b32_e32 v58, v14
	s_set_gpr_idx_off
	;; [unrolled: 4-line block ×4, first 2 shown]
	ds_read2_b64 v[52:55], v62 offset0:2 offset1:3
	s_add_i32 s21, s9, -8
	s_waitcnt lgkmcnt(1)
	v_fmac_f64_e32 v[42:43], v[56:57], v[48:49]
	s_set_gpr_idx_on s20, gpr_idx(SRC0)
	v_mov_b32_e32 v57, v14
	s_set_gpr_idx_off
	s_add_i32 s22, s9, -5
	v_fmac_f64_e32 v[42:43], v[58:59], v[50:51]
	s_set_gpr_idx_on s21, gpr_idx(SRC0)
	v_mov_b32_e32 v56, v14
	s_set_gpr_idx_off
	s_add_i32 s23, s9, -6
	s_set_gpr_idx_on s22, gpr_idx(SRC0)
	v_mov_b32_e32 v59, v14
	s_set_gpr_idx_off
	s_add_i32 s24, s9, -3
	;; [unrolled: 4-line block ×3, first 2 shown]
	ds_read2_b64 v[48:51], v62 offset0:4 offset1:5
	s_waitcnt lgkmcnt(1)
	v_fmac_f64_e32 v[42:43], v[60:61], v[52:53]
	s_set_gpr_idx_on s24, gpr_idx(SRC0)
	v_mov_b32_e32 v61, v14
	s_set_gpr_idx_off
	s_add_i32 s26, s9, -1
	v_fmac_f64_e32 v[42:43], v[56:57], v[54:55]
	s_set_gpr_idx_on s25, gpr_idx(SRC0)
	v_mov_b32_e32 v60, v14
	s_set_gpr_idx_off
	s_add_i32 s27, s9, -2
	s_set_gpr_idx_on s26, gpr_idx(SRC0)
	v_mov_b32_e32 v57, v14
	s_set_gpr_idx_off
	s_set_gpr_idx_on s27, gpr_idx(SRC0)
	v_mov_b32_e32 v56, v14
	s_set_gpr_idx_off
	ds_read2_b64 v[52:55], v62 offset0:6 offset1:7
	s_add_u32 s2, s2, 8
	s_waitcnt lgkmcnt(1)
	v_fmac_f64_e32 v[42:43], v[58:59], v[48:49]
	s_set_gpr_idx_on s9, gpr_idx(SRC0)
	v_mov_b32_e32 v49, v15
	s_set_gpr_idx_off
	v_add_u32_e32 v46, s2, v44
	v_fmac_f64_e32 v[42:43], v[60:61], v[50:51]
	s_set_gpr_idx_on s9, gpr_idx(SRC0)
	v_mov_b32_e32 v48, v14
	s_set_gpr_idx_off
	s_addc_u32 s3, s3, 0
	s_add_i32 s8, s8, 64
	s_add_i32 s12, s2, -7
	v_cmp_eq_u32_e32 vcc, 8, v46
	s_waitcnt lgkmcnt(0)
	v_fmac_f64_e32 v[42:43], v[56:57], v[52:53]
	v_mov_b32_e32 v46, s12
	s_or_b64 s[6:7], vcc, s[6:7]
	v_fmac_f64_e32 v[42:43], v[48:49], v[54:55]
	s_andn2_b64 exec, exec, s[6:7]
	s_cbranch_execnz .LBB69_57
; %bb.58:
	s_or_b64 exec, exec, s[6:7]
.LBB69_59:
	s_or_b64 exec, exec, s[0:1]
	v_and_b32_e32 v26, 7, v47
	v_cmp_ne_u32_e32 vcc, 0, v26
	s_and_saveexec_b64 s[6:7], vcc
	s_cbranch_execz .LBB69_63
; %bb.60:
	v_lshl_add_u32 v28, v46, 3, 48
	v_mov_b32_e32 v27, 0
	s_mov_b64 s[8:9], 0
.LBB69_61:                              ; =>This Inner Loop Header: Depth=1
	v_cmp_eq_u32_e32 vcc, 1, v46
	v_cndmask_b32_e32 v29, v15, v17, vcc
	v_add_u32_e32 v26, -1, v26
	v_cmp_eq_u32_e64 s[0:1], 2, v46
	ds_read_b64 v[48:49], v28
	v_cndmask_b32_e64 v29, v29, v19, s[0:1]
	v_cndmask_b32_e32 v44, v14, v16, vcc
	v_cmp_eq_u32_e32 vcc, 0, v26
	v_cmp_eq_u32_e64 s[2:3], 3, v46
	v_cndmask_b32_e64 v29, v29, v21, s[2:3]
	v_cndmask_b32_e64 v44, v44, v18, s[0:1]
	s_or_b64 s[8:9], vcc, s[8:9]
	v_cmp_eq_u32_e32 vcc, 4, v46
	v_cndmask_b32_e32 v29, v29, v23, vcc
	v_cmp_eq_u32_e64 s[0:1], 5, v46
	v_cndmask_b32_e64 v44, v44, v20, s[2:3]
	v_cndmask_b32_e64 v51, v29, v25, s[0:1]
	v_cndmask_b32_e32 v29, v44, v22, vcc
	v_add_co_u32_e64 v46, s[2:3], 1, v46
	v_cndmask_b32_e64 v50, v29, v24, s[0:1]
	v_add_u32_e32 v28, 8, v28
	v_addc_co_u32_e64 v27, s[2:3], 0, v27, s[2:3]
	s_waitcnt lgkmcnt(0)
	v_fmac_f64_e32 v[42:43], v[50:51], v[48:49]
	s_andn2_b64 exec, exec, s[8:9]
	s_cbranch_execnz .LBB69_61
; %bb.62:
	s_or_b64 exec, exec, s[8:9]
.LBB69_63:
	s_or_b64 exec, exec, s[6:7]
.LBB69_64:
	s_or_b64 exec, exec, s[4:5]
	v_mov_b32_e32 v14, 0
	ds_read_b64 v[14:15], v14
	s_waitcnt lgkmcnt(0)
	v_mul_f64 v[14:15], v[42:43], v[14:15]
.LBB69_65:
	s_or_b64 exec, exec, s[10:11]
	s_branch .LBB69_109
.LBB69_66:
	v_cmp_eq_u32_e64 s[2:3], 0, v0
	s_waitcnt vmcnt(5)
	ds_write_b64 v45, v[4:5]
	s_waitcnt lgkmcnt(0)
	; wave barrier
	s_waitcnt lgkmcnt(0)
	s_and_saveexec_b64 s[10:11], s[2:3]
	s_cbranch_execz .LBB69_72
; %bb.67:
	s_and_b64 vcc, exec, s[14:15]
	s_cbranch_vccz .LBB69_69
; %bb.68:
	v_cmp_eq_u32_e32 vcc, 1, v0
	s_waitcnt vmcnt(1)
	v_cndmask_b32_e32 v5, v3, v5, vcc
	v_cmp_eq_u32_e64 s[0:1], 2, v0
	v_cndmask_b32_e32 v4, v2, v4, vcc
	ds_read_b64 v[14:15], v45
	v_cndmask_b32_e64 v5, v5, v7, s[0:1]
	v_cmp_eq_u32_e64 s[4:5], 3, v0
	v_cndmask_b32_e64 v4, v4, v6, s[0:1]
	v_cndmask_b32_e64 v5, v5, v9, s[4:5]
	v_cmp_eq_u32_e64 s[6:7], 4, v0
	v_cndmask_b32_e64 v4, v4, v8, s[4:5]
	;; [unrolled: 3-line block ×3, first 2 shown]
	s_waitcnt vmcnt(0)
	v_cndmask_b32_e64 v5, v5, v13, s[8:9]
	v_cndmask_b32_e64 v4, v4, v12, s[8:9]
	s_waitcnt lgkmcnt(0)
	v_mul_f64 v[4:5], v[4:5], v[14:15]
	s_cbranch_execz .LBB69_70
	s_branch .LBB69_71
.LBB69_69:
                                        ; implicit-def: $vgpr4_vgpr5
.LBB69_70:
	ds_read_b64 v[4:5], v45
.LBB69_71:
	v_mov_b32_e32 v14, 0
	ds_read_b64 v[14:15], v14 offset:8
	s_waitcnt lgkmcnt(0)
	v_mul_f64 v[4:5], v[4:5], v[14:15]
.LBB69_72:
	s_or_b64 exec, exec, s[10:11]
	v_cndmask_b32_e64 v14, 0, 1, s[14:15]
	v_add_u32_e32 v16, 1, v0
	v_cmp_gt_u32_e32 vcc, 2, v0
	v_cmp_ne_u32_e64 s[0:1], 1, v14
	s_waitcnt vmcnt(4)
	ds_write_b64 v45, v[6:7]
	s_waitcnt lgkmcnt(0)
	; wave barrier
	s_waitcnt lgkmcnt(0)
	s_and_saveexec_b64 s[12:13], vcc
	s_cbranch_execz .LBB69_80
; %bb.73:
	s_and_b64 vcc, exec, s[0:1]
	s_cbranch_vccnz .LBB69_75
; %bb.74:
	v_cmp_eq_u32_e32 vcc, 1, v0
	s_waitcnt vmcnt(1)
	v_cndmask_b32_e32 v14, v3, v5, vcc
	v_cmp_eq_u32_e64 s[4:5], 2, v0
	v_cndmask_b32_e64 v14, v14, v7, s[4:5]
	v_cmp_eq_u32_e64 s[6:7], 3, v0
	v_cndmask_b32_e64 v14, v14, v9, s[6:7]
	;; [unrolled: 2-line block ×3, first 2 shown]
	v_cmp_eq_u32_e64 s[10:11], 5, v0
	s_waitcnt vmcnt(0)
	v_cndmask_b32_e64 v15, v14, v13, s[10:11]
	v_cndmask_b32_e32 v14, v2, v4, vcc
	ds_read_b64 v[18:19], v45
	v_cndmask_b32_e64 v14, v14, v6, s[4:5]
	v_cndmask_b32_e64 v14, v14, v8, s[6:7]
	;; [unrolled: 1-line block ×4, first 2 shown]
	s_waitcnt lgkmcnt(0)
	v_mul_f64 v[14:15], v[14:15], v[18:19]
	s_cbranch_execz .LBB69_76
	s_branch .LBB69_77
.LBB69_75:
                                        ; implicit-def: $vgpr14_vgpr15
.LBB69_76:
	ds_read_b64 v[14:15], v45
.LBB69_77:
	s_and_saveexec_b64 s[14:15], s[2:3]
	s_cbranch_execz .LBB69_79
; %bb.78:
	v_cmp_eq_u32_e32 vcc, 1, v16
	s_waitcnt vmcnt(1)
	v_cndmask_b32_e32 v17, v3, v5, vcc
	v_cmp_eq_u32_e64 s[4:5], 2, v16
	v_cndmask_b32_e64 v7, v17, v7, s[4:5]
	v_cndmask_b32_e32 v17, v2, v4, vcc
	ds_read_b64 v[18:19], v45 offset:8
	v_cmp_eq_u32_e64 s[6:7], 3, v16
	v_cndmask_b32_e64 v6, v17, v6, s[4:5]
	v_cndmask_b32_e64 v7, v7, v9, s[6:7]
	v_cmp_eq_u32_e64 s[8:9], 4, v16
	v_cndmask_b32_e64 v6, v6, v8, s[6:7]
	v_cndmask_b32_e64 v7, v7, v11, s[8:9]
	v_cmp_eq_u32_e64 s[10:11], 5, v16
	v_cndmask_b32_e64 v6, v6, v10, s[8:9]
	s_waitcnt vmcnt(0)
	v_cndmask_b32_e64 v7, v7, v13, s[10:11]
	v_cndmask_b32_e64 v6, v6, v12, s[10:11]
	s_waitcnt lgkmcnt(0)
	v_fmac_f64_e32 v[14:15], v[6:7], v[18:19]
.LBB69_79:
	s_or_b64 exec, exec, s[14:15]
	v_mov_b32_e32 v6, 0
	ds_read_b64 v[6:7], v6 offset:16
	s_waitcnt lgkmcnt(0)
	v_mul_f64 v[6:7], v[14:15], v[6:7]
.LBB69_80:
	s_or_b64 exec, exec, s[12:13]
	v_cmp_gt_u32_e32 vcc, 3, v0
	s_waitcnt vmcnt(3)
	ds_write_b64 v45, v[8:9]
	s_waitcnt lgkmcnt(0)
	; wave barrier
	s_waitcnt lgkmcnt(0)
	s_and_saveexec_b64 s[12:13], vcc
	s_cbranch_execz .LBB69_88
; %bb.81:
	s_and_b64 vcc, exec, s[0:1]
	s_cbranch_vccnz .LBB69_83
; %bb.82:
	v_cmp_eq_u32_e32 vcc, 1, v0
	s_waitcnt vmcnt(1)
	v_cndmask_b32_e32 v14, v3, v5, vcc
	v_cmp_eq_u32_e64 s[4:5], 2, v0
	v_cndmask_b32_e64 v14, v14, v7, s[4:5]
	v_cmp_eq_u32_e64 s[6:7], 3, v0
	v_cndmask_b32_e64 v14, v14, v9, s[6:7]
	;; [unrolled: 2-line block ×3, first 2 shown]
	v_cmp_eq_u32_e64 s[10:11], 5, v0
	s_waitcnt vmcnt(0)
	v_cndmask_b32_e64 v15, v14, v13, s[10:11]
	v_cndmask_b32_e32 v14, v2, v4, vcc
	ds_read_b64 v[18:19], v45
	v_cndmask_b32_e64 v14, v14, v6, s[4:5]
	v_cndmask_b32_e64 v14, v14, v8, s[6:7]
	;; [unrolled: 1-line block ×4, first 2 shown]
	s_waitcnt lgkmcnt(0)
	v_mul_f64 v[14:15], v[14:15], v[18:19]
	s_cbranch_execz .LBB69_84
	s_branch .LBB69_85
.LBB69_83:
                                        ; implicit-def: $vgpr14_vgpr15
.LBB69_84:
	ds_read_b64 v[14:15], v45
.LBB69_85:
	v_cmp_ne_u32_e32 vcc, 2, v0
	s_and_saveexec_b64 s[14:15], vcc
	s_cbranch_execz .LBB69_87
; %bb.86:
	v_cmp_eq_u32_e32 vcc, 1, v16
	s_waitcnt vmcnt(1)
	v_cndmask_b32_e32 v17, v3, v5, vcc
	v_cmp_eq_u32_e64 s[4:5], 2, v16
	v_cndmask_b32_e64 v17, v17, v7, s[4:5]
	v_cmp_eq_u32_e64 s[6:7], 3, v16
	v_cmp_eq_u32_e64 s[8:9], 4, v16
	;; [unrolled: 1-line block ×3, first 2 shown]
	v_cndmask_b32_e32 v16, v2, v4, vcc
	v_mov_b32_e32 v18, 0
	v_cndmask_b32_e64 v9, v17, v9, s[6:7]
	v_cndmask_b32_e64 v20, v16, v6, s[4:5]
	ds_read_b64 v[16:17], v45 offset:8
	ds_read_b64 v[18:19], v18 offset:64
	v_cndmask_b32_e64 v8, v20, v8, s[6:7]
	v_cndmask_b32_e64 v9, v9, v11, s[8:9]
	;; [unrolled: 1-line block ×3, first 2 shown]
	s_waitcnt vmcnt(0)
	v_cndmask_b32_e64 v9, v9, v13, s[10:11]
	v_cndmask_b32_e64 v8, v8, v12, s[10:11]
	s_waitcnt lgkmcnt(1)
	v_fmac_f64_e32 v[14:15], v[8:9], v[16:17]
	s_waitcnt lgkmcnt(0)
	v_fma_f64 v[8:9], v[6:7], v[18:19], v[14:15]
	v_cndmask_b32_e64 v15, v15, v9, s[2:3]
	v_cndmask_b32_e64 v14, v14, v8, s[2:3]
.LBB69_87:
	s_or_b64 exec, exec, s[14:15]
	v_mov_b32_e32 v8, 0
	ds_read_b64 v[8:9], v8 offset:24
	s_waitcnt lgkmcnt(0)
	v_mul_f64 v[8:9], v[14:15], v[8:9]
.LBB69_88:
	s_or_b64 exec, exec, s[12:13]
	v_cmp_gt_u32_e64 s[2:3], 4, v0
	s_waitcnt vmcnt(2)
	ds_write_b64 v45, v[10:11]
	s_waitcnt lgkmcnt(0)
	; wave barrier
	s_waitcnt lgkmcnt(0)
	s_and_saveexec_b64 s[12:13], s[2:3]
	s_cbranch_execz .LBB69_98
; %bb.89:
	s_and_b64 vcc, exec, s[0:1]
	s_cbranch_vccnz .LBB69_91
; %bb.90:
	v_cmp_eq_u32_e32 vcc, 1, v0
	s_waitcnt vmcnt(1)
	v_cndmask_b32_e32 v14, v3, v5, vcc
	v_cmp_eq_u32_e64 s[4:5], 2, v0
	v_cndmask_b32_e64 v14, v14, v7, s[4:5]
	v_cmp_eq_u32_e64 s[6:7], 3, v0
	v_cndmask_b32_e64 v14, v14, v9, s[6:7]
	;; [unrolled: 2-line block ×3, first 2 shown]
	v_cmp_eq_u32_e64 s[10:11], 5, v0
	s_waitcnt vmcnt(0)
	v_cndmask_b32_e64 v15, v14, v13, s[10:11]
	v_cndmask_b32_e32 v14, v2, v4, vcc
	ds_read_b64 v[16:17], v45
	v_cndmask_b32_e64 v14, v14, v6, s[4:5]
	v_cndmask_b32_e64 v14, v14, v8, s[6:7]
	;; [unrolled: 1-line block ×4, first 2 shown]
	s_waitcnt lgkmcnt(0)
	v_mul_f64 v[14:15], v[14:15], v[16:17]
	s_cbranch_execz .LBB69_92
	s_branch .LBB69_93
.LBB69_91:
                                        ; implicit-def: $vgpr14_vgpr15
.LBB69_92:
	ds_read_b64 v[14:15], v45
.LBB69_93:
	v_cmp_ne_u32_e32 vcc, 3, v0
	s_and_saveexec_b64 s[8:9], vcc
	s_cbranch_execz .LBB69_97
; %bb.94:
	v_lshl_add_u32 v18, v0, 3, 56
	s_mov_b64 s[10:11], 0
	v_pk_mov_b32 v[16:17], v[0:1], v[0:1] op_sel:[0,1]
.LBB69_95:                              ; =>This Inner Loop Header: Depth=1
	v_add_co_u32_e32 v16, vcc, 1, v16
	v_addc_co_u32_e32 v17, vcc, 0, v17, vcc
	v_cmp_eq_u32_e32 vcc, 1, v16
	s_waitcnt vmcnt(1)
	v_cndmask_b32_e32 v19, v3, v5, vcc
	v_cmp_eq_u32_e64 s[6:7], 2, v16
	ds_read_b64 v[20:21], v18
	v_cmp_lt_u32_e64 s[4:5], 2, v16
	v_cndmask_b32_e64 v19, v19, v7, s[6:7]
	v_cndmask_b32_e32 v22, v2, v4, vcc
	v_cmp_eq_u32_e32 vcc, 3, v16
	s_or_b64 s[10:11], s[4:5], s[10:11]
	v_cndmask_b32_e32 v19, v19, v9, vcc
	v_cndmask_b32_e64 v22, v22, v6, s[6:7]
	v_cmp_eq_u32_e64 s[4:5], 4, v16
	v_cndmask_b32_e64 v19, v19, v11, s[4:5]
	v_cndmask_b32_e32 v22, v22, v8, vcc
	v_cmp_eq_u32_e32 vcc, 5, v16
	s_waitcnt vmcnt(0)
	v_cndmask_b32_e32 v23, v19, v13, vcc
	v_cndmask_b32_e64 v19, v22, v10, s[4:5]
	v_cndmask_b32_e32 v22, v19, v12, vcc
	v_add_u32_e32 v18, 8, v18
	s_waitcnt lgkmcnt(0)
	v_fmac_f64_e32 v[14:15], v[22:23], v[20:21]
	s_andn2_b64 exec, exec, s[10:11]
	s_cbranch_execnz .LBB69_95
; %bb.96:
	s_or_b64 exec, exec, s[10:11]
.LBB69_97:
	s_or_b64 exec, exec, s[8:9]
	v_mov_b32_e32 v10, 0
	ds_read_b64 v[10:11], v10 offset:32
	s_waitcnt lgkmcnt(0)
	v_mul_f64 v[10:11], v[14:15], v[10:11]
.LBB69_98:
	s_or_b64 exec, exec, s[12:13]
	v_cmp_ne_u32_e32 vcc, 5, v0
	s_waitcnt vmcnt(0)
	ds_write_b64 v45, v[12:13]
	s_waitcnt lgkmcnt(0)
	; wave barrier
	s_waitcnt lgkmcnt(0)
	s_and_saveexec_b64 s[10:11], vcc
	s_cbranch_execz .LBB69_108
; %bb.99:
	s_and_b64 vcc, exec, s[0:1]
	s_cbranch_vccnz .LBB69_101
; %bb.100:
	v_cmp_eq_u32_e32 vcc, 1, v0
	v_cndmask_b32_e32 v14, v3, v5, vcc
	v_cmp_eq_u32_e64 s[0:1], 2, v0
	v_cndmask_b32_e64 v14, v14, v7, s[0:1]
	v_cmp_eq_u32_e64 s[4:5], 3, v0
	v_cndmask_b32_e64 v14, v14, v9, s[4:5]
	;; [unrolled: 2-line block ×4, first 2 shown]
	v_cndmask_b32_e32 v14, v2, v4, vcc
	ds_read_b64 v[16:17], v45
	v_cndmask_b32_e64 v14, v14, v6, s[0:1]
	v_cndmask_b32_e64 v14, v14, v8, s[4:5]
	;; [unrolled: 1-line block ×4, first 2 shown]
	s_waitcnt lgkmcnt(0)
	v_mul_f64 v[14:15], v[14:15], v[16:17]
	s_cbranch_execz .LBB69_102
	s_branch .LBB69_103
.LBB69_101:
                                        ; implicit-def: $vgpr14_vgpr15
.LBB69_102:
	ds_read_b64 v[14:15], v45
.LBB69_103:
	s_and_saveexec_b64 s[4:5], s[2:3]
	s_cbranch_execz .LBB69_107
; %bb.104:
	v_lshl_add_u32 v16, v0, 3, 56
	s_mov_b64 s[6:7], 0
.LBB69_105:                             ; =>This Inner Loop Header: Depth=1
	v_add_co_u32_e32 v0, vcc, 1, v0
	v_addc_co_u32_e32 v1, vcc, 0, v1, vcc
	v_cmp_eq_u32_e32 vcc, 1, v0
	v_cndmask_b32_e32 v17, v3, v5, vcc
	v_cmp_eq_u32_e64 s[2:3], 2, v0
	ds_read_b64 v[18:19], v16
	v_cmp_lt_u32_e64 s[0:1], 3, v0
	v_cndmask_b32_e64 v17, v17, v7, s[2:3]
	v_cndmask_b32_e32 v20, v2, v4, vcc
	v_cmp_eq_u32_e32 vcc, 3, v0
	s_or_b64 s[6:7], s[0:1], s[6:7]
	v_cndmask_b32_e32 v17, v17, v9, vcc
	v_cndmask_b32_e64 v20, v20, v6, s[2:3]
	v_cmp_eq_u32_e64 s[0:1], 4, v0
	v_cndmask_b32_e64 v17, v17, v11, s[0:1]
	v_cndmask_b32_e32 v20, v20, v8, vcc
	v_cmp_eq_u32_e32 vcc, 5, v0
	v_cndmask_b32_e32 v21, v17, v13, vcc
	v_cndmask_b32_e64 v17, v20, v10, s[0:1]
	v_cndmask_b32_e32 v20, v17, v12, vcc
	v_add_u32_e32 v16, 8, v16
	s_waitcnt lgkmcnt(0)
	v_fmac_f64_e32 v[14:15], v[20:21], v[18:19]
	s_andn2_b64 exec, exec, s[6:7]
	s_cbranch_execnz .LBB69_105
; %bb.106:
	s_or_b64 exec, exec, s[6:7]
.LBB69_107:
	s_or_b64 exec, exec, s[4:5]
	v_mov_b32_e32 v0, 0
	ds_read_b64 v[0:1], v0 offset:40
	s_waitcnt lgkmcnt(0)
	v_mul_f64 v[12:13], v[14:15], v[0:1]
.LBB69_108:
	s_or_b64 exec, exec, s[10:11]
	v_pk_mov_b32 v[28:29], v[16:17], v[16:17] op_sel:[0,1]
	v_pk_mov_b32 v[26:27], v[14:15], v[14:15] op_sel:[0,1]
	;; [unrolled: 1-line block ×8, first 2 shown]
.LBB69_109:
	global_store_dwordx2 v[30:31], v[14:15], off
	global_store_dwordx2 v[32:33], v[16:17], off
	;; [unrolled: 1-line block ×6, first 2 shown]
.LBB69_110:
	s_endpgm
	.section	.rodata,"a",@progbits
	.p2align	6, 0x0
	.amdhsa_kernel _ZN9rocsolver6v33100L18trti2_kernel_smallILi6EdPKPdEEv13rocblas_fill_17rocblas_diagonal_T1_iil
		.amdhsa_group_segment_fixed_size 96
		.amdhsa_private_segment_fixed_size 0
		.amdhsa_kernarg_size 32
		.amdhsa_user_sgpr_count 6
		.amdhsa_user_sgpr_private_segment_buffer 1
		.amdhsa_user_sgpr_dispatch_ptr 0
		.amdhsa_user_sgpr_queue_ptr 0
		.amdhsa_user_sgpr_kernarg_segment_ptr 1
		.amdhsa_user_sgpr_dispatch_id 0
		.amdhsa_user_sgpr_flat_scratch_init 0
		.amdhsa_user_sgpr_kernarg_preload_length 0
		.amdhsa_user_sgpr_kernarg_preload_offset 0
		.amdhsa_user_sgpr_private_segment_size 0
		.amdhsa_uses_dynamic_stack 0
		.amdhsa_system_sgpr_private_segment_wavefront_offset 0
		.amdhsa_system_sgpr_workgroup_id_x 1
		.amdhsa_system_sgpr_workgroup_id_y 0
		.amdhsa_system_sgpr_workgroup_id_z 0
		.amdhsa_system_sgpr_workgroup_info 0
		.amdhsa_system_vgpr_workitem_id 0
		.amdhsa_next_free_vgpr 70
		.amdhsa_next_free_sgpr 30
		.amdhsa_accum_offset 72
		.amdhsa_reserve_vcc 1
		.amdhsa_reserve_flat_scratch 0
		.amdhsa_float_round_mode_32 0
		.amdhsa_float_round_mode_16_64 0
		.amdhsa_float_denorm_mode_32 3
		.amdhsa_float_denorm_mode_16_64 3
		.amdhsa_dx10_clamp 1
		.amdhsa_ieee_mode 1
		.amdhsa_fp16_overflow 0
		.amdhsa_tg_split 0
		.amdhsa_exception_fp_ieee_invalid_op 0
		.amdhsa_exception_fp_denorm_src 0
		.amdhsa_exception_fp_ieee_div_zero 0
		.amdhsa_exception_fp_ieee_overflow 0
		.amdhsa_exception_fp_ieee_underflow 0
		.amdhsa_exception_fp_ieee_inexact 0
		.amdhsa_exception_int_div_zero 0
	.end_amdhsa_kernel
	.section	.text._ZN9rocsolver6v33100L18trti2_kernel_smallILi6EdPKPdEEv13rocblas_fill_17rocblas_diagonal_T1_iil,"axG",@progbits,_ZN9rocsolver6v33100L18trti2_kernel_smallILi6EdPKPdEEv13rocblas_fill_17rocblas_diagonal_T1_iil,comdat
.Lfunc_end69:
	.size	_ZN9rocsolver6v33100L18trti2_kernel_smallILi6EdPKPdEEv13rocblas_fill_17rocblas_diagonal_T1_iil, .Lfunc_end69-_ZN9rocsolver6v33100L18trti2_kernel_smallILi6EdPKPdEEv13rocblas_fill_17rocblas_diagonal_T1_iil
                                        ; -- End function
	.section	.AMDGPU.csdata,"",@progbits
; Kernel info:
; codeLenInByte = 5648
; NumSgprs: 34
; NumVgprs: 70
; NumAgprs: 0
; TotalNumVgprs: 70
; ScratchSize: 0
; MemoryBound: 0
; FloatMode: 240
; IeeeMode: 1
; LDSByteSize: 96 bytes/workgroup (compile time only)
; SGPRBlocks: 4
; VGPRBlocks: 8
; NumSGPRsForWavesPerEU: 34
; NumVGPRsForWavesPerEU: 70
; AccumOffset: 72
; Occupancy: 7
; WaveLimiterHint : 1
; COMPUTE_PGM_RSRC2:SCRATCH_EN: 0
; COMPUTE_PGM_RSRC2:USER_SGPR: 6
; COMPUTE_PGM_RSRC2:TRAP_HANDLER: 0
; COMPUTE_PGM_RSRC2:TGID_X_EN: 1
; COMPUTE_PGM_RSRC2:TGID_Y_EN: 0
; COMPUTE_PGM_RSRC2:TGID_Z_EN: 0
; COMPUTE_PGM_RSRC2:TIDIG_COMP_CNT: 0
; COMPUTE_PGM_RSRC3_GFX90A:ACCUM_OFFSET: 17
; COMPUTE_PGM_RSRC3_GFX90A:TG_SPLIT: 0
	.section	.text._ZN9rocsolver6v33100L18trti2_kernel_smallILi7EdPKPdEEv13rocblas_fill_17rocblas_diagonal_T1_iil,"axG",@progbits,_ZN9rocsolver6v33100L18trti2_kernel_smallILi7EdPKPdEEv13rocblas_fill_17rocblas_diagonal_T1_iil,comdat
	.globl	_ZN9rocsolver6v33100L18trti2_kernel_smallILi7EdPKPdEEv13rocblas_fill_17rocblas_diagonal_T1_iil ; -- Begin function _ZN9rocsolver6v33100L18trti2_kernel_smallILi7EdPKPdEEv13rocblas_fill_17rocblas_diagonal_T1_iil
	.p2align	8
	.type	_ZN9rocsolver6v33100L18trti2_kernel_smallILi7EdPKPdEEv13rocblas_fill_17rocblas_diagonal_T1_iil,@function
_ZN9rocsolver6v33100L18trti2_kernel_smallILi7EdPKPdEEv13rocblas_fill_17rocblas_diagonal_T1_iil: ; @_ZN9rocsolver6v33100L18trti2_kernel_smallILi7EdPKPdEEv13rocblas_fill_17rocblas_diagonal_T1_iil
; %bb.0:
	v_cmp_gt_u32_e32 vcc, 7, v0
	s_and_saveexec_b64 s[0:1], vcc
	s_cbranch_execz .LBB70_136
; %bb.1:
	s_load_dwordx2 s[0:1], s[4:5], 0x10
	s_load_dwordx4 s[16:19], s[4:5], 0x0
	s_ashr_i32 s7, s6, 31
	s_lshl_b64 s[2:3], s[6:7], 3
	v_lshlrev_b32_e32 v18, 3, v0
	s_waitcnt lgkmcnt(0)
	s_ashr_i32 s5, s0, 31
	s_add_u32 s2, s18, s2
	s_addc_u32 s3, s19, s3
	s_load_dwordx2 s[2:3], s[2:3], 0x0
	s_mov_b32 s4, s0
	s_lshl_b64 s[4:5], s[4:5], 3
	v_mov_b32_e32 v16, 0
	v_mov_b32_e32 v17, 0xbff00000
	s_waitcnt lgkmcnt(0)
	s_add_u32 s2, s2, s4
	s_addc_u32 s3, s3, s5
	v_mov_b32_e32 v1, s3
	v_add_co_u32_e32 v32, vcc, s2, v18
	s_ashr_i32 s5, s1, 31
	s_mov_b32 s4, s1
	s_add_i32 s0, s1, s1
	v_addc_co_u32_e32 v33, vcc, 0, v1, vcc
	s_lshl_b64 s[4:5], s[4:5], 3
	v_add_u32_e32 v2, s0, v0
	v_mov_b32_e32 v1, s5
	v_add_co_u32_e32 v34, vcc, s4, v32
	v_ashrrev_i32_e32 v3, 31, v2
	v_addc_co_u32_e32 v35, vcc, v33, v1, vcc
	v_lshlrev_b64 v[4:5], 3, v[2:3]
	v_add_u32_e32 v2, s1, v2
	v_mov_b32_e32 v1, s3
	v_add_co_u32_e32 v36, vcc, s2, v4
	v_ashrrev_i32_e32 v3, 31, v2
	v_addc_co_u32_e32 v37, vcc, v1, v5, vcc
	v_lshlrev_b64 v[4:5], 3, v[2:3]
	v_add_u32_e32 v2, s1, v2
	v_add_co_u32_e32 v38, vcc, s2, v4
	v_ashrrev_i32_e32 v3, 31, v2
	v_addc_co_u32_e32 v39, vcc, v1, v5, vcc
	v_lshlrev_b64 v[4:5], 3, v[2:3]
	v_add_u32_e32 v2, s1, v2
	;; [unrolled: 5-line block ×3, first 2 shown]
	v_add_co_u32_e32 v42, vcc, s2, v12
	v_ashrrev_i32_e32 v3, 31, v2
	global_load_dwordx2 v[4:5], v[34:35], off
	global_load_dwordx2 v[6:7], v[36:37], off
	;; [unrolled: 1-line block ×4, first 2 shown]
	v_addc_co_u32_e32 v43, vcc, v1, v13, vcc
	v_lshlrev_b64 v[2:3], 3, v[2:3]
	v_add_co_u32_e32 v44, vcc, s2, v2
	global_load_dwordx2 v[12:13], v[42:43], off
	v_addc_co_u32_e32 v45, vcc, v1, v3, vcc
	global_load_dwordx2 v[2:3], v18, s[2:3]
	global_load_dwordx2 v[14:15], v[44:45], off
	s_cmpk_lg_i32 s17, 0x84
	v_mov_b32_e32 v1, 0
	s_cselect_b64 s[14:15], -1, 0
	s_cmpk_eq_i32 s17, 0x84
	v_cmp_eq_u32_e64 s[0:1], 0, v0
	s_cbranch_scc1 .LBB70_3
; %bb.2:
	v_cmp_eq_u32_e64 s[2:3], 1, v0
	s_waitcnt vmcnt(1)
	v_cndmask_b32_e64 v16, v3, v5, s[2:3]
	v_cmp_eq_u32_e64 s[4:5], 2, v0
	v_cndmask_b32_e64 v16, v16, v7, s[4:5]
	v_cmp_eq_u32_e64 s[6:7], 3, v0
	;; [unrolled: 2-line block ×5, first 2 shown]
	s_waitcnt vmcnt(0)
	v_cndmask_b32_e64 v17, v16, v15, s[12:13]
	v_cndmask_b32_e64 v16, v2, v4, s[2:3]
	;; [unrolled: 1-line block ×7, first 2 shown]
	v_div_scale_f64 v[20:21], s[18:19], v[16:17], v[16:17], 1.0
	v_rcp_f64_e32 v[22:23], v[20:21]
	v_fma_f64 v[24:25], -v[20:21], v[22:23], 1.0
	v_fmac_f64_e32 v[22:23], v[22:23], v[24:25]
	v_fma_f64 v[24:25], -v[20:21], v[22:23], 1.0
	v_fmac_f64_e32 v[22:23], v[22:23], v[24:25]
	v_div_scale_f64 v[24:25], vcc, 1.0, v[16:17], 1.0
	v_mul_f64 v[26:27], v[24:25], v[22:23]
	v_fma_f64 v[20:21], -v[20:21], v[26:27], v[24:25]
	s_nop 1
	v_div_fmas_f64 v[20:21], v[20:21], v[22:23], v[26:27]
	v_div_fixup_f64 v[16:17], v[20:21], v[16:17], 1.0
	v_cndmask_b32_e64 v15, v15, v17, s[12:13]
	v_cndmask_b32_e64 v14, v14, v16, s[12:13]
	;; [unrolled: 1-line block ×14, first 2 shown]
	v_xor_b32_e32 v17, 0x80000000, v17
.LBB70_3:
	s_cmpk_eq_i32 s16, 0x79
	v_add_u32_e32 v49, 64, v18
	ds_write_b64 v18, v[16:17]
	s_cbranch_scc1 .LBB70_7
; %bb.4:
	s_waitcnt vmcnt(0)
	v_pk_mov_b32 v[30:31], v[16:17], v[16:17] op_sel:[0,1]
	v_cmp_eq_u32_e64 s[0:1], 6, v0
	v_pk_mov_b32 v[28:29], v[14:15], v[14:15] op_sel:[0,1]
	v_pk_mov_b32 v[26:27], v[12:13], v[12:13] op_sel:[0,1]
	;; [unrolled: 1-line block ×7, first 2 shown]
	ds_write_b64 v49, v[12:13]
	s_waitcnt lgkmcnt(0)
	; wave barrier
	s_waitcnt lgkmcnt(0)
	s_and_saveexec_b64 s[12:13], s[0:1]
	s_cbranch_execz .LBB70_11
; %bb.5:
	s_and_b64 vcc, exec, s[14:15]
	s_cbranch_vccz .LBB70_8
; %bb.6:
	v_cmp_eq_u32_e32 vcc, 1, v0
	v_cndmask_b32_e32 v16, v3, v5, vcc
	v_cmp_eq_u32_e64 s[2:3], 2, v0
	v_cndmask_b32_e64 v16, v16, v7, s[2:3]
	v_cmp_eq_u32_e64 s[4:5], 3, v0
	v_cndmask_b32_e64 v16, v16, v9, s[4:5]
	;; [unrolled: 2-line block ×5, first 2 shown]
	v_cndmask_b32_e32 v16, v2, v4, vcc
	v_cndmask_b32_e64 v16, v16, v6, s[2:3]
	ds_read_b64 v[18:19], v49
	v_cndmask_b32_e64 v16, v16, v8, s[4:5]
	v_cndmask_b32_e64 v16, v16, v10, s[6:7]
	;; [unrolled: 1-line block ×4, first 2 shown]
	s_waitcnt lgkmcnt(0)
	v_mul_f64 v[20:21], v[16:17], v[18:19]
	s_cbranch_execz .LBB70_9
	s_branch .LBB70_10
.LBB70_7:
                                        ; implicit-def: $vgpr16_vgpr17_vgpr18_vgpr19_vgpr20_vgpr21_vgpr22_vgpr23_vgpr24_vgpr25_vgpr26_vgpr27_vgpr28_vgpr29_vgpr30_vgpr31
	s_cbranch_execnz .LBB70_82
	s_branch .LBB70_135
.LBB70_8:
                                        ; implicit-def: $vgpr20_vgpr21
.LBB70_9:
	ds_read_b64 v[20:21], v49
.LBB70_10:
	v_mov_b32_e32 v16, 0
	ds_read_b64 v[22:23], v16 offset:40
	v_mov_b32_e32 v16, v2
	v_mov_b32_e32 v17, v3
	;; [unrolled: 1-line block ×4, first 2 shown]
	s_waitcnt lgkmcnt(0)
	v_mul_f64 v[26:27], v[20:21], v[22:23]
	v_mov_b32_e32 v20, v6
	v_mov_b32_e32 v21, v7
	v_mov_b32_e32 v22, v8
	v_mov_b32_e32 v23, v9
	v_mov_b32_e32 v24, v10
	v_mov_b32_e32 v25, v11
	v_mov_b32_e32 v28, v14
	v_mov_b32_e32 v29, v15
.LBB70_11:
	s_or_b64 exec, exec, s[12:13]
	v_cmp_lt_u32_e64 s[2:3], 4, v0
	ds_write_b64 v49, v[24:25]
	s_waitcnt lgkmcnt(0)
	; wave barrier
	s_waitcnt lgkmcnt(0)
	s_and_saveexec_b64 s[16:17], s[2:3]
	s_cbranch_execz .LBB70_17
; %bb.12:
	s_andn2_b64 vcc, exec, s[14:15]
	s_cbranch_vccnz .LBB70_14
; %bb.13:
	v_cmp_eq_u32_e32 vcc, 1, v0
	v_cndmask_b32_e32 v30, v17, v19, vcc
	v_cmp_eq_u32_e64 s[4:5], 2, v0
	v_cndmask_b32_e64 v30, v30, v21, s[4:5]
	v_cmp_eq_u32_e64 s[6:7], 3, v0
	v_cndmask_b32_e64 v30, v30, v23, s[6:7]
	;; [unrolled: 2-line block ×3, first 2 shown]
	v_cndmask_b32_e32 v30, v16, v18, vcc
	v_cndmask_b32_e64 v46, v30, v20, s[4:5]
	ds_read_b64 v[30:31], v49
	v_cndmask_b32_e64 v46, v46, v22, s[6:7]
	v_cmp_eq_u32_e64 s[10:11], 5, v0
	v_cndmask_b32_e64 v24, v46, v24, s[8:9]
	v_cndmask_b32_e64 v25, v25, v27, s[10:11]
	v_cmp_eq_u32_e64 s[12:13], 6, v0
	v_cndmask_b32_e64 v24, v24, v26, s[10:11]
	v_cndmask_b32_e64 v25, v25, v29, s[12:13]
	v_cndmask_b32_e64 v24, v24, v28, s[12:13]
	s_waitcnt lgkmcnt(0)
	v_mul_f64 v[24:25], v[24:25], v[30:31]
	s_cbranch_execz .LBB70_15
	s_branch .LBB70_16
.LBB70_14:
                                        ; implicit-def: $vgpr24_vgpr25
.LBB70_15:
	ds_read_b64 v[24:25], v49
.LBB70_16:
	v_mov_b32_e32 v30, 0
	ds_read2_b64 v[50:53], v30 offset0:4 offset1:13
	s_waitcnt lgkmcnt(0)
	v_fma_f64 v[30:31], v[26:27], v[52:53], v[24:25]
	v_cndmask_b32_e64 v25, v25, v31, s[0:1]
	v_cndmask_b32_e64 v24, v24, v30, s[0:1]
	v_mul_f64 v[24:25], v[24:25], v[50:51]
.LBB70_17:
	s_or_b64 exec, exec, s[16:17]
	v_cmp_lt_u32_e64 s[0:1], 3, v0
	ds_write_b64 v49, v[22:23]
	s_waitcnt lgkmcnt(0)
	; wave barrier
	s_waitcnt lgkmcnt(0)
	s_and_saveexec_b64 s[16:17], s[0:1]
	s_cbranch_execz .LBB70_33
; %bb.18:
	s_andn2_b64 vcc, exec, s[14:15]
	s_cbranch_vccnz .LBB70_20
; %bb.19:
	v_cmp_eq_u32_e32 vcc, 1, v0
	v_cndmask_b32_e32 v46, v17, v19, vcc
	v_cmp_eq_u32_e64 s[4:5], 2, v0
	v_cndmask_b32_e64 v46, v46, v21, s[4:5]
	v_cmp_eq_u32_e64 s[6:7], 3, v0
	v_cndmask_b32_e64 v46, v46, v23, s[6:7]
	;; [unrolled: 2-line block ×5, first 2 shown]
	v_cndmask_b32_e32 v46, v16, v18, vcc
	v_cndmask_b32_e64 v46, v46, v20, s[4:5]
	ds_read_b64 v[50:51], v49
	v_cndmask_b32_e64 v46, v46, v22, s[6:7]
	v_cndmask_b32_e64 v46, v46, v24, s[8:9]
	;; [unrolled: 1-line block ×4, first 2 shown]
	s_waitcnt lgkmcnt(0)
	v_mul_f64 v[46:47], v[46:47], v[50:51]
	s_cbranch_execz .LBB70_21
	s_branch .LBB70_22
.LBB70_20:
                                        ; implicit-def: $vgpr46_vgpr47
.LBB70_21:
	ds_read_b64 v[46:47], v49
.LBB70_22:
	s_and_saveexec_b64 s[6:7], s[2:3]
	s_cbranch_execz .LBB70_32
; %bb.23:
	v_add_u32_e32 v48, -5, v0
	v_add_u32_e32 v51, -4, v0
	v_cmp_lt_u32_e32 vcc, 6, v48
	v_mov_b32_e32 v50, 4
	s_and_saveexec_b64 s[2:3], vcc
	s_cbranch_execz .LBB70_27
; %bb.24:
	v_and_b32_e32 v48, -8, v51
	v_sub_u32_e32 v48, 0, v48
	s_mov_b64 s[4:5], 5
	s_movk_i32 s10, 0x60
	s_mov_b64 s[8:9], 0
.LBB70_25:                              ; =>This Inner Loop Header: Depth=1
	s_lshl_b32 s11, s4, 1
	s_add_i32 s12, s11, -1
	s_add_i32 s13, s11, -2
	s_set_gpr_idx_on s12, gpr_idx(SRC0)
	v_mov_b32_e32 v69, v16
	s_set_gpr_idx_off
	v_mov_b32_e32 v50, s10
	s_set_gpr_idx_on s13, gpr_idx(SRC0)
	v_mov_b32_e32 v68, v16
	s_set_gpr_idx_off
	ds_read_b128 v[52:55], v50
	ds_read_b128 v[56:59], v50 offset:16
	ds_read_b128 v[60:63], v50 offset:32
	;; [unrolled: 1-line block ×3, first 2 shown]
	s_set_gpr_idx_on s11, gpr_idx(SRC0)
	v_mov_b32_e32 v71, v17
	s_add_i32 s18, s11, 3
	v_mov_b32_e32 v70, v16
	s_set_gpr_idx_off
	s_add_i32 s19, s11, 2
	s_set_gpr_idx_on s18, gpr_idx(SRC0)
	v_mov_b32_e32 v73, v16
	s_set_gpr_idx_off
	s_add_i32 s20, s11, 5
	s_set_gpr_idx_on s19, gpr_idx(SRC0)
	v_mov_b32_e32 v72, v16
	s_set_gpr_idx_off
	s_add_i32 s21, s11, 4
	s_waitcnt lgkmcnt(3)
	v_fmac_f64_e32 v[46:47], v[68:69], v[52:53]
	s_set_gpr_idx_on s20, gpr_idx(SRC0)
	v_mov_b32_e32 v53, v16
	s_set_gpr_idx_off
	s_add_i32 s22, s11, 7
	v_fmac_f64_e32 v[46:47], v[70:71], v[54:55]
	s_set_gpr_idx_on s21, gpr_idx(SRC0)
	v_mov_b32_e32 v52, v16
	s_set_gpr_idx_off
	s_add_i32 s23, s11, 6
	s_waitcnt lgkmcnt(2)
	v_fmac_f64_e32 v[46:47], v[72:73], v[56:57]
	s_set_gpr_idx_on s22, gpr_idx(SRC0)
	v_mov_b32_e32 v55, v16
	s_set_gpr_idx_off
	s_add_i32 s24, s11, 9
	v_fmac_f64_e32 v[46:47], v[52:53], v[58:59]
	s_set_gpr_idx_on s23, gpr_idx(SRC0)
	v_mov_b32_e32 v54, v16
	s_set_gpr_idx_off
	s_add_i32 s25, s11, 8
	s_waitcnt lgkmcnt(1)
	v_fmac_f64_e32 v[46:47], v[54:55], v[60:61]
	s_set_gpr_idx_on s24, gpr_idx(SRC0)
	v_mov_b32_e32 v53, v16
	s_set_gpr_idx_off
	s_add_i32 s26, s11, 11
	s_set_gpr_idx_on s25, gpr_idx(SRC0)
	v_mov_b32_e32 v52, v16
	s_set_gpr_idx_off
	s_add_i32 s27, s11, 10
	s_add_i32 s28, s11, 13
	;; [unrolled: 1-line block ×3, first 2 shown]
	v_fmac_f64_e32 v[46:47], v[52:53], v[62:63]
	s_set_gpr_idx_on s26, gpr_idx(SRC0)
	v_mov_b32_e32 v53, v16
	s_set_gpr_idx_off
	s_add_u32 s4, s4, 8
	s_set_gpr_idx_on s27, gpr_idx(SRC0)
	v_mov_b32_e32 v52, v16
	s_set_gpr_idx_off
	v_add_u32_e32 v50, s4, v48
	s_waitcnt lgkmcnt(0)
	v_fmac_f64_e32 v[46:47], v[52:53], v[64:65]
	s_set_gpr_idx_on s28, gpr_idx(SRC0)
	v_mov_b32_e32 v53, v16
	s_set_gpr_idx_off
	s_addc_u32 s5, s5, 0
	s_add_i32 s10, s10, 64
	s_add_i32 s12, s4, -1
	v_cmp_eq_u32_e32 vcc, 5, v50
	s_set_gpr_idx_on s29, gpr_idx(SRC0)
	v_mov_b32_e32 v52, v16
	s_set_gpr_idx_off
	v_mov_b32_e32 v50, s12
	s_or_b64 s[8:9], vcc, s[8:9]
	v_fmac_f64_e32 v[46:47], v[52:53], v[66:67]
	s_andn2_b64 exec, exec, s[8:9]
	s_cbranch_execnz .LBB70_25
; %bb.26:
	s_or_b64 exec, exec, s[8:9]
.LBB70_27:
	s_or_b64 exec, exec, s[2:3]
	v_and_b32_e32 v30, 7, v51
	v_cmp_ne_u32_e32 vcc, 0, v30
	s_and_saveexec_b64 s[8:9], vcc
	s_cbranch_execz .LBB70_31
; %bb.28:
	v_lshl_add_u32 v48, v50, 3, 64
	v_mov_b32_e32 v31, 0
	s_mov_b64 s[10:11], 0
.LBB70_29:                              ; =>This Inner Loop Header: Depth=1
	v_cmp_eq_u32_e32 vcc, 1, v50
	v_cndmask_b32_e32 v51, v17, v19, vcc
	v_add_u32_e32 v30, -1, v30
	v_cmp_eq_u32_e64 s[2:3], 2, v50
	v_cndmask_b32_e64 v51, v51, v21, s[2:3]
	v_cndmask_b32_e32 v54, v16, v18, vcc
	v_cmp_eq_u32_e32 vcc, 0, v30
	v_cmp_eq_u32_e64 s[4:5], 3, v50
	ds_read_b64 v[52:53], v48
	v_cndmask_b32_e64 v51, v51, v23, s[4:5]
	v_cndmask_b32_e64 v54, v54, v20, s[2:3]
	s_or_b64 s[10:11], vcc, s[10:11]
	v_cmp_eq_u32_e32 vcc, 4, v50
	v_cndmask_b32_e32 v51, v51, v25, vcc
	v_cndmask_b32_e64 v54, v54, v22, s[4:5]
	v_cmp_eq_u32_e64 s[2:3], 5, v50
	v_cndmask_b32_e64 v51, v51, v27, s[2:3]
	v_cmp_eq_u32_e64 s[4:5], 6, v50
	v_cndmask_b32_e32 v54, v54, v24, vcc
	v_cndmask_b32_e64 v55, v51, v29, s[4:5]
	v_cndmask_b32_e64 v51, v54, v26, s[2:3]
	v_add_co_u32_e32 v50, vcc, 1, v50
	v_cndmask_b32_e64 v54, v51, v28, s[4:5]
	v_add_u32_e32 v48, 8, v48
	v_addc_co_u32_e32 v31, vcc, 0, v31, vcc
	s_waitcnt lgkmcnt(0)
	v_fmac_f64_e32 v[46:47], v[54:55], v[52:53]
	s_andn2_b64 exec, exec, s[10:11]
	s_cbranch_execnz .LBB70_29
; %bb.30:
	s_or_b64 exec, exec, s[10:11]
.LBB70_31:
	s_or_b64 exec, exec, s[8:9]
.LBB70_32:
	s_or_b64 exec, exec, s[6:7]
	v_mov_b32_e32 v22, 0
	ds_read_b64 v[22:23], v22 offset:24
	s_waitcnt lgkmcnt(0)
	v_mul_f64 v[22:23], v[46:47], v[22:23]
.LBB70_33:
	s_or_b64 exec, exec, s[16:17]
	v_cmp_lt_u32_e64 s[2:3], 2, v0
	ds_write_b64 v49, v[20:21]
	s_waitcnt lgkmcnt(0)
	; wave barrier
	s_waitcnt lgkmcnt(0)
	s_and_saveexec_b64 s[16:17], s[2:3]
	s_cbranch_execz .LBB70_49
; %bb.34:
	s_andn2_b64 vcc, exec, s[14:15]
	s_cbranch_vccnz .LBB70_36
; %bb.35:
	v_cmp_eq_u32_e32 vcc, 1, v0
	v_cndmask_b32_e32 v46, v17, v19, vcc
	v_cmp_eq_u32_e64 s[4:5], 2, v0
	v_cndmask_b32_e64 v46, v46, v21, s[4:5]
	v_cmp_eq_u32_e64 s[6:7], 3, v0
	v_cndmask_b32_e64 v46, v46, v23, s[6:7]
	;; [unrolled: 2-line block ×5, first 2 shown]
	v_cndmask_b32_e32 v46, v16, v18, vcc
	v_cndmask_b32_e64 v46, v46, v20, s[4:5]
	ds_read_b64 v[50:51], v49
	v_cndmask_b32_e64 v46, v46, v22, s[6:7]
	v_cndmask_b32_e64 v46, v46, v24, s[8:9]
	;; [unrolled: 1-line block ×4, first 2 shown]
	s_waitcnt lgkmcnt(0)
	v_mul_f64 v[46:47], v[46:47], v[50:51]
	s_cbranch_execz .LBB70_37
	s_branch .LBB70_38
.LBB70_36:
                                        ; implicit-def: $vgpr46_vgpr47
.LBB70_37:
	ds_read_b64 v[46:47], v49
.LBB70_38:
	s_and_saveexec_b64 s[6:7], s[0:1]
	s_cbranch_execz .LBB70_48
; %bb.39:
	v_add_u32_e32 v48, -4, v0
	v_add_u32_e32 v51, -3, v0
	v_cmp_lt_u32_e32 vcc, 6, v48
	v_mov_b32_e32 v50, 3
	s_and_saveexec_b64 s[0:1], vcc
	s_cbranch_execz .LBB70_43
; %bb.40:
	v_and_b32_e32 v48, -8, v51
	v_sub_u32_e32 v48, 0, v48
	s_mov_b64 s[4:5], 10
	s_movk_i32 s10, 0x58
	s_mov_b64 s[8:9], 0
.LBB70_41:                              ; =>This Inner Loop Header: Depth=1
	s_lshl_b32 s11, s4, 1
	s_add_i32 s12, s11, -13
	v_mov_b32_e32 v66, s10
	s_add_i32 s13, s11, -14
	s_set_gpr_idx_on s12, gpr_idx(SRC0)
	v_mov_b32_e32 v61, v16
	s_set_gpr_idx_off
	s_add_i32 s18, s11, -11
	s_set_gpr_idx_on s13, gpr_idx(SRC0)
	v_mov_b32_e32 v60, v16
	s_set_gpr_idx_off
	ds_read2_b64 v[52:55], v66 offset1:1
	s_add_i32 s19, s11, -12
	s_set_gpr_idx_on s18, gpr_idx(SRC0)
	v_mov_b32_e32 v63, v16
	s_set_gpr_idx_off
	s_add_i32 s20, s11, -9
	s_set_gpr_idx_on s19, gpr_idx(SRC0)
	v_mov_b32_e32 v62, v16
	s_set_gpr_idx_off
	;; [unrolled: 4-line block ×4, first 2 shown]
	ds_read2_b64 v[56:59], v66 offset0:2 offset1:3
	s_add_i32 s23, s11, -8
	s_waitcnt lgkmcnt(1)
	v_fmac_f64_e32 v[46:47], v[60:61], v[52:53]
	s_set_gpr_idx_on s22, gpr_idx(SRC0)
	v_mov_b32_e32 v61, v16
	s_set_gpr_idx_off
	s_add_i32 s24, s11, -5
	v_fmac_f64_e32 v[46:47], v[62:63], v[54:55]
	s_set_gpr_idx_on s23, gpr_idx(SRC0)
	v_mov_b32_e32 v60, v16
	s_set_gpr_idx_off
	s_add_i32 s25, s11, -6
	s_set_gpr_idx_on s24, gpr_idx(SRC0)
	v_mov_b32_e32 v63, v16
	s_set_gpr_idx_off
	s_add_i32 s26, s11, -3
	;; [unrolled: 4-line block ×3, first 2 shown]
	ds_read2_b64 v[52:55], v66 offset0:4 offset1:5
	s_waitcnt lgkmcnt(1)
	v_fmac_f64_e32 v[46:47], v[64:65], v[56:57]
	s_set_gpr_idx_on s26, gpr_idx(SRC0)
	v_mov_b32_e32 v65, v16
	s_set_gpr_idx_off
	s_add_i32 s28, s11, -1
	v_fmac_f64_e32 v[46:47], v[60:61], v[58:59]
	s_set_gpr_idx_on s27, gpr_idx(SRC0)
	v_mov_b32_e32 v64, v16
	s_set_gpr_idx_off
	s_add_i32 s29, s11, -2
	s_set_gpr_idx_on s28, gpr_idx(SRC0)
	v_mov_b32_e32 v61, v16
	s_set_gpr_idx_off
	s_set_gpr_idx_on s29, gpr_idx(SRC0)
	v_mov_b32_e32 v60, v16
	s_set_gpr_idx_off
	ds_read2_b64 v[56:59], v66 offset0:6 offset1:7
	s_add_u32 s4, s4, 8
	s_waitcnt lgkmcnt(1)
	v_fmac_f64_e32 v[46:47], v[62:63], v[52:53]
	s_set_gpr_idx_on s11, gpr_idx(SRC0)
	v_mov_b32_e32 v53, v17
	s_set_gpr_idx_off
	v_add_u32_e32 v50, s4, v48
	v_fmac_f64_e32 v[46:47], v[64:65], v[54:55]
	s_set_gpr_idx_on s11, gpr_idx(SRC0)
	v_mov_b32_e32 v52, v16
	s_set_gpr_idx_off
	s_addc_u32 s5, s5, 0
	s_add_i32 s10, s10, 64
	s_add_i32 s12, s4, -7
	v_cmp_eq_u32_e32 vcc, 10, v50
	s_waitcnt lgkmcnt(0)
	v_fmac_f64_e32 v[46:47], v[60:61], v[56:57]
	v_mov_b32_e32 v50, s12
	s_or_b64 s[8:9], vcc, s[8:9]
	v_fmac_f64_e32 v[46:47], v[52:53], v[58:59]
	s_andn2_b64 exec, exec, s[8:9]
	s_cbranch_execnz .LBB70_41
; %bb.42:
	s_or_b64 exec, exec, s[8:9]
.LBB70_43:
	s_or_b64 exec, exec, s[0:1]
	v_and_b32_e32 v30, 7, v51
	v_cmp_ne_u32_e32 vcc, 0, v30
	s_and_saveexec_b64 s[8:9], vcc
	s_cbranch_execz .LBB70_47
; %bb.44:
	v_lshl_add_u32 v48, v50, 3, 64
	v_mov_b32_e32 v31, 0
	s_mov_b64 s[10:11], 0
.LBB70_45:                              ; =>This Inner Loop Header: Depth=1
	v_cmp_eq_u32_e32 vcc, 1, v50
	v_cndmask_b32_e32 v51, v17, v19, vcc
	v_add_u32_e32 v30, -1, v30
	v_cmp_eq_u32_e64 s[0:1], 2, v50
	v_cndmask_b32_e64 v51, v51, v21, s[0:1]
	v_cndmask_b32_e32 v54, v16, v18, vcc
	v_cmp_eq_u32_e32 vcc, 0, v30
	v_cmp_eq_u32_e64 s[4:5], 3, v50
	ds_read_b64 v[52:53], v48
	v_cndmask_b32_e64 v51, v51, v23, s[4:5]
	v_cndmask_b32_e64 v54, v54, v20, s[0:1]
	s_or_b64 s[10:11], vcc, s[10:11]
	v_cmp_eq_u32_e32 vcc, 4, v50
	v_cndmask_b32_e32 v51, v51, v25, vcc
	v_cndmask_b32_e64 v54, v54, v22, s[4:5]
	v_cmp_eq_u32_e64 s[0:1], 5, v50
	v_cndmask_b32_e64 v51, v51, v27, s[0:1]
	v_cmp_eq_u32_e64 s[4:5], 6, v50
	v_cndmask_b32_e32 v54, v54, v24, vcc
	v_cndmask_b32_e64 v55, v51, v29, s[4:5]
	v_cndmask_b32_e64 v51, v54, v26, s[0:1]
	v_add_co_u32_e32 v50, vcc, 1, v50
	v_cndmask_b32_e64 v54, v51, v28, s[4:5]
	v_add_u32_e32 v48, 8, v48
	v_addc_co_u32_e32 v31, vcc, 0, v31, vcc
	s_waitcnt lgkmcnt(0)
	v_fmac_f64_e32 v[46:47], v[54:55], v[52:53]
	s_andn2_b64 exec, exec, s[10:11]
	s_cbranch_execnz .LBB70_45
; %bb.46:
	s_or_b64 exec, exec, s[10:11]
.LBB70_47:
	s_or_b64 exec, exec, s[8:9]
.LBB70_48:
	s_or_b64 exec, exec, s[6:7]
	v_mov_b32_e32 v20, 0
	ds_read_b64 v[20:21], v20 offset:16
	s_waitcnt lgkmcnt(0)
	v_mul_f64 v[20:21], v[46:47], v[20:21]
.LBB70_49:
	s_or_b64 exec, exec, s[16:17]
	v_cmp_lt_u32_e64 s[0:1], 1, v0
	ds_write_b64 v49, v[18:19]
	s_waitcnt lgkmcnt(0)
	; wave barrier
	s_waitcnt lgkmcnt(0)
	s_and_saveexec_b64 s[16:17], s[0:1]
	s_cbranch_execz .LBB70_65
; %bb.50:
	s_andn2_b64 vcc, exec, s[14:15]
	s_cbranch_vccnz .LBB70_52
; %bb.51:
	v_cmp_eq_u32_e32 vcc, 1, v0
	v_cndmask_b32_e32 v46, v17, v19, vcc
	v_cmp_eq_u32_e64 s[4:5], 2, v0
	v_cndmask_b32_e64 v46, v46, v21, s[4:5]
	v_cmp_eq_u32_e64 s[6:7], 3, v0
	v_cndmask_b32_e64 v46, v46, v23, s[6:7]
	;; [unrolled: 2-line block ×5, first 2 shown]
	v_cndmask_b32_e32 v46, v16, v18, vcc
	v_cndmask_b32_e64 v46, v46, v20, s[4:5]
	ds_read_b64 v[50:51], v49
	v_cndmask_b32_e64 v46, v46, v22, s[6:7]
	v_cndmask_b32_e64 v46, v46, v24, s[8:9]
	;; [unrolled: 1-line block ×4, first 2 shown]
	s_waitcnt lgkmcnt(0)
	v_mul_f64 v[46:47], v[46:47], v[50:51]
	s_cbranch_execz .LBB70_53
	s_branch .LBB70_54
.LBB70_52:
                                        ; implicit-def: $vgpr46_vgpr47
.LBB70_53:
	ds_read_b64 v[46:47], v49
.LBB70_54:
	s_and_saveexec_b64 s[6:7], s[2:3]
	s_cbranch_execz .LBB70_64
; %bb.55:
	v_add_u32_e32 v48, -3, v0
	v_add_u32_e32 v51, -2, v0
	v_cmp_lt_u32_e32 vcc, 6, v48
	v_mov_b32_e32 v50, 2
	s_and_saveexec_b64 s[2:3], vcc
	s_cbranch_execz .LBB70_59
; %bb.56:
	v_and_b32_e32 v48, -8, v51
	v_sub_u32_e32 v48, 0, v48
	s_mov_b64 s[4:5], 9
	s_movk_i32 s10, 0x50
	s_mov_b64 s[8:9], 0
.LBB70_57:                              ; =>This Inner Loop Header: Depth=1
	s_lshl_b32 s11, s4, 1
	s_add_i32 s12, s11, -13
	s_add_i32 s13, s11, -14
	s_set_gpr_idx_on s12, gpr_idx(SRC0)
	v_mov_b32_e32 v69, v16
	s_set_gpr_idx_off
	v_mov_b32_e32 v50, s10
	s_add_i32 s18, s11, -11
	s_set_gpr_idx_on s13, gpr_idx(SRC0)
	v_mov_b32_e32 v68, v16
	s_set_gpr_idx_off
	s_add_i32 s19, s11, -12
	ds_read_b128 v[52:55], v50
	ds_read_b128 v[56:59], v50 offset:16
	ds_read_b128 v[60:63], v50 offset:32
	;; [unrolled: 1-line block ×3, first 2 shown]
	s_set_gpr_idx_on s18, gpr_idx(SRC0)
	v_mov_b32_e32 v71, v16
	s_set_gpr_idx_off
	s_add_i32 s20, s11, -9
	s_set_gpr_idx_on s19, gpr_idx(SRC0)
	v_mov_b32_e32 v70, v16
	s_set_gpr_idx_off
	s_add_i32 s21, s11, -10
	;; [unrolled: 4-line block ×4, first 2 shown]
	s_waitcnt lgkmcnt(3)
	v_fmac_f64_e32 v[46:47], v[68:69], v[52:53]
	s_set_gpr_idx_on s22, gpr_idx(SRC0)
	v_mov_b32_e32 v53, v16
	s_set_gpr_idx_off
	s_add_i32 s24, s11, -5
	v_fmac_f64_e32 v[46:47], v[70:71], v[54:55]
	s_set_gpr_idx_on s23, gpr_idx(SRC0)
	v_mov_b32_e32 v52, v16
	s_set_gpr_idx_off
	s_add_i32 s25, s11, -6
	s_waitcnt lgkmcnt(2)
	v_fmac_f64_e32 v[46:47], v[72:73], v[56:57]
	s_set_gpr_idx_on s24, gpr_idx(SRC0)
	v_mov_b32_e32 v55, v16
	s_set_gpr_idx_off
	s_add_i32 s26, s11, -3
	v_fmac_f64_e32 v[46:47], v[52:53], v[58:59]
	s_set_gpr_idx_on s25, gpr_idx(SRC0)
	v_mov_b32_e32 v54, v16
	s_set_gpr_idx_off
	s_add_i32 s27, s11, -4
	s_waitcnt lgkmcnt(1)
	v_fmac_f64_e32 v[46:47], v[54:55], v[60:61]
	s_set_gpr_idx_on s26, gpr_idx(SRC0)
	v_mov_b32_e32 v53, v16
	s_set_gpr_idx_off
	s_add_i32 s28, s11, -1
	s_set_gpr_idx_on s27, gpr_idx(SRC0)
	v_mov_b32_e32 v52, v16
	s_set_gpr_idx_off
	s_add_i32 s29, s11, -2
	v_fmac_f64_e32 v[46:47], v[52:53], v[62:63]
	s_set_gpr_idx_on s28, gpr_idx(SRC0)
	v_mov_b32_e32 v53, v16
	s_set_gpr_idx_off
	s_add_u32 s4, s4, 8
	s_set_gpr_idx_on s29, gpr_idx(SRC0)
	v_mov_b32_e32 v52, v16
	s_set_gpr_idx_off
	v_add_u32_e32 v50, s4, v48
	s_waitcnt lgkmcnt(0)
	v_fmac_f64_e32 v[46:47], v[52:53], v[64:65]
	s_set_gpr_idx_on s11, gpr_idx(SRC0)
	v_mov_b32_e32 v53, v17
	s_set_gpr_idx_off
	s_addc_u32 s5, s5, 0
	s_add_i32 s10, s10, 64
	s_add_i32 s12, s4, -7
	v_cmp_eq_u32_e32 vcc, 9, v50
	s_set_gpr_idx_on s11, gpr_idx(SRC0)
	v_mov_b32_e32 v52, v16
	s_set_gpr_idx_off
	v_mov_b32_e32 v50, s12
	s_or_b64 s[8:9], vcc, s[8:9]
	v_fmac_f64_e32 v[46:47], v[52:53], v[66:67]
	s_andn2_b64 exec, exec, s[8:9]
	s_cbranch_execnz .LBB70_57
; %bb.58:
	s_or_b64 exec, exec, s[8:9]
.LBB70_59:
	s_or_b64 exec, exec, s[2:3]
	v_and_b32_e32 v30, 7, v51
	v_cmp_ne_u32_e32 vcc, 0, v30
	s_and_saveexec_b64 s[8:9], vcc
	s_cbranch_execz .LBB70_63
; %bb.60:
	v_lshl_add_u32 v48, v50, 3, 64
	v_mov_b32_e32 v31, 0
	s_mov_b64 s[10:11], 0
.LBB70_61:                              ; =>This Inner Loop Header: Depth=1
	v_cmp_eq_u32_e32 vcc, 1, v50
	v_cndmask_b32_e32 v51, v17, v19, vcc
	v_add_u32_e32 v30, -1, v30
	v_cmp_eq_u32_e64 s[2:3], 2, v50
	v_cndmask_b32_e64 v51, v51, v21, s[2:3]
	v_cndmask_b32_e32 v54, v16, v18, vcc
	v_cmp_eq_u32_e32 vcc, 0, v30
	v_cmp_eq_u32_e64 s[4:5], 3, v50
	ds_read_b64 v[52:53], v48
	v_cndmask_b32_e64 v51, v51, v23, s[4:5]
	v_cndmask_b32_e64 v54, v54, v20, s[2:3]
	s_or_b64 s[10:11], vcc, s[10:11]
	v_cmp_eq_u32_e32 vcc, 4, v50
	v_cndmask_b32_e32 v51, v51, v25, vcc
	v_cndmask_b32_e64 v54, v54, v22, s[4:5]
	v_cmp_eq_u32_e64 s[2:3], 5, v50
	v_cndmask_b32_e64 v51, v51, v27, s[2:3]
	v_cmp_eq_u32_e64 s[4:5], 6, v50
	v_cndmask_b32_e32 v54, v54, v24, vcc
	v_cndmask_b32_e64 v55, v51, v29, s[4:5]
	v_cndmask_b32_e64 v51, v54, v26, s[2:3]
	v_add_co_u32_e32 v50, vcc, 1, v50
	v_cndmask_b32_e64 v54, v51, v28, s[4:5]
	v_add_u32_e32 v48, 8, v48
	v_addc_co_u32_e32 v31, vcc, 0, v31, vcc
	s_waitcnt lgkmcnt(0)
	v_fmac_f64_e32 v[46:47], v[54:55], v[52:53]
	s_andn2_b64 exec, exec, s[10:11]
	s_cbranch_execnz .LBB70_61
; %bb.62:
	s_or_b64 exec, exec, s[10:11]
.LBB70_63:
	s_or_b64 exec, exec, s[8:9]
.LBB70_64:
	s_or_b64 exec, exec, s[6:7]
	v_mov_b32_e32 v18, 0
	ds_read_b64 v[18:19], v18 offset:8
	s_waitcnt lgkmcnt(0)
	v_mul_f64 v[18:19], v[46:47], v[18:19]
.LBB70_65:
	s_or_b64 exec, exec, s[16:17]
	v_cmp_ne_u32_e32 vcc, 0, v0
	ds_write_b64 v49, v[16:17]
	s_waitcnt lgkmcnt(0)
	; wave barrier
	s_waitcnt lgkmcnt(0)
	s_and_saveexec_b64 s[12:13], vcc
	s_cbranch_execz .LBB70_81
; %bb.66:
	s_andn2_b64 vcc, exec, s[14:15]
	s_cbranch_vccnz .LBB70_68
; %bb.67:
	v_cmp_eq_u32_e32 vcc, 1, v0
	v_cndmask_b32_e32 v46, v17, v19, vcc
	v_cmp_eq_u32_e64 s[2:3], 2, v0
	v_cndmask_b32_e64 v46, v46, v21, s[2:3]
	v_cmp_eq_u32_e64 s[4:5], 3, v0
	v_cndmask_b32_e64 v46, v46, v23, s[4:5]
	;; [unrolled: 2-line block ×5, first 2 shown]
	v_cndmask_b32_e32 v46, v16, v18, vcc
	v_cndmask_b32_e64 v46, v46, v20, s[2:3]
	ds_read_b64 v[50:51], v49
	v_cndmask_b32_e64 v46, v46, v22, s[4:5]
	v_cndmask_b32_e64 v46, v46, v24, s[6:7]
	;; [unrolled: 1-line block ×4, first 2 shown]
	s_waitcnt lgkmcnt(0)
	v_mul_f64 v[46:47], v[46:47], v[50:51]
	s_cbranch_execz .LBB70_69
	s_branch .LBB70_70
.LBB70_68:
                                        ; implicit-def: $vgpr46_vgpr47
.LBB70_69:
	ds_read_b64 v[46:47], v49
.LBB70_70:
	s_and_saveexec_b64 s[4:5], s[0:1]
	s_cbranch_execz .LBB70_80
; %bb.71:
	v_add_u32_e32 v48, -2, v0
	v_add_u32_e32 v51, -1, v0
	v_cmp_lt_u32_e32 vcc, 6, v48
	v_mov_b32_e32 v50, 1
	s_and_saveexec_b64 s[0:1], vcc
	s_cbranch_execz .LBB70_75
; %bb.72:
	v_and_b32_e32 v48, -8, v51
	v_sub_u32_e32 v48, 0, v48
	s_mov_b64 s[2:3], 8
	s_movk_i32 s8, 0x48
	s_mov_b64 s[6:7], 0
.LBB70_73:                              ; =>This Inner Loop Header: Depth=1
	s_lshl_b32 s9, s2, 1
	s_add_i32 s10, s9, -13
	v_mov_b32_e32 v66, s8
	s_add_i32 s11, s9, -14
	s_set_gpr_idx_on s10, gpr_idx(SRC0)
	v_mov_b32_e32 v61, v16
	s_set_gpr_idx_off
	s_add_i32 s16, s9, -11
	s_set_gpr_idx_on s11, gpr_idx(SRC0)
	v_mov_b32_e32 v60, v16
	s_set_gpr_idx_off
	ds_read2_b64 v[52:55], v66 offset1:1
	s_add_i32 s17, s9, -12
	s_set_gpr_idx_on s16, gpr_idx(SRC0)
	v_mov_b32_e32 v63, v16
	s_set_gpr_idx_off
	s_add_i32 s18, s9, -9
	s_set_gpr_idx_on s17, gpr_idx(SRC0)
	v_mov_b32_e32 v62, v16
	s_set_gpr_idx_off
	;; [unrolled: 4-line block ×4, first 2 shown]
	ds_read2_b64 v[56:59], v66 offset0:2 offset1:3
	s_add_i32 s21, s9, -8
	s_waitcnt lgkmcnt(1)
	v_fmac_f64_e32 v[46:47], v[60:61], v[52:53]
	s_set_gpr_idx_on s20, gpr_idx(SRC0)
	v_mov_b32_e32 v61, v16
	s_set_gpr_idx_off
	s_add_i32 s22, s9, -5
	v_fmac_f64_e32 v[46:47], v[62:63], v[54:55]
	s_set_gpr_idx_on s21, gpr_idx(SRC0)
	v_mov_b32_e32 v60, v16
	s_set_gpr_idx_off
	s_add_i32 s23, s9, -6
	s_set_gpr_idx_on s22, gpr_idx(SRC0)
	v_mov_b32_e32 v63, v16
	s_set_gpr_idx_off
	s_add_i32 s24, s9, -3
	;; [unrolled: 4-line block ×3, first 2 shown]
	ds_read2_b64 v[52:55], v66 offset0:4 offset1:5
	s_waitcnt lgkmcnt(1)
	v_fmac_f64_e32 v[46:47], v[64:65], v[56:57]
	s_set_gpr_idx_on s24, gpr_idx(SRC0)
	v_mov_b32_e32 v65, v16
	s_set_gpr_idx_off
	s_add_i32 s26, s9, -1
	v_fmac_f64_e32 v[46:47], v[60:61], v[58:59]
	s_set_gpr_idx_on s25, gpr_idx(SRC0)
	v_mov_b32_e32 v64, v16
	s_set_gpr_idx_off
	s_add_i32 s27, s9, -2
	s_set_gpr_idx_on s26, gpr_idx(SRC0)
	v_mov_b32_e32 v61, v16
	s_set_gpr_idx_off
	s_set_gpr_idx_on s27, gpr_idx(SRC0)
	v_mov_b32_e32 v60, v16
	s_set_gpr_idx_off
	ds_read2_b64 v[56:59], v66 offset0:6 offset1:7
	s_add_u32 s2, s2, 8
	s_waitcnt lgkmcnt(1)
	v_fmac_f64_e32 v[46:47], v[62:63], v[52:53]
	s_set_gpr_idx_on s9, gpr_idx(SRC0)
	v_mov_b32_e32 v53, v17
	s_set_gpr_idx_off
	v_add_u32_e32 v50, s2, v48
	v_fmac_f64_e32 v[46:47], v[64:65], v[54:55]
	s_set_gpr_idx_on s9, gpr_idx(SRC0)
	v_mov_b32_e32 v52, v16
	s_set_gpr_idx_off
	s_addc_u32 s3, s3, 0
	s_add_i32 s8, s8, 64
	s_add_i32 s10, s2, -7
	v_cmp_eq_u32_e32 vcc, 8, v50
	s_waitcnt lgkmcnt(0)
	v_fmac_f64_e32 v[46:47], v[60:61], v[56:57]
	v_mov_b32_e32 v50, s10
	s_or_b64 s[6:7], vcc, s[6:7]
	v_fmac_f64_e32 v[46:47], v[52:53], v[58:59]
	s_andn2_b64 exec, exec, s[6:7]
	s_cbranch_execnz .LBB70_73
; %bb.74:
	s_or_b64 exec, exec, s[6:7]
.LBB70_75:
	s_or_b64 exec, exec, s[0:1]
	v_and_b32_e32 v30, 7, v51
	v_cmp_ne_u32_e32 vcc, 0, v30
	s_and_saveexec_b64 s[6:7], vcc
	s_cbranch_execz .LBB70_79
; %bb.76:
	v_lshl_add_u32 v48, v50, 3, 64
	v_mov_b32_e32 v31, 0
	s_mov_b64 s[8:9], 0
.LBB70_77:                              ; =>This Inner Loop Header: Depth=1
	v_cmp_eq_u32_e32 vcc, 1, v50
	v_cndmask_b32_e32 v51, v17, v19, vcc
	v_add_u32_e32 v30, -1, v30
	v_cmp_eq_u32_e64 s[0:1], 2, v50
	v_cndmask_b32_e64 v51, v51, v21, s[0:1]
	v_cndmask_b32_e32 v54, v16, v18, vcc
	v_cmp_eq_u32_e32 vcc, 0, v30
	v_cmp_eq_u32_e64 s[2:3], 3, v50
	ds_read_b64 v[52:53], v48
	v_cndmask_b32_e64 v51, v51, v23, s[2:3]
	v_cndmask_b32_e64 v54, v54, v20, s[0:1]
	s_or_b64 s[8:9], vcc, s[8:9]
	v_cmp_eq_u32_e32 vcc, 4, v50
	v_cndmask_b32_e32 v51, v51, v25, vcc
	v_cndmask_b32_e64 v54, v54, v22, s[2:3]
	v_cmp_eq_u32_e64 s[0:1], 5, v50
	v_cndmask_b32_e64 v51, v51, v27, s[0:1]
	v_cmp_eq_u32_e64 s[2:3], 6, v50
	v_cndmask_b32_e32 v54, v54, v24, vcc
	v_cndmask_b32_e64 v55, v51, v29, s[2:3]
	v_cndmask_b32_e64 v51, v54, v26, s[0:1]
	v_add_co_u32_e32 v50, vcc, 1, v50
	v_cndmask_b32_e64 v54, v51, v28, s[2:3]
	v_add_u32_e32 v48, 8, v48
	v_addc_co_u32_e32 v31, vcc, 0, v31, vcc
	s_waitcnt lgkmcnt(0)
	v_fmac_f64_e32 v[46:47], v[54:55], v[52:53]
	s_andn2_b64 exec, exec, s[8:9]
	s_cbranch_execnz .LBB70_77
; %bb.78:
	s_or_b64 exec, exec, s[8:9]
.LBB70_79:
	s_or_b64 exec, exec, s[6:7]
.LBB70_80:
	s_or_b64 exec, exec, s[4:5]
	v_mov_b32_e32 v16, 0
	ds_read_b64 v[16:17], v16
	s_waitcnt lgkmcnt(0)
	v_mul_f64 v[16:17], v[46:47], v[16:17]
.LBB70_81:
	s_or_b64 exec, exec, s[12:13]
	s_branch .LBB70_135
.LBB70_82:
	v_cmp_eq_u32_e64 s[2:3], 0, v0
	s_waitcnt vmcnt(6)
	ds_write_b64 v49, v[4:5]
	s_waitcnt lgkmcnt(0)
	; wave barrier
	s_waitcnt lgkmcnt(0)
	s_and_saveexec_b64 s[12:13], s[2:3]
	s_cbranch_execz .LBB70_88
; %bb.83:
	s_and_b64 vcc, exec, s[14:15]
	s_cbranch_vccz .LBB70_85
; %bb.84:
	v_cmp_eq_u32_e32 vcc, 1, v0
	s_waitcnt vmcnt(1)
	v_cndmask_b32_e32 v5, v3, v5, vcc
	v_cmp_eq_u32_e64 s[0:1], 2, v0
	v_cndmask_b32_e32 v4, v2, v4, vcc
	v_cndmask_b32_e64 v5, v5, v7, s[0:1]
	v_cmp_eq_u32_e64 s[4:5], 3, v0
	v_cndmask_b32_e64 v4, v4, v6, s[0:1]
	ds_read_b64 v[16:17], v49
	v_cndmask_b32_e64 v5, v5, v9, s[4:5]
	v_cmp_eq_u32_e64 s[6:7], 4, v0
	v_cndmask_b32_e64 v4, v4, v8, s[4:5]
	v_cndmask_b32_e64 v5, v5, v11, s[6:7]
	v_cmp_eq_u32_e64 s[8:9], 5, v0
	v_cndmask_b32_e64 v4, v4, v10, s[6:7]
	;; [unrolled: 3-line block ×3, first 2 shown]
	s_waitcnt vmcnt(0)
	v_cndmask_b32_e64 v5, v5, v15, s[10:11]
	v_cndmask_b32_e64 v4, v4, v14, s[10:11]
	s_waitcnt lgkmcnt(0)
	v_mul_f64 v[4:5], v[4:5], v[16:17]
	s_cbranch_execz .LBB70_86
	s_branch .LBB70_87
.LBB70_85:
                                        ; implicit-def: $vgpr4_vgpr5
.LBB70_86:
	ds_read_b64 v[4:5], v49
.LBB70_87:
	v_mov_b32_e32 v16, 0
	ds_read_b64 v[16:17], v16 offset:8
	s_waitcnt lgkmcnt(0)
	v_mul_f64 v[4:5], v[4:5], v[16:17]
.LBB70_88:
	s_or_b64 exec, exec, s[12:13]
	v_cndmask_b32_e64 v16, 0, 1, s[14:15]
	v_add_u32_e32 v18, 1, v0
	v_cmp_gt_u32_e32 vcc, 2, v0
	v_cmp_ne_u32_e64 s[0:1], 1, v16
	s_waitcnt vmcnt(5)
	ds_write_b64 v49, v[6:7]
	s_waitcnt lgkmcnt(0)
	; wave barrier
	s_waitcnt lgkmcnt(0)
	s_and_saveexec_b64 s[14:15], vcc
	s_cbranch_execz .LBB70_96
; %bb.89:
	s_and_b64 vcc, exec, s[0:1]
	s_cbranch_vccnz .LBB70_91
; %bb.90:
	v_cmp_eq_u32_e32 vcc, 1, v0
	s_waitcnt vmcnt(1)
	v_cndmask_b32_e32 v16, v3, v5, vcc
	v_cmp_eq_u32_e64 s[4:5], 2, v0
	v_cndmask_b32_e64 v16, v16, v7, s[4:5]
	v_cmp_eq_u32_e64 s[6:7], 3, v0
	v_cndmask_b32_e64 v16, v16, v9, s[6:7]
	;; [unrolled: 2-line block ×4, first 2 shown]
	v_cmp_eq_u32_e64 s[12:13], 6, v0
	s_waitcnt vmcnt(0)
	v_cndmask_b32_e64 v17, v16, v15, s[12:13]
	v_cndmask_b32_e32 v16, v2, v4, vcc
	v_cndmask_b32_e64 v16, v16, v6, s[4:5]
	ds_read_b64 v[20:21], v49
	v_cndmask_b32_e64 v16, v16, v8, s[6:7]
	v_cndmask_b32_e64 v16, v16, v10, s[8:9]
	;; [unrolled: 1-line block ×4, first 2 shown]
	s_waitcnt lgkmcnt(0)
	v_mul_f64 v[16:17], v[16:17], v[20:21]
	s_cbranch_execz .LBB70_92
	s_branch .LBB70_93
.LBB70_91:
                                        ; implicit-def: $vgpr16_vgpr17
.LBB70_92:
	ds_read_b64 v[16:17], v49
.LBB70_93:
	s_and_saveexec_b64 s[16:17], s[2:3]
	s_cbranch_execz .LBB70_95
; %bb.94:
	v_cmp_eq_u32_e32 vcc, 1, v18
	s_waitcnt vmcnt(1)
	v_cndmask_b32_e32 v19, v3, v5, vcc
	v_cmp_eq_u32_e64 s[4:5], 2, v18
	v_cndmask_b32_e64 v7, v19, v7, s[4:5]
	v_cndmask_b32_e32 v19, v2, v4, vcc
	v_cmp_eq_u32_e64 s[6:7], 3, v18
	v_cndmask_b32_e64 v6, v19, v6, s[4:5]
	ds_read_b64 v[20:21], v49 offset:8
	v_cndmask_b32_e64 v7, v7, v9, s[6:7]
	v_cmp_eq_u32_e64 s[8:9], 4, v18
	v_cndmask_b32_e64 v6, v6, v8, s[6:7]
	v_cndmask_b32_e64 v7, v7, v11, s[8:9]
	v_cmp_eq_u32_e64 s[10:11], 5, v18
	v_cndmask_b32_e64 v6, v6, v10, s[8:9]
	;; [unrolled: 3-line block ×3, first 2 shown]
	s_waitcnt vmcnt(0)
	v_cndmask_b32_e64 v7, v7, v15, s[12:13]
	v_cndmask_b32_e64 v6, v6, v14, s[12:13]
	s_waitcnt lgkmcnt(0)
	v_fmac_f64_e32 v[16:17], v[6:7], v[20:21]
.LBB70_95:
	s_or_b64 exec, exec, s[16:17]
	v_mov_b32_e32 v6, 0
	ds_read_b64 v[6:7], v6 offset:16
	s_waitcnt lgkmcnt(0)
	v_mul_f64 v[6:7], v[16:17], v[6:7]
.LBB70_96:
	s_or_b64 exec, exec, s[14:15]
	v_cmp_gt_u32_e32 vcc, 3, v0
	s_waitcnt vmcnt(4)
	ds_write_b64 v49, v[8:9]
	s_waitcnt lgkmcnt(0)
	; wave barrier
	s_waitcnt lgkmcnt(0)
	s_and_saveexec_b64 s[14:15], vcc
	s_cbranch_execz .LBB70_104
; %bb.97:
	s_and_b64 vcc, exec, s[0:1]
	s_cbranch_vccnz .LBB70_99
; %bb.98:
	v_cmp_eq_u32_e32 vcc, 1, v0
	s_waitcnt vmcnt(1)
	v_cndmask_b32_e32 v16, v3, v5, vcc
	v_cmp_eq_u32_e64 s[4:5], 2, v0
	v_cndmask_b32_e64 v16, v16, v7, s[4:5]
	v_cmp_eq_u32_e64 s[6:7], 3, v0
	v_cndmask_b32_e64 v16, v16, v9, s[6:7]
	;; [unrolled: 2-line block ×4, first 2 shown]
	v_cmp_eq_u32_e64 s[12:13], 6, v0
	s_waitcnt vmcnt(0)
	v_cndmask_b32_e64 v17, v16, v15, s[12:13]
	v_cndmask_b32_e32 v16, v2, v4, vcc
	v_cndmask_b32_e64 v16, v16, v6, s[4:5]
	ds_read_b64 v[20:21], v49
	v_cndmask_b32_e64 v16, v16, v8, s[6:7]
	v_cndmask_b32_e64 v16, v16, v10, s[8:9]
	v_cndmask_b32_e64 v16, v16, v12, s[10:11]
	v_cndmask_b32_e64 v16, v16, v14, s[12:13]
	s_waitcnt lgkmcnt(0)
	v_mul_f64 v[16:17], v[16:17], v[20:21]
	s_cbranch_execz .LBB70_100
	s_branch .LBB70_101
.LBB70_99:
                                        ; implicit-def: $vgpr16_vgpr17
.LBB70_100:
	ds_read_b64 v[16:17], v49
.LBB70_101:
	v_cmp_ne_u32_e32 vcc, 2, v0
	s_and_saveexec_b64 s[16:17], vcc
	s_cbranch_execz .LBB70_103
; %bb.102:
	v_cmp_eq_u32_e32 vcc, 1, v18
	s_waitcnt vmcnt(1)
	v_cndmask_b32_e32 v19, v3, v5, vcc
	v_cmp_eq_u32_e64 s[4:5], 2, v18
	v_cmp_eq_u32_e64 s[6:7], 3, v18
	;; [unrolled: 1-line block ×5, first 2 shown]
	v_cndmask_b32_e32 v18, v2, v4, vcc
	v_cndmask_b32_e64 v19, v19, v7, s[4:5]
	v_cndmask_b32_e64 v18, v18, v6, s[4:5]
	v_mov_b32_e32 v20, 0
	v_cndmask_b32_e64 v9, v19, v9, s[6:7]
	v_cndmask_b32_e64 v8, v18, v8, s[6:7]
	ds_read_b64 v[18:19], v49 offset:8
	ds_read_b64 v[20:21], v20 offset:80
	v_cndmask_b32_e64 v9, v9, v11, s[8:9]
	v_cndmask_b32_e64 v8, v8, v10, s[8:9]
	;; [unrolled: 1-line block ×4, first 2 shown]
	s_waitcnt vmcnt(0)
	v_cndmask_b32_e64 v9, v9, v15, s[12:13]
	v_cndmask_b32_e64 v8, v8, v14, s[12:13]
	s_waitcnt lgkmcnt(1)
	v_fmac_f64_e32 v[16:17], v[8:9], v[18:19]
	s_waitcnt lgkmcnt(0)
	v_fma_f64 v[8:9], v[6:7], v[20:21], v[16:17]
	v_cndmask_b32_e64 v17, v17, v9, s[2:3]
	v_cndmask_b32_e64 v16, v16, v8, s[2:3]
.LBB70_103:
	s_or_b64 exec, exec, s[16:17]
	v_mov_b32_e32 v8, 0
	ds_read_b64 v[8:9], v8 offset:24
	s_waitcnt lgkmcnt(0)
	v_mul_f64 v[8:9], v[16:17], v[8:9]
.LBB70_104:
	s_or_b64 exec, exec, s[14:15]
	v_cmp_gt_u32_e32 vcc, 4, v0
	s_waitcnt vmcnt(3)
	ds_write_b64 v49, v[10:11]
	s_waitcnt lgkmcnt(0)
	; wave barrier
	s_waitcnt lgkmcnt(0)
	s_and_saveexec_b64 s[12:13], vcc
	s_cbranch_execz .LBB70_114
; %bb.105:
	s_and_b64 vcc, exec, s[0:1]
	s_cbranch_vccnz .LBB70_107
; %bb.106:
	v_cmp_eq_u32_e32 vcc, 1, v0
	s_waitcnt vmcnt(1)
	v_cndmask_b32_e32 v16, v3, v5, vcc
	v_cmp_eq_u32_e64 s[2:3], 2, v0
	v_cndmask_b32_e64 v16, v16, v7, s[2:3]
	v_cmp_eq_u32_e64 s[4:5], 3, v0
	v_cndmask_b32_e64 v16, v16, v9, s[4:5]
	;; [unrolled: 2-line block ×4, first 2 shown]
	v_cmp_eq_u32_e64 s[10:11], 6, v0
	s_waitcnt vmcnt(0)
	v_cndmask_b32_e64 v17, v16, v15, s[10:11]
	v_cndmask_b32_e32 v16, v2, v4, vcc
	v_cndmask_b32_e64 v16, v16, v6, s[2:3]
	ds_read_b64 v[18:19], v49
	v_cndmask_b32_e64 v16, v16, v8, s[4:5]
	v_cndmask_b32_e64 v16, v16, v10, s[6:7]
	;; [unrolled: 1-line block ×4, first 2 shown]
	s_waitcnt lgkmcnt(0)
	v_mul_f64 v[16:17], v[16:17], v[18:19]
	s_cbranch_execz .LBB70_108
	s_branch .LBB70_109
.LBB70_107:
                                        ; implicit-def: $vgpr16_vgpr17
.LBB70_108:
	ds_read_b64 v[16:17], v49
.LBB70_109:
	v_cmp_ne_u32_e32 vcc, 3, v0
	s_and_saveexec_b64 s[6:7], vcc
	s_cbranch_execz .LBB70_113
; %bb.110:
	v_mov_b32_e32 v18, 0x48
	v_lshl_add_u32 v20, v0, 3, v18
	s_mov_b64 s[8:9], 0
	v_pk_mov_b32 v[18:19], v[0:1], v[0:1] op_sel:[0,1]
.LBB70_111:                             ; =>This Inner Loop Header: Depth=1
	v_add_co_u32_e32 v18, vcc, 1, v18
	v_addc_co_u32_e32 v19, vcc, 0, v19, vcc
	v_cmp_eq_u32_e32 vcc, 1, v18
	s_waitcnt vmcnt(1)
	v_cndmask_b32_e32 v21, v3, v5, vcc
	v_cmp_eq_u32_e64 s[4:5], 2, v18
	v_cmp_lt_u32_e64 s[2:3], 2, v18
	v_cndmask_b32_e64 v21, v21, v7, s[4:5]
	v_cndmask_b32_e32 v24, v2, v4, vcc
	v_cmp_eq_u32_e32 vcc, 3, v18
	ds_read_b64 v[22:23], v20
	s_or_b64 s[8:9], s[2:3], s[8:9]
	v_cndmask_b32_e32 v21, v21, v9, vcc
	v_cndmask_b32_e64 v24, v24, v6, s[4:5]
	v_cmp_eq_u32_e64 s[2:3], 4, v18
	v_cndmask_b32_e64 v21, v21, v11, s[2:3]
	v_cndmask_b32_e32 v24, v24, v8, vcc
	v_cmp_eq_u32_e32 vcc, 5, v18
	v_cndmask_b32_e32 v21, v21, v13, vcc
	v_cndmask_b32_e64 v24, v24, v10, s[2:3]
	v_cmp_eq_u32_e64 s[2:3], 6, v18
	s_waitcnt vmcnt(0)
	v_cndmask_b32_e64 v25, v21, v15, s[2:3]
	v_cndmask_b32_e32 v21, v24, v12, vcc
	v_cndmask_b32_e64 v24, v21, v14, s[2:3]
	v_add_u32_e32 v20, 8, v20
	s_waitcnt lgkmcnt(0)
	v_fmac_f64_e32 v[16:17], v[24:25], v[22:23]
	s_andn2_b64 exec, exec, s[8:9]
	s_cbranch_execnz .LBB70_111
; %bb.112:
	s_or_b64 exec, exec, s[8:9]
.LBB70_113:
	s_or_b64 exec, exec, s[6:7]
	v_mov_b32_e32 v10, 0
	ds_read_b64 v[10:11], v10 offset:32
	s_waitcnt lgkmcnt(0)
	v_mul_f64 v[10:11], v[16:17], v[10:11]
.LBB70_114:
	s_or_b64 exec, exec, s[12:13]
	v_cmp_gt_u32_e64 s[2:3], 5, v0
	s_waitcnt vmcnt(2)
	ds_write_b64 v49, v[12:13]
	s_waitcnt lgkmcnt(0)
	; wave barrier
	s_waitcnt lgkmcnt(0)
	s_and_saveexec_b64 s[14:15], s[2:3]
	s_cbranch_execz .LBB70_124
; %bb.115:
	s_and_b64 vcc, exec, s[0:1]
	s_cbranch_vccnz .LBB70_117
; %bb.116:
	v_cmp_eq_u32_e32 vcc, 1, v0
	s_waitcnt vmcnt(1)
	v_cndmask_b32_e32 v16, v3, v5, vcc
	v_cmp_eq_u32_e64 s[4:5], 2, v0
	v_cndmask_b32_e64 v16, v16, v7, s[4:5]
	v_cmp_eq_u32_e64 s[6:7], 3, v0
	v_cndmask_b32_e64 v16, v16, v9, s[6:7]
	v_cmp_eq_u32_e64 s[8:9], 4, v0
	v_cndmask_b32_e64 v16, v16, v11, s[8:9]
	v_cmp_eq_u32_e64 s[10:11], 5, v0
	v_cndmask_b32_e64 v16, v16, v13, s[10:11]
	v_cmp_eq_u32_e64 s[12:13], 6, v0
	s_waitcnt vmcnt(0)
	v_cndmask_b32_e64 v17, v16, v15, s[12:13]
	v_cndmask_b32_e32 v16, v2, v4, vcc
	v_cndmask_b32_e64 v16, v16, v6, s[4:5]
	ds_read_b64 v[18:19], v49
	v_cndmask_b32_e64 v16, v16, v8, s[6:7]
	v_cndmask_b32_e64 v16, v16, v10, s[8:9]
	;; [unrolled: 1-line block ×4, first 2 shown]
	s_waitcnt lgkmcnt(0)
	v_mul_f64 v[16:17], v[16:17], v[18:19]
	s_cbranch_execz .LBB70_118
	s_branch .LBB70_119
.LBB70_117:
                                        ; implicit-def: $vgpr16_vgpr17
.LBB70_118:
	ds_read_b64 v[16:17], v49
.LBB70_119:
	v_cmp_ne_u32_e32 vcc, 4, v0
	s_and_saveexec_b64 s[8:9], vcc
	s_cbranch_execz .LBB70_123
; %bb.120:
	v_mov_b32_e32 v18, 0x48
	v_lshl_add_u32 v20, v0, 3, v18
	s_mov_b64 s[10:11], 0
	v_pk_mov_b32 v[18:19], v[0:1], v[0:1] op_sel:[0,1]
.LBB70_121:                             ; =>This Inner Loop Header: Depth=1
	v_add_co_u32_e32 v18, vcc, 1, v18
	v_addc_co_u32_e32 v19, vcc, 0, v19, vcc
	v_cmp_eq_u32_e32 vcc, 1, v18
	s_waitcnt vmcnt(1)
	v_cndmask_b32_e32 v21, v3, v5, vcc
	v_cmp_eq_u32_e64 s[6:7], 2, v18
	v_cmp_lt_u32_e64 s[4:5], 3, v18
	v_cndmask_b32_e64 v21, v21, v7, s[6:7]
	v_cndmask_b32_e32 v24, v2, v4, vcc
	v_cmp_eq_u32_e32 vcc, 3, v18
	ds_read_b64 v[22:23], v20
	s_or_b64 s[10:11], s[4:5], s[10:11]
	v_cndmask_b32_e32 v21, v21, v9, vcc
	v_cndmask_b32_e64 v24, v24, v6, s[6:7]
	v_cmp_eq_u32_e64 s[4:5], 4, v18
	v_cndmask_b32_e64 v21, v21, v11, s[4:5]
	v_cndmask_b32_e32 v24, v24, v8, vcc
	v_cmp_eq_u32_e32 vcc, 5, v18
	v_cndmask_b32_e32 v21, v21, v13, vcc
	v_cndmask_b32_e64 v24, v24, v10, s[4:5]
	v_cmp_eq_u32_e64 s[4:5], 6, v18
	s_waitcnt vmcnt(0)
	v_cndmask_b32_e64 v25, v21, v15, s[4:5]
	v_cndmask_b32_e32 v21, v24, v12, vcc
	v_cndmask_b32_e64 v24, v21, v14, s[4:5]
	v_add_u32_e32 v20, 8, v20
	s_waitcnt lgkmcnt(0)
	v_fmac_f64_e32 v[16:17], v[24:25], v[22:23]
	s_andn2_b64 exec, exec, s[10:11]
	s_cbranch_execnz .LBB70_121
; %bb.122:
	s_or_b64 exec, exec, s[10:11]
.LBB70_123:
	s_or_b64 exec, exec, s[8:9]
	v_mov_b32_e32 v12, 0
	ds_read_b64 v[12:13], v12 offset:40
	s_waitcnt lgkmcnt(0)
	v_mul_f64 v[12:13], v[16:17], v[12:13]
.LBB70_124:
	s_or_b64 exec, exec, s[14:15]
	v_cmp_ne_u32_e32 vcc, 6, v0
	s_waitcnt vmcnt(0)
	ds_write_b64 v49, v[14:15]
	s_waitcnt lgkmcnt(0)
	; wave barrier
	s_waitcnt lgkmcnt(0)
	s_and_saveexec_b64 s[12:13], vcc
	s_cbranch_execz .LBB70_134
; %bb.125:
	s_and_b64 vcc, exec, s[0:1]
	s_cbranch_vccnz .LBB70_127
; %bb.126:
	v_cmp_eq_u32_e32 vcc, 1, v0
	v_cndmask_b32_e32 v16, v3, v5, vcc
	v_cmp_eq_u32_e64 s[0:1], 2, v0
	v_cndmask_b32_e64 v16, v16, v7, s[0:1]
	v_cmp_eq_u32_e64 s[4:5], 3, v0
	v_cndmask_b32_e64 v16, v16, v9, s[4:5]
	;; [unrolled: 2-line block ×5, first 2 shown]
	v_cndmask_b32_e32 v16, v2, v4, vcc
	v_cndmask_b32_e64 v16, v16, v6, s[0:1]
	ds_read_b64 v[18:19], v49
	v_cndmask_b32_e64 v16, v16, v8, s[4:5]
	v_cndmask_b32_e64 v16, v16, v10, s[6:7]
	;; [unrolled: 1-line block ×4, first 2 shown]
	s_waitcnt lgkmcnt(0)
	v_mul_f64 v[16:17], v[16:17], v[18:19]
	s_cbranch_execz .LBB70_128
	s_branch .LBB70_129
.LBB70_127:
                                        ; implicit-def: $vgpr16_vgpr17
.LBB70_128:
	ds_read_b64 v[16:17], v49
.LBB70_129:
	s_and_saveexec_b64 s[4:5], s[2:3]
	s_cbranch_execz .LBB70_133
; %bb.130:
	v_mov_b32_e32 v18, 0x48
	v_lshl_add_u32 v18, v0, 3, v18
	s_mov_b64 s[6:7], 0
.LBB70_131:                             ; =>This Inner Loop Header: Depth=1
	v_add_co_u32_e32 v0, vcc, 1, v0
	v_addc_co_u32_e32 v1, vcc, 0, v1, vcc
	v_cmp_eq_u32_e32 vcc, 1, v0
	v_cndmask_b32_e32 v19, v3, v5, vcc
	v_cmp_eq_u32_e64 s[2:3], 2, v0
	v_cmp_lt_u32_e64 s[0:1], 4, v0
	v_cndmask_b32_e64 v19, v19, v7, s[2:3]
	v_cndmask_b32_e32 v22, v2, v4, vcc
	v_cmp_eq_u32_e32 vcc, 3, v0
	ds_read_b64 v[20:21], v18
	s_or_b64 s[6:7], s[0:1], s[6:7]
	v_cndmask_b32_e32 v19, v19, v9, vcc
	v_cndmask_b32_e64 v22, v22, v6, s[2:3]
	v_cmp_eq_u32_e64 s[0:1], 4, v0
	v_cndmask_b32_e64 v19, v19, v11, s[0:1]
	v_cndmask_b32_e32 v22, v22, v8, vcc
	v_cmp_eq_u32_e32 vcc, 5, v0
	v_cndmask_b32_e32 v19, v19, v13, vcc
	v_cndmask_b32_e64 v22, v22, v10, s[0:1]
	v_cmp_eq_u32_e64 s[0:1], 6, v0
	v_cndmask_b32_e64 v23, v19, v15, s[0:1]
	v_cndmask_b32_e32 v19, v22, v12, vcc
	v_cndmask_b32_e64 v22, v19, v14, s[0:1]
	v_add_u32_e32 v18, 8, v18
	s_waitcnt lgkmcnt(0)
	v_fmac_f64_e32 v[16:17], v[22:23], v[20:21]
	s_andn2_b64 exec, exec, s[6:7]
	s_cbranch_execnz .LBB70_131
; %bb.132:
	s_or_b64 exec, exec, s[6:7]
.LBB70_133:
	s_or_b64 exec, exec, s[4:5]
	v_mov_b32_e32 v0, 0
	ds_read_b64 v[0:1], v0 offset:48
	s_waitcnt lgkmcnt(0)
	v_mul_f64 v[14:15], v[16:17], v[0:1]
.LBB70_134:
	s_or_b64 exec, exec, s[12:13]
	v_pk_mov_b32 v[30:31], v[16:17], v[16:17] op_sel:[0,1]
	v_pk_mov_b32 v[28:29], v[14:15], v[14:15] op_sel:[0,1]
	;; [unrolled: 1-line block ×8, first 2 shown]
.LBB70_135:
	global_store_dwordx2 v[32:33], v[16:17], off
	global_store_dwordx2 v[34:35], v[18:19], off
	;; [unrolled: 1-line block ×7, first 2 shown]
.LBB70_136:
	s_endpgm
	.section	.rodata,"a",@progbits
	.p2align	6, 0x0
	.amdhsa_kernel _ZN9rocsolver6v33100L18trti2_kernel_smallILi7EdPKPdEEv13rocblas_fill_17rocblas_diagonal_T1_iil
		.amdhsa_group_segment_fixed_size 120
		.amdhsa_private_segment_fixed_size 0
		.amdhsa_kernarg_size 32
		.amdhsa_user_sgpr_count 6
		.amdhsa_user_sgpr_private_segment_buffer 1
		.amdhsa_user_sgpr_dispatch_ptr 0
		.amdhsa_user_sgpr_queue_ptr 0
		.amdhsa_user_sgpr_kernarg_segment_ptr 1
		.amdhsa_user_sgpr_dispatch_id 0
		.amdhsa_user_sgpr_flat_scratch_init 0
		.amdhsa_user_sgpr_kernarg_preload_length 0
		.amdhsa_user_sgpr_kernarg_preload_offset 0
		.amdhsa_user_sgpr_private_segment_size 0
		.amdhsa_uses_dynamic_stack 0
		.amdhsa_system_sgpr_private_segment_wavefront_offset 0
		.amdhsa_system_sgpr_workgroup_id_x 1
		.amdhsa_system_sgpr_workgroup_id_y 0
		.amdhsa_system_sgpr_workgroup_id_z 0
		.amdhsa_system_sgpr_workgroup_info 0
		.amdhsa_system_vgpr_workitem_id 0
		.amdhsa_next_free_vgpr 74
		.amdhsa_next_free_sgpr 30
		.amdhsa_accum_offset 76
		.amdhsa_reserve_vcc 1
		.amdhsa_reserve_flat_scratch 0
		.amdhsa_float_round_mode_32 0
		.amdhsa_float_round_mode_16_64 0
		.amdhsa_float_denorm_mode_32 3
		.amdhsa_float_denorm_mode_16_64 3
		.amdhsa_dx10_clamp 1
		.amdhsa_ieee_mode 1
		.amdhsa_fp16_overflow 0
		.amdhsa_tg_split 0
		.amdhsa_exception_fp_ieee_invalid_op 0
		.amdhsa_exception_fp_denorm_src 0
		.amdhsa_exception_fp_ieee_div_zero 0
		.amdhsa_exception_fp_ieee_overflow 0
		.amdhsa_exception_fp_ieee_underflow 0
		.amdhsa_exception_fp_ieee_inexact 0
		.amdhsa_exception_int_div_zero 0
	.end_amdhsa_kernel
	.section	.text._ZN9rocsolver6v33100L18trti2_kernel_smallILi7EdPKPdEEv13rocblas_fill_17rocblas_diagonal_T1_iil,"axG",@progbits,_ZN9rocsolver6v33100L18trti2_kernel_smallILi7EdPKPdEEv13rocblas_fill_17rocblas_diagonal_T1_iil,comdat
.Lfunc_end70:
	.size	_ZN9rocsolver6v33100L18trti2_kernel_smallILi7EdPKPdEEv13rocblas_fill_17rocblas_diagonal_T1_iil, .Lfunc_end70-_ZN9rocsolver6v33100L18trti2_kernel_smallILi7EdPKPdEEv13rocblas_fill_17rocblas_diagonal_T1_iil
                                        ; -- End function
	.section	.AMDGPU.csdata,"",@progbits
; Kernel info:
; codeLenInByte = 7468
; NumSgprs: 34
; NumVgprs: 74
; NumAgprs: 0
; TotalNumVgprs: 74
; ScratchSize: 0
; MemoryBound: 0
; FloatMode: 240
; IeeeMode: 1
; LDSByteSize: 120 bytes/workgroup (compile time only)
; SGPRBlocks: 4
; VGPRBlocks: 9
; NumSGPRsForWavesPerEU: 34
; NumVGPRsForWavesPerEU: 74
; AccumOffset: 76
; Occupancy: 6
; WaveLimiterHint : 1
; COMPUTE_PGM_RSRC2:SCRATCH_EN: 0
; COMPUTE_PGM_RSRC2:USER_SGPR: 6
; COMPUTE_PGM_RSRC2:TRAP_HANDLER: 0
; COMPUTE_PGM_RSRC2:TGID_X_EN: 1
; COMPUTE_PGM_RSRC2:TGID_Y_EN: 0
; COMPUTE_PGM_RSRC2:TGID_Z_EN: 0
; COMPUTE_PGM_RSRC2:TIDIG_COMP_CNT: 0
; COMPUTE_PGM_RSRC3_GFX90A:ACCUM_OFFSET: 18
; COMPUTE_PGM_RSRC3_GFX90A:TG_SPLIT: 0
	.section	.text._ZN9rocsolver6v33100L18trti2_kernel_smallILi8EdPKPdEEv13rocblas_fill_17rocblas_diagonal_T1_iil,"axG",@progbits,_ZN9rocsolver6v33100L18trti2_kernel_smallILi8EdPKPdEEv13rocblas_fill_17rocblas_diagonal_T1_iil,comdat
	.globl	_ZN9rocsolver6v33100L18trti2_kernel_smallILi8EdPKPdEEv13rocblas_fill_17rocblas_diagonal_T1_iil ; -- Begin function _ZN9rocsolver6v33100L18trti2_kernel_smallILi8EdPKPdEEv13rocblas_fill_17rocblas_diagonal_T1_iil
	.p2align	8
	.type	_ZN9rocsolver6v33100L18trti2_kernel_smallILi8EdPKPdEEv13rocblas_fill_17rocblas_diagonal_T1_iil,@function
_ZN9rocsolver6v33100L18trti2_kernel_smallILi8EdPKPdEEv13rocblas_fill_17rocblas_diagonal_T1_iil: ; @_ZN9rocsolver6v33100L18trti2_kernel_smallILi8EdPKPdEEv13rocblas_fill_17rocblas_diagonal_T1_iil
; %bb.0:
	v_cmp_gt_u32_e32 vcc, 8, v0
	s_and_saveexec_b64 s[0:1], vcc
	s_cbranch_execz .LBB71_162
; %bb.1:
	s_load_dwordx2 s[0:1], s[4:5], 0x10
	s_load_dwordx4 s[16:19], s[4:5], 0x0
	s_ashr_i32 s7, s6, 31
	s_lshl_b64 s[2:3], s[6:7], 3
	v_lshlrev_b32_e32 v20, 3, v0
	s_waitcnt lgkmcnt(0)
	s_ashr_i32 s5, s0, 31
	s_add_u32 s2, s18, s2
	s_addc_u32 s3, s19, s3
	s_load_dwordx2 s[2:3], s[2:3], 0x0
	s_mov_b32 s4, s0
	s_lshl_b64 s[4:5], s[4:5], 3
	v_mov_b32_e32 v18, 0
	v_mov_b32_e32 v19, 0xbff00000
	s_waitcnt lgkmcnt(0)
	s_add_u32 s2, s2, s4
	s_addc_u32 s3, s3, s5
	v_mov_b32_e32 v1, s3
	v_add_co_u32_e32 v34, vcc, s2, v20
	s_ashr_i32 s5, s1, 31
	s_mov_b32 s4, s1
	s_add_i32 s0, s1, s1
	v_addc_co_u32_e32 v35, vcc, 0, v1, vcc
	s_lshl_b64 s[4:5], s[4:5], 3
	v_add_u32_e32 v2, s0, v0
	v_mov_b32_e32 v1, s5
	v_add_co_u32_e32 v36, vcc, s4, v34
	v_ashrrev_i32_e32 v3, 31, v2
	v_addc_co_u32_e32 v37, vcc, v35, v1, vcc
	v_lshlrev_b64 v[4:5], 3, v[2:3]
	v_add_u32_e32 v2, s1, v2
	v_mov_b32_e32 v1, s3
	v_add_co_u32_e32 v38, vcc, s2, v4
	v_ashrrev_i32_e32 v3, 31, v2
	v_addc_co_u32_e32 v39, vcc, v1, v5, vcc
	v_lshlrev_b64 v[4:5], 3, v[2:3]
	v_add_u32_e32 v2, s1, v2
	v_add_co_u32_e32 v40, vcc, s2, v4
	v_ashrrev_i32_e32 v3, 31, v2
	v_addc_co_u32_e32 v41, vcc, v1, v5, vcc
	v_lshlrev_b64 v[4:5], 3, v[2:3]
	v_add_u32_e32 v2, s1, v2
	;; [unrolled: 5-line block ×4, first 2 shown]
	v_add_co_u32_e32 v46, vcc, s2, v12
	v_ashrrev_i32_e32 v3, 31, v2
	global_load_dwordx2 v[4:5], v[36:37], off
	global_load_dwordx2 v[6:7], v[38:39], off
	global_load_dwordx2 v[8:9], v[40:41], off
	global_load_dwordx2 v[10:11], v[42:43], off
	v_addc_co_u32_e32 v47, vcc, v1, v13, vcc
	v_lshlrev_b64 v[2:3], 3, v[2:3]
	v_add_co_u32_e32 v48, vcc, s2, v2
	global_load_dwordx2 v[12:13], v[44:45], off
	global_load_dwordx2 v[14:15], v[46:47], off
	v_addc_co_u32_e32 v49, vcc, v1, v3, vcc
	global_load_dwordx2 v[2:3], v20, s[2:3]
	global_load_dwordx2 v[16:17], v[48:49], off
	s_cmpk_lg_i32 s17, 0x84
	v_mov_b32_e32 v1, 0
	s_cselect_b64 s[18:19], -1, 0
	s_cmpk_eq_i32 s17, 0x84
	v_cmp_eq_u32_e64 s[0:1], 0, v0
	s_cbranch_scc1 .LBB71_3
; %bb.2:
	v_cmp_eq_u32_e64 s[2:3], 1, v0
	s_waitcnt vmcnt(1)
	v_cndmask_b32_e64 v18, v3, v5, s[2:3]
	v_cmp_eq_u32_e64 s[4:5], 2, v0
	v_cndmask_b32_e64 v18, v18, v7, s[4:5]
	v_cmp_eq_u32_e64 s[6:7], 3, v0
	;; [unrolled: 2-line block ×6, first 2 shown]
	s_waitcnt vmcnt(0)
	v_cndmask_b32_e64 v19, v18, v17, s[14:15]
	v_cndmask_b32_e64 v18, v2, v4, s[2:3]
	;; [unrolled: 1-line block ×8, first 2 shown]
	v_div_scale_f64 v[22:23], s[20:21], v[18:19], v[18:19], 1.0
	v_rcp_f64_e32 v[24:25], v[22:23]
	v_fma_f64 v[26:27], -v[22:23], v[24:25], 1.0
	v_fmac_f64_e32 v[24:25], v[24:25], v[26:27]
	v_fma_f64 v[26:27], -v[22:23], v[24:25], 1.0
	v_fmac_f64_e32 v[24:25], v[24:25], v[26:27]
	v_div_scale_f64 v[26:27], vcc, 1.0, v[18:19], 1.0
	v_mul_f64 v[28:29], v[26:27], v[24:25]
	v_fma_f64 v[22:23], -v[22:23], v[28:29], v[26:27]
	s_nop 1
	v_div_fmas_f64 v[22:23], v[22:23], v[24:25], v[28:29]
	v_div_fixup_f64 v[18:19], v[22:23], v[18:19], 1.0
	v_cndmask_b32_e64 v17, v17, v19, s[14:15]
	v_cndmask_b32_e64 v16, v16, v18, s[14:15]
	;; [unrolled: 1-line block ×16, first 2 shown]
	v_xor_b32_e32 v19, 0x80000000, v19
.LBB71_3:
	s_cmpk_eq_i32 s16, 0x79
	v_add_u32_e32 v55, 64, v20
	ds_write_b64 v20, v[18:19]
	s_cbranch_scc1 .LBB71_7
; %bb.4:
	s_waitcnt vmcnt(0)
	v_pk_mov_b32 v[32:33], v[16:17], v[16:17] op_sel:[0,1]
	v_cmp_eq_u32_e64 s[0:1], 7, v0
	v_pk_mov_b32 v[30:31], v[14:15], v[14:15] op_sel:[0,1]
	v_pk_mov_b32 v[28:29], v[12:13], v[12:13] op_sel:[0,1]
	;; [unrolled: 1-line block ×7, first 2 shown]
	ds_write_b64 v55, v[14:15]
	s_waitcnt lgkmcnt(0)
	; wave barrier
	s_waitcnt lgkmcnt(0)
	s_and_saveexec_b64 s[14:15], s[0:1]
	s_cbranch_execz .LBB71_11
; %bb.5:
	s_and_b64 vcc, exec, s[18:19]
	s_cbranch_vccz .LBB71_8
; %bb.6:
	v_cmp_eq_u32_e32 vcc, 1, v0
	v_cndmask_b32_e32 v18, v3, v5, vcc
	v_cmp_eq_u32_e64 s[2:3], 2, v0
	v_cndmask_b32_e64 v18, v18, v7, s[2:3]
	v_cmp_eq_u32_e64 s[4:5], 3, v0
	v_cndmask_b32_e64 v18, v18, v9, s[4:5]
	;; [unrolled: 2-line block ×6, first 2 shown]
	v_cndmask_b32_e32 v18, v2, v4, vcc
	v_cndmask_b32_e64 v18, v18, v6, s[2:3]
	v_cndmask_b32_e64 v18, v18, v8, s[4:5]
	ds_read_b64 v[20:21], v55
	v_cndmask_b32_e64 v18, v18, v10, s[6:7]
	v_cndmask_b32_e64 v18, v18, v12, s[8:9]
	;; [unrolled: 1-line block ×4, first 2 shown]
	s_waitcnt lgkmcnt(0)
	v_mul_f64 v[50:51], v[18:19], v[20:21]
	s_cbranch_execz .LBB71_9
	s_branch .LBB71_10
.LBB71_7:
                                        ; implicit-def: $vgpr18_vgpr19_vgpr20_vgpr21_vgpr22_vgpr23_vgpr24_vgpr25_vgpr26_vgpr27_vgpr28_vgpr29_vgpr30_vgpr31_vgpr32_vgpr33
	s_cbranch_execnz .LBB71_98
	s_branch .LBB71_161
.LBB71_8:
                                        ; implicit-def: $vgpr50_vgpr51
.LBB71_9:
	ds_read_b64 v[50:51], v55
.LBB71_10:
	v_mov_b32_e32 v18, 0
	ds_read_b64 v[52:53], v18 offset:48
	v_pk_mov_b32 v[32:33], v[16:17], v[16:17] op_sel:[0,1]
	v_pk_mov_b32 v[30:31], v[14:15], v[14:15] op_sel:[0,1]
	;; [unrolled: 1-line block ×8, first 2 shown]
	s_waitcnt lgkmcnt(0)
	v_mul_f64 v[30:31], v[50:51], v[52:53]
.LBB71_11:
	s_or_b64 exec, exec, s[14:15]
	v_cmp_lt_u32_e64 s[2:3], 5, v0
	ds_write_b64 v55, v[28:29]
	s_waitcnt lgkmcnt(0)
	; wave barrier
	s_waitcnt lgkmcnt(0)
	s_and_saveexec_b64 s[16:17], s[2:3]
	s_cbranch_execz .LBB71_17
; %bb.12:
	s_andn2_b64 vcc, exec, s[18:19]
	s_cbranch_vccnz .LBB71_14
; %bb.13:
	v_cmp_eq_u32_e32 vcc, 1, v0
	v_cndmask_b32_e32 v50, v19, v21, vcc
	v_cmp_eq_u32_e64 s[4:5], 2, v0
	v_cndmask_b32_e64 v50, v50, v23, s[4:5]
	v_cmp_eq_u32_e64 s[6:7], 3, v0
	v_cndmask_b32_e64 v50, v50, v25, s[6:7]
	;; [unrolled: 2-line block ×4, first 2 shown]
	v_cndmask_b32_e32 v50, v18, v20, vcc
	v_cndmask_b32_e64 v50, v50, v22, s[4:5]
	v_cndmask_b32_e64 v52, v50, v24, s[6:7]
	ds_read_b64 v[50:51], v55
	v_cndmask_b32_e64 v52, v52, v26, s[8:9]
	v_cmp_eq_u32_e64 s[12:13], 6, v0
	v_cndmask_b32_e64 v28, v52, v28, s[10:11]
	v_cndmask_b32_e64 v29, v29, v31, s[12:13]
	v_cmp_eq_u32_e64 s[14:15], 7, v0
	v_cndmask_b32_e64 v28, v28, v30, s[12:13]
	v_cndmask_b32_e64 v29, v29, v33, s[14:15]
	;; [unrolled: 1-line block ×3, first 2 shown]
	s_waitcnt lgkmcnt(0)
	v_mul_f64 v[28:29], v[28:29], v[50:51]
	s_cbranch_execz .LBB71_15
	s_branch .LBB71_16
.LBB71_14:
                                        ; implicit-def: $vgpr28_vgpr29
.LBB71_15:
	ds_read_b64 v[28:29], v55
.LBB71_16:
	v_mov_b32_e32 v50, 0
	ds_read2_b64 v[50:53], v50 offset0:5 offset1:14
	s_waitcnt lgkmcnt(0)
	v_fma_f64 v[52:53], v[30:31], v[52:53], v[28:29]
	v_cndmask_b32_e64 v29, v29, v53, s[0:1]
	v_cndmask_b32_e64 v28, v28, v52, s[0:1]
	v_mul_f64 v[28:29], v[28:29], v[50:51]
.LBB71_17:
	s_or_b64 exec, exec, s[16:17]
	v_cmp_lt_u32_e64 s[0:1], 4, v0
	ds_write_b64 v55, v[26:27]
	s_waitcnt lgkmcnt(0)
	; wave barrier
	s_waitcnt lgkmcnt(0)
	s_and_saveexec_b64 s[16:17], s[0:1]
	s_cbranch_execz .LBB71_33
; %bb.18:
	s_andn2_b64 vcc, exec, s[18:19]
	s_cbranch_vccnz .LBB71_20
; %bb.19:
	v_cmp_eq_u32_e32 vcc, 1, v0
	v_cndmask_b32_e32 v50, v19, v21, vcc
	v_cmp_eq_u32_e64 s[4:5], 2, v0
	v_cndmask_b32_e64 v50, v50, v23, s[4:5]
	v_cmp_eq_u32_e64 s[6:7], 3, v0
	v_cndmask_b32_e64 v50, v50, v25, s[6:7]
	v_cmp_eq_u32_e64 s[8:9], 4, v0
	v_cndmask_b32_e64 v50, v50, v27, s[8:9]
	v_cmp_eq_u32_e64 s[10:11], 5, v0
	v_cndmask_b32_e64 v50, v50, v29, s[10:11]
	v_cmp_eq_u32_e64 s[12:13], 6, v0
	v_cndmask_b32_e64 v50, v50, v31, s[12:13]
	v_cmp_eq_u32_e64 s[14:15], 7, v0
	v_cndmask_b32_e64 v51, v50, v33, s[14:15]
	v_cndmask_b32_e32 v50, v18, v20, vcc
	v_cndmask_b32_e64 v50, v50, v22, s[4:5]
	v_cndmask_b32_e64 v50, v50, v24, s[6:7]
	ds_read_b64 v[52:53], v55
	v_cndmask_b32_e64 v50, v50, v26, s[8:9]
	v_cndmask_b32_e64 v50, v50, v28, s[10:11]
	;; [unrolled: 1-line block ×4, first 2 shown]
	s_waitcnt lgkmcnt(0)
	v_mul_f64 v[50:51], v[50:51], v[52:53]
	s_cbranch_execz .LBB71_21
	s_branch .LBB71_22
.LBB71_20:
                                        ; implicit-def: $vgpr50_vgpr51
.LBB71_21:
	ds_read_b64 v[50:51], v55
.LBB71_22:
	s_and_saveexec_b64 s[6:7], s[2:3]
	s_cbranch_execz .LBB71_32
; %bb.23:
	v_add_u32_e32 v52, -6, v0
	v_add_u32_e32 v53, -5, v0
	v_cmp_lt_u32_e32 vcc, 6, v52
	v_mov_b32_e32 v54, 5
	s_and_saveexec_b64 s[2:3], vcc
	s_cbranch_execz .LBB71_27
; %bb.24:
	v_and_b32_e32 v52, -8, v53
	v_sub_u32_e32 v52, 0, v52
	s_mov_b64 s[4:5], 12
	s_movk_i32 s10, 0x68
	s_mov_b64 s[8:9], 0
.LBB71_25:                              ; =>This Inner Loop Header: Depth=1
	s_lshl_b32 s11, s4, 1
	s_add_i32 s12, s11, -13
	v_mov_b32_e32 v70, s10
	s_add_i32 s13, s11, -14
	s_set_gpr_idx_on s12, gpr_idx(SRC0)
	v_mov_b32_e32 v65, v18
	s_set_gpr_idx_off
	s_add_i32 s14, s11, -11
	s_set_gpr_idx_on s13, gpr_idx(SRC0)
	v_mov_b32_e32 v64, v18
	s_set_gpr_idx_off
	ds_read2_b64 v[56:59], v70 offset1:1
	s_add_i32 s15, s11, -12
	s_set_gpr_idx_on s14, gpr_idx(SRC0)
	v_mov_b32_e32 v67, v18
	s_set_gpr_idx_off
	s_add_i32 s20, s11, -9
	s_set_gpr_idx_on s15, gpr_idx(SRC0)
	v_mov_b32_e32 v66, v18
	s_set_gpr_idx_off
	;; [unrolled: 4-line block ×4, first 2 shown]
	ds_read2_b64 v[60:63], v70 offset0:2 offset1:3
	s_add_i32 s23, s11, -8
	s_waitcnt lgkmcnt(1)
	v_fmac_f64_e32 v[50:51], v[64:65], v[56:57]
	s_set_gpr_idx_on s22, gpr_idx(SRC0)
	v_mov_b32_e32 v65, v18
	s_set_gpr_idx_off
	s_add_i32 s24, s11, -5
	v_fmac_f64_e32 v[50:51], v[66:67], v[58:59]
	s_set_gpr_idx_on s23, gpr_idx(SRC0)
	v_mov_b32_e32 v64, v18
	s_set_gpr_idx_off
	s_add_i32 s25, s11, -6
	s_set_gpr_idx_on s24, gpr_idx(SRC0)
	v_mov_b32_e32 v67, v18
	s_set_gpr_idx_off
	s_add_i32 s26, s11, -3
	;; [unrolled: 4-line block ×3, first 2 shown]
	ds_read2_b64 v[56:59], v70 offset0:4 offset1:5
	s_waitcnt lgkmcnt(1)
	v_fmac_f64_e32 v[50:51], v[68:69], v[60:61]
	s_set_gpr_idx_on s26, gpr_idx(SRC0)
	v_mov_b32_e32 v69, v18
	s_set_gpr_idx_off
	s_add_i32 s28, s11, -1
	v_fmac_f64_e32 v[50:51], v[64:65], v[62:63]
	s_set_gpr_idx_on s27, gpr_idx(SRC0)
	v_mov_b32_e32 v68, v18
	s_set_gpr_idx_off
	s_add_i32 s29, s11, -2
	s_set_gpr_idx_on s28, gpr_idx(SRC0)
	v_mov_b32_e32 v65, v18
	s_set_gpr_idx_off
	s_set_gpr_idx_on s29, gpr_idx(SRC0)
	v_mov_b32_e32 v64, v18
	s_set_gpr_idx_off
	ds_read2_b64 v[60:63], v70 offset0:6 offset1:7
	s_add_u32 s4, s4, 8
	s_waitcnt lgkmcnt(1)
	v_fmac_f64_e32 v[50:51], v[66:67], v[56:57]
	s_set_gpr_idx_on s11, gpr_idx(SRC0)
	v_mov_b32_e32 v57, v19
	s_set_gpr_idx_off
	v_add_u32_e32 v54, s4, v52
	v_fmac_f64_e32 v[50:51], v[68:69], v[58:59]
	s_set_gpr_idx_on s11, gpr_idx(SRC0)
	v_mov_b32_e32 v56, v18
	s_set_gpr_idx_off
	s_addc_u32 s5, s5, 0
	s_add_i32 s10, s10, 64
	s_add_i32 s12, s4, -7
	v_cmp_eq_u32_e32 vcc, 12, v54
	s_waitcnt lgkmcnt(0)
	v_fmac_f64_e32 v[50:51], v[64:65], v[60:61]
	v_mov_b32_e32 v54, s12
	s_or_b64 s[8:9], vcc, s[8:9]
	v_fmac_f64_e32 v[50:51], v[56:57], v[62:63]
	s_andn2_b64 exec, exec, s[8:9]
	s_cbranch_execnz .LBB71_25
; %bb.26:
	s_or_b64 exec, exec, s[8:9]
.LBB71_27:
	s_or_b64 exec, exec, s[2:3]
	v_and_b32_e32 v52, 7, v53
	v_cmp_ne_u32_e32 vcc, 0, v52
	s_and_saveexec_b64 s[8:9], vcc
	s_cbranch_execz .LBB71_31
; %bb.28:
	v_lshl_add_u32 v56, v54, 3, 64
	v_mov_b32_e32 v53, 0
	s_mov_b64 s[10:11], 0
.LBB71_29:                              ; =>This Inner Loop Header: Depth=1
	v_cmp_eq_u32_e32 vcc, 1, v54
	v_cndmask_b32_e32 v57, v19, v21, vcc
	v_add_u32_e32 v52, -1, v52
	v_cmp_eq_u32_e64 s[2:3], 2, v54
	v_cndmask_b32_e64 v57, v57, v23, s[2:3]
	v_cndmask_b32_e32 v60, v18, v20, vcc
	v_cmp_eq_u32_e32 vcc, 0, v52
	v_cmp_eq_u32_e64 s[4:5], 3, v54
	v_cndmask_b32_e64 v57, v57, v25, s[4:5]
	v_cndmask_b32_e64 v60, v60, v22, s[2:3]
	s_or_b64 s[10:11], vcc, s[10:11]
	v_cmp_eq_u32_e32 vcc, 4, v54
	ds_read_b64 v[58:59], v56
	v_cndmask_b32_e32 v57, v57, v27, vcc
	v_cndmask_b32_e64 v60, v60, v24, s[4:5]
	v_cmp_eq_u32_e64 s[2:3], 5, v54
	v_cndmask_b32_e64 v57, v57, v29, s[2:3]
	v_cndmask_b32_e32 v60, v60, v26, vcc
	v_cmp_eq_u32_e32 vcc, 6, v54
	v_cndmask_b32_e32 v57, v57, v31, vcc
	v_cmp_eq_u32_e64 s[4:5], 7, v54
	v_cndmask_b32_e64 v60, v60, v28, s[2:3]
	v_cndmask_b32_e64 v61, v57, v33, s[4:5]
	v_cndmask_b32_e32 v57, v60, v30, vcc
	v_add_co_u32_e64 v54, s[2:3], 1, v54
	v_cndmask_b32_e64 v60, v57, v32, s[4:5]
	v_add_u32_e32 v56, 8, v56
	v_addc_co_u32_e64 v53, s[2:3], 0, v53, s[2:3]
	s_waitcnt lgkmcnt(0)
	v_fmac_f64_e32 v[50:51], v[60:61], v[58:59]
	s_andn2_b64 exec, exec, s[10:11]
	s_cbranch_execnz .LBB71_29
; %bb.30:
	s_or_b64 exec, exec, s[10:11]
.LBB71_31:
	s_or_b64 exec, exec, s[8:9]
.LBB71_32:
	s_or_b64 exec, exec, s[6:7]
	v_mov_b32_e32 v26, 0
	ds_read_b64 v[26:27], v26 offset:32
	s_waitcnt lgkmcnt(0)
	v_mul_f64 v[26:27], v[50:51], v[26:27]
.LBB71_33:
	s_or_b64 exec, exec, s[16:17]
	v_cmp_lt_u32_e64 s[2:3], 3, v0
	ds_write_b64 v55, v[24:25]
	s_waitcnt lgkmcnt(0)
	; wave barrier
	s_waitcnt lgkmcnt(0)
	s_and_saveexec_b64 s[16:17], s[2:3]
	s_cbranch_execz .LBB71_49
; %bb.34:
	s_andn2_b64 vcc, exec, s[18:19]
	s_cbranch_vccnz .LBB71_36
; %bb.35:
	v_cmp_eq_u32_e32 vcc, 1, v0
	v_cndmask_b32_e32 v50, v19, v21, vcc
	v_cmp_eq_u32_e64 s[4:5], 2, v0
	v_cndmask_b32_e64 v50, v50, v23, s[4:5]
	v_cmp_eq_u32_e64 s[6:7], 3, v0
	v_cndmask_b32_e64 v50, v50, v25, s[6:7]
	;; [unrolled: 2-line block ×6, first 2 shown]
	v_cndmask_b32_e32 v50, v18, v20, vcc
	v_cndmask_b32_e64 v50, v50, v22, s[4:5]
	v_cndmask_b32_e64 v50, v50, v24, s[6:7]
	ds_read_b64 v[52:53], v55
	v_cndmask_b32_e64 v50, v50, v26, s[8:9]
	v_cndmask_b32_e64 v50, v50, v28, s[10:11]
	;; [unrolled: 1-line block ×4, first 2 shown]
	s_waitcnt lgkmcnt(0)
	v_mul_f64 v[50:51], v[50:51], v[52:53]
	s_cbranch_execz .LBB71_37
	s_branch .LBB71_38
.LBB71_36:
                                        ; implicit-def: $vgpr50_vgpr51
.LBB71_37:
	ds_read_b64 v[50:51], v55
.LBB71_38:
	s_and_saveexec_b64 s[6:7], s[0:1]
	s_cbranch_execz .LBB71_48
; %bb.39:
	v_add_u32_e32 v52, -5, v0
	v_add_u32_e32 v53, -4, v0
	v_cmp_lt_u32_e32 vcc, 6, v52
	v_mov_b32_e32 v54, 4
	s_and_saveexec_b64 s[0:1], vcc
	s_cbranch_execz .LBB71_43
; %bb.40:
	v_and_b32_e32 v52, -8, v53
	v_sub_u32_e32 v52, 0, v52
	s_mov_b64 s[4:5], 5
	s_movk_i32 s10, 0x60
	s_mov_b64 s[8:9], 0
.LBB71_41:                              ; =>This Inner Loop Header: Depth=1
	s_lshl_b32 s11, s4, 1
	s_add_i32 s12, s11, -1
	s_add_i32 s13, s11, -2
	s_set_gpr_idx_on s12, gpr_idx(SRC0)
	v_mov_b32_e32 v73, v18
	s_set_gpr_idx_off
	v_mov_b32_e32 v54, s10
	s_set_gpr_idx_on s13, gpr_idx(SRC0)
	v_mov_b32_e32 v72, v18
	s_set_gpr_idx_off
	ds_read_b128 v[56:59], v54
	ds_read_b128 v[60:63], v54 offset:16
	ds_read_b128 v[64:67], v54 offset:32
	;; [unrolled: 1-line block ×3, first 2 shown]
	s_set_gpr_idx_on s11, gpr_idx(SRC0)
	v_mov_b32_e32 v75, v19
	s_add_i32 s14, s11, 3
	v_mov_b32_e32 v74, v18
	s_set_gpr_idx_off
	s_add_i32 s15, s11, 2
	s_set_gpr_idx_on s14, gpr_idx(SRC0)
	v_mov_b32_e32 v77, v18
	s_set_gpr_idx_off
	s_add_i32 s20, s11, 5
	s_set_gpr_idx_on s15, gpr_idx(SRC0)
	v_mov_b32_e32 v76, v18
	s_set_gpr_idx_off
	s_add_i32 s21, s11, 4
	s_waitcnt lgkmcnt(3)
	v_fmac_f64_e32 v[50:51], v[72:73], v[56:57]
	s_set_gpr_idx_on s20, gpr_idx(SRC0)
	v_mov_b32_e32 v57, v18
	s_set_gpr_idx_off
	s_add_i32 s22, s11, 7
	v_fmac_f64_e32 v[50:51], v[74:75], v[58:59]
	s_set_gpr_idx_on s21, gpr_idx(SRC0)
	v_mov_b32_e32 v56, v18
	s_set_gpr_idx_off
	s_add_i32 s23, s11, 6
	s_waitcnt lgkmcnt(2)
	v_fmac_f64_e32 v[50:51], v[76:77], v[60:61]
	s_set_gpr_idx_on s22, gpr_idx(SRC0)
	v_mov_b32_e32 v59, v18
	s_set_gpr_idx_off
	s_add_i32 s24, s11, 9
	v_fmac_f64_e32 v[50:51], v[56:57], v[62:63]
	s_set_gpr_idx_on s23, gpr_idx(SRC0)
	v_mov_b32_e32 v58, v18
	s_set_gpr_idx_off
	s_add_i32 s25, s11, 8
	s_waitcnt lgkmcnt(1)
	v_fmac_f64_e32 v[50:51], v[58:59], v[64:65]
	s_set_gpr_idx_on s24, gpr_idx(SRC0)
	v_mov_b32_e32 v57, v18
	s_set_gpr_idx_off
	s_add_i32 s26, s11, 11
	s_set_gpr_idx_on s25, gpr_idx(SRC0)
	v_mov_b32_e32 v56, v18
	s_set_gpr_idx_off
	s_add_i32 s27, s11, 10
	s_add_i32 s28, s11, 13
	;; [unrolled: 1-line block ×3, first 2 shown]
	v_fmac_f64_e32 v[50:51], v[56:57], v[66:67]
	s_set_gpr_idx_on s26, gpr_idx(SRC0)
	v_mov_b32_e32 v57, v18
	s_set_gpr_idx_off
	s_add_u32 s4, s4, 8
	s_set_gpr_idx_on s27, gpr_idx(SRC0)
	v_mov_b32_e32 v56, v18
	s_set_gpr_idx_off
	v_add_u32_e32 v54, s4, v52
	s_waitcnt lgkmcnt(0)
	v_fmac_f64_e32 v[50:51], v[56:57], v[68:69]
	s_set_gpr_idx_on s28, gpr_idx(SRC0)
	v_mov_b32_e32 v57, v18
	s_set_gpr_idx_off
	s_addc_u32 s5, s5, 0
	s_add_i32 s10, s10, 64
	s_add_i32 s12, s4, -1
	v_cmp_eq_u32_e32 vcc, 5, v54
	s_set_gpr_idx_on s29, gpr_idx(SRC0)
	v_mov_b32_e32 v56, v18
	s_set_gpr_idx_off
	v_mov_b32_e32 v54, s12
	s_or_b64 s[8:9], vcc, s[8:9]
	v_fmac_f64_e32 v[50:51], v[56:57], v[70:71]
	s_andn2_b64 exec, exec, s[8:9]
	s_cbranch_execnz .LBB71_41
; %bb.42:
	s_or_b64 exec, exec, s[8:9]
.LBB71_43:
	s_or_b64 exec, exec, s[0:1]
	v_and_b32_e32 v52, 7, v53
	v_cmp_ne_u32_e32 vcc, 0, v52
	s_and_saveexec_b64 s[8:9], vcc
	s_cbranch_execz .LBB71_47
; %bb.44:
	v_lshl_add_u32 v56, v54, 3, 64
	v_mov_b32_e32 v53, 0
	s_mov_b64 s[10:11], 0
.LBB71_45:                              ; =>This Inner Loop Header: Depth=1
	v_cmp_eq_u32_e32 vcc, 1, v54
	v_cndmask_b32_e32 v57, v19, v21, vcc
	v_add_u32_e32 v52, -1, v52
	v_cmp_eq_u32_e64 s[0:1], 2, v54
	v_cndmask_b32_e64 v57, v57, v23, s[0:1]
	v_cndmask_b32_e32 v60, v18, v20, vcc
	v_cmp_eq_u32_e32 vcc, 0, v52
	v_cmp_eq_u32_e64 s[4:5], 3, v54
	v_cndmask_b32_e64 v57, v57, v25, s[4:5]
	v_cndmask_b32_e64 v60, v60, v22, s[0:1]
	s_or_b64 s[10:11], vcc, s[10:11]
	v_cmp_eq_u32_e32 vcc, 4, v54
	ds_read_b64 v[58:59], v56
	v_cndmask_b32_e32 v57, v57, v27, vcc
	v_cndmask_b32_e64 v60, v60, v24, s[4:5]
	v_cmp_eq_u32_e64 s[0:1], 5, v54
	v_cndmask_b32_e64 v57, v57, v29, s[0:1]
	v_cndmask_b32_e32 v60, v60, v26, vcc
	v_cmp_eq_u32_e32 vcc, 6, v54
	v_cndmask_b32_e32 v57, v57, v31, vcc
	v_cmp_eq_u32_e64 s[4:5], 7, v54
	v_cndmask_b32_e64 v60, v60, v28, s[0:1]
	v_cndmask_b32_e64 v61, v57, v33, s[4:5]
	v_cndmask_b32_e32 v57, v60, v30, vcc
	v_add_co_u32_e64 v54, s[0:1], 1, v54
	v_cndmask_b32_e64 v60, v57, v32, s[4:5]
	v_add_u32_e32 v56, 8, v56
	v_addc_co_u32_e64 v53, s[0:1], 0, v53, s[0:1]
	s_waitcnt lgkmcnt(0)
	v_fmac_f64_e32 v[50:51], v[60:61], v[58:59]
	s_andn2_b64 exec, exec, s[10:11]
	s_cbranch_execnz .LBB71_45
; %bb.46:
	s_or_b64 exec, exec, s[10:11]
.LBB71_47:
	s_or_b64 exec, exec, s[8:9]
.LBB71_48:
	s_or_b64 exec, exec, s[6:7]
	v_mov_b32_e32 v24, 0
	ds_read_b64 v[24:25], v24 offset:24
	s_waitcnt lgkmcnt(0)
	v_mul_f64 v[24:25], v[50:51], v[24:25]
.LBB71_49:
	s_or_b64 exec, exec, s[16:17]
	v_cmp_lt_u32_e64 s[0:1], 2, v0
	ds_write_b64 v55, v[22:23]
	s_waitcnt lgkmcnt(0)
	; wave barrier
	s_waitcnt lgkmcnt(0)
	s_and_saveexec_b64 s[16:17], s[0:1]
	s_cbranch_execz .LBB71_65
; %bb.50:
	s_andn2_b64 vcc, exec, s[18:19]
	s_cbranch_vccnz .LBB71_52
; %bb.51:
	v_cmp_eq_u32_e32 vcc, 1, v0
	v_cndmask_b32_e32 v50, v19, v21, vcc
	v_cmp_eq_u32_e64 s[4:5], 2, v0
	v_cndmask_b32_e64 v50, v50, v23, s[4:5]
	v_cmp_eq_u32_e64 s[6:7], 3, v0
	v_cndmask_b32_e64 v50, v50, v25, s[6:7]
	v_cmp_eq_u32_e64 s[8:9], 4, v0
	v_cndmask_b32_e64 v50, v50, v27, s[8:9]
	v_cmp_eq_u32_e64 s[10:11], 5, v0
	v_cndmask_b32_e64 v50, v50, v29, s[10:11]
	v_cmp_eq_u32_e64 s[12:13], 6, v0
	v_cndmask_b32_e64 v50, v50, v31, s[12:13]
	v_cmp_eq_u32_e64 s[14:15], 7, v0
	v_cndmask_b32_e64 v51, v50, v33, s[14:15]
	v_cndmask_b32_e32 v50, v18, v20, vcc
	v_cndmask_b32_e64 v50, v50, v22, s[4:5]
	v_cndmask_b32_e64 v50, v50, v24, s[6:7]
	ds_read_b64 v[52:53], v55
	v_cndmask_b32_e64 v50, v50, v26, s[8:9]
	v_cndmask_b32_e64 v50, v50, v28, s[10:11]
	v_cndmask_b32_e64 v50, v50, v30, s[12:13]
	v_cndmask_b32_e64 v50, v50, v32, s[14:15]
	s_waitcnt lgkmcnt(0)
	v_mul_f64 v[50:51], v[50:51], v[52:53]
	s_cbranch_execz .LBB71_53
	s_branch .LBB71_54
.LBB71_52:
                                        ; implicit-def: $vgpr50_vgpr51
.LBB71_53:
	ds_read_b64 v[50:51], v55
.LBB71_54:
	s_and_saveexec_b64 s[6:7], s[2:3]
	s_cbranch_execz .LBB71_64
; %bb.55:
	v_add_u32_e32 v52, -4, v0
	v_add_u32_e32 v53, -3, v0
	v_cmp_lt_u32_e32 vcc, 6, v52
	v_mov_b32_e32 v54, 3
	s_and_saveexec_b64 s[2:3], vcc
	s_cbranch_execz .LBB71_59
; %bb.56:
	v_and_b32_e32 v52, -8, v53
	v_sub_u32_e32 v52, 0, v52
	s_mov_b64 s[4:5], 10
	s_movk_i32 s10, 0x58
	s_mov_b64 s[8:9], 0
.LBB71_57:                              ; =>This Inner Loop Header: Depth=1
	s_lshl_b32 s11, s4, 1
	s_add_i32 s12, s11, -13
	v_mov_b32_e32 v70, s10
	s_add_i32 s13, s11, -14
	s_set_gpr_idx_on s12, gpr_idx(SRC0)
	v_mov_b32_e32 v65, v18
	s_set_gpr_idx_off
	s_add_i32 s14, s11, -11
	s_set_gpr_idx_on s13, gpr_idx(SRC0)
	v_mov_b32_e32 v64, v18
	s_set_gpr_idx_off
	ds_read2_b64 v[56:59], v70 offset1:1
	s_add_i32 s15, s11, -12
	s_set_gpr_idx_on s14, gpr_idx(SRC0)
	v_mov_b32_e32 v67, v18
	s_set_gpr_idx_off
	s_add_i32 s20, s11, -9
	s_set_gpr_idx_on s15, gpr_idx(SRC0)
	v_mov_b32_e32 v66, v18
	s_set_gpr_idx_off
	;; [unrolled: 4-line block ×4, first 2 shown]
	ds_read2_b64 v[60:63], v70 offset0:2 offset1:3
	s_add_i32 s23, s11, -8
	s_waitcnt lgkmcnt(1)
	v_fmac_f64_e32 v[50:51], v[64:65], v[56:57]
	s_set_gpr_idx_on s22, gpr_idx(SRC0)
	v_mov_b32_e32 v65, v18
	s_set_gpr_idx_off
	s_add_i32 s24, s11, -5
	v_fmac_f64_e32 v[50:51], v[66:67], v[58:59]
	s_set_gpr_idx_on s23, gpr_idx(SRC0)
	v_mov_b32_e32 v64, v18
	s_set_gpr_idx_off
	s_add_i32 s25, s11, -6
	s_set_gpr_idx_on s24, gpr_idx(SRC0)
	v_mov_b32_e32 v67, v18
	s_set_gpr_idx_off
	s_add_i32 s26, s11, -3
	;; [unrolled: 4-line block ×3, first 2 shown]
	ds_read2_b64 v[56:59], v70 offset0:4 offset1:5
	s_waitcnt lgkmcnt(1)
	v_fmac_f64_e32 v[50:51], v[68:69], v[60:61]
	s_set_gpr_idx_on s26, gpr_idx(SRC0)
	v_mov_b32_e32 v69, v18
	s_set_gpr_idx_off
	s_add_i32 s28, s11, -1
	v_fmac_f64_e32 v[50:51], v[64:65], v[62:63]
	s_set_gpr_idx_on s27, gpr_idx(SRC0)
	v_mov_b32_e32 v68, v18
	s_set_gpr_idx_off
	s_add_i32 s29, s11, -2
	s_set_gpr_idx_on s28, gpr_idx(SRC0)
	v_mov_b32_e32 v65, v18
	s_set_gpr_idx_off
	s_set_gpr_idx_on s29, gpr_idx(SRC0)
	v_mov_b32_e32 v64, v18
	s_set_gpr_idx_off
	ds_read2_b64 v[60:63], v70 offset0:6 offset1:7
	s_add_u32 s4, s4, 8
	s_waitcnt lgkmcnt(1)
	v_fmac_f64_e32 v[50:51], v[66:67], v[56:57]
	s_set_gpr_idx_on s11, gpr_idx(SRC0)
	v_mov_b32_e32 v57, v19
	s_set_gpr_idx_off
	v_add_u32_e32 v54, s4, v52
	v_fmac_f64_e32 v[50:51], v[68:69], v[58:59]
	s_set_gpr_idx_on s11, gpr_idx(SRC0)
	v_mov_b32_e32 v56, v18
	s_set_gpr_idx_off
	s_addc_u32 s5, s5, 0
	s_add_i32 s10, s10, 64
	s_add_i32 s12, s4, -7
	v_cmp_eq_u32_e32 vcc, 10, v54
	s_waitcnt lgkmcnt(0)
	v_fmac_f64_e32 v[50:51], v[64:65], v[60:61]
	v_mov_b32_e32 v54, s12
	s_or_b64 s[8:9], vcc, s[8:9]
	v_fmac_f64_e32 v[50:51], v[56:57], v[62:63]
	s_andn2_b64 exec, exec, s[8:9]
	s_cbranch_execnz .LBB71_57
; %bb.58:
	s_or_b64 exec, exec, s[8:9]
.LBB71_59:
	s_or_b64 exec, exec, s[2:3]
	v_and_b32_e32 v52, 7, v53
	v_cmp_ne_u32_e32 vcc, 0, v52
	s_and_saveexec_b64 s[8:9], vcc
	s_cbranch_execz .LBB71_63
; %bb.60:
	v_lshl_add_u32 v56, v54, 3, 64
	v_mov_b32_e32 v53, 0
	s_mov_b64 s[10:11], 0
.LBB71_61:                              ; =>This Inner Loop Header: Depth=1
	v_cmp_eq_u32_e32 vcc, 1, v54
	v_cndmask_b32_e32 v57, v19, v21, vcc
	v_add_u32_e32 v52, -1, v52
	v_cmp_eq_u32_e64 s[2:3], 2, v54
	v_cndmask_b32_e64 v57, v57, v23, s[2:3]
	v_cndmask_b32_e32 v60, v18, v20, vcc
	v_cmp_eq_u32_e32 vcc, 0, v52
	v_cmp_eq_u32_e64 s[4:5], 3, v54
	v_cndmask_b32_e64 v57, v57, v25, s[4:5]
	v_cndmask_b32_e64 v60, v60, v22, s[2:3]
	s_or_b64 s[10:11], vcc, s[10:11]
	v_cmp_eq_u32_e32 vcc, 4, v54
	ds_read_b64 v[58:59], v56
	v_cndmask_b32_e32 v57, v57, v27, vcc
	v_cndmask_b32_e64 v60, v60, v24, s[4:5]
	v_cmp_eq_u32_e64 s[2:3], 5, v54
	v_cndmask_b32_e64 v57, v57, v29, s[2:3]
	v_cndmask_b32_e32 v60, v60, v26, vcc
	v_cmp_eq_u32_e32 vcc, 6, v54
	v_cndmask_b32_e32 v57, v57, v31, vcc
	v_cmp_eq_u32_e64 s[4:5], 7, v54
	v_cndmask_b32_e64 v60, v60, v28, s[2:3]
	v_cndmask_b32_e64 v61, v57, v33, s[4:5]
	v_cndmask_b32_e32 v57, v60, v30, vcc
	v_add_co_u32_e64 v54, s[2:3], 1, v54
	v_cndmask_b32_e64 v60, v57, v32, s[4:5]
	v_add_u32_e32 v56, 8, v56
	v_addc_co_u32_e64 v53, s[2:3], 0, v53, s[2:3]
	s_waitcnt lgkmcnt(0)
	v_fmac_f64_e32 v[50:51], v[60:61], v[58:59]
	s_andn2_b64 exec, exec, s[10:11]
	s_cbranch_execnz .LBB71_61
; %bb.62:
	s_or_b64 exec, exec, s[10:11]
.LBB71_63:
	s_or_b64 exec, exec, s[8:9]
.LBB71_64:
	s_or_b64 exec, exec, s[6:7]
	v_mov_b32_e32 v22, 0
	ds_read_b64 v[22:23], v22 offset:16
	s_waitcnt lgkmcnt(0)
	v_mul_f64 v[22:23], v[50:51], v[22:23]
.LBB71_65:
	s_or_b64 exec, exec, s[16:17]
	v_cmp_lt_u32_e64 s[2:3], 1, v0
	ds_write_b64 v55, v[20:21]
	s_waitcnt lgkmcnt(0)
	; wave barrier
	s_waitcnt lgkmcnt(0)
	s_and_saveexec_b64 s[16:17], s[2:3]
	s_cbranch_execz .LBB71_81
; %bb.66:
	s_andn2_b64 vcc, exec, s[18:19]
	s_cbranch_vccnz .LBB71_68
; %bb.67:
	v_cmp_eq_u32_e32 vcc, 1, v0
	v_cndmask_b32_e32 v50, v19, v21, vcc
	v_cmp_eq_u32_e64 s[4:5], 2, v0
	v_cndmask_b32_e64 v50, v50, v23, s[4:5]
	v_cmp_eq_u32_e64 s[6:7], 3, v0
	v_cndmask_b32_e64 v50, v50, v25, s[6:7]
	;; [unrolled: 2-line block ×6, first 2 shown]
	v_cndmask_b32_e32 v50, v18, v20, vcc
	v_cndmask_b32_e64 v50, v50, v22, s[4:5]
	v_cndmask_b32_e64 v50, v50, v24, s[6:7]
	ds_read_b64 v[52:53], v55
	v_cndmask_b32_e64 v50, v50, v26, s[8:9]
	v_cndmask_b32_e64 v50, v50, v28, s[10:11]
	;; [unrolled: 1-line block ×4, first 2 shown]
	s_waitcnt lgkmcnt(0)
	v_mul_f64 v[50:51], v[50:51], v[52:53]
	s_cbranch_execz .LBB71_69
	s_branch .LBB71_70
.LBB71_68:
                                        ; implicit-def: $vgpr50_vgpr51
.LBB71_69:
	ds_read_b64 v[50:51], v55
.LBB71_70:
	s_and_saveexec_b64 s[6:7], s[0:1]
	s_cbranch_execz .LBB71_80
; %bb.71:
	v_add_u32_e32 v52, -3, v0
	v_add_u32_e32 v53, -2, v0
	v_cmp_lt_u32_e32 vcc, 6, v52
	v_mov_b32_e32 v54, 2
	s_and_saveexec_b64 s[0:1], vcc
	s_cbranch_execz .LBB71_75
; %bb.72:
	v_and_b32_e32 v52, -8, v53
	v_sub_u32_e32 v52, 0, v52
	s_mov_b64 s[4:5], 9
	s_movk_i32 s10, 0x50
	s_mov_b64 s[8:9], 0
.LBB71_73:                              ; =>This Inner Loop Header: Depth=1
	s_lshl_b32 s11, s4, 1
	s_add_i32 s12, s11, -13
	s_add_i32 s13, s11, -14
	s_set_gpr_idx_on s12, gpr_idx(SRC0)
	v_mov_b32_e32 v73, v18
	s_set_gpr_idx_off
	v_mov_b32_e32 v54, s10
	s_add_i32 s14, s11, -11
	s_set_gpr_idx_on s13, gpr_idx(SRC0)
	v_mov_b32_e32 v72, v18
	s_set_gpr_idx_off
	s_add_i32 s15, s11, -12
	ds_read_b128 v[56:59], v54
	ds_read_b128 v[60:63], v54 offset:16
	ds_read_b128 v[64:67], v54 offset:32
	;; [unrolled: 1-line block ×3, first 2 shown]
	s_set_gpr_idx_on s14, gpr_idx(SRC0)
	v_mov_b32_e32 v75, v18
	s_set_gpr_idx_off
	s_add_i32 s20, s11, -9
	s_set_gpr_idx_on s15, gpr_idx(SRC0)
	v_mov_b32_e32 v74, v18
	s_set_gpr_idx_off
	s_add_i32 s21, s11, -10
	;; [unrolled: 4-line block ×4, first 2 shown]
	s_waitcnt lgkmcnt(3)
	v_fmac_f64_e32 v[50:51], v[72:73], v[56:57]
	s_set_gpr_idx_on s22, gpr_idx(SRC0)
	v_mov_b32_e32 v57, v18
	s_set_gpr_idx_off
	s_add_i32 s24, s11, -5
	v_fmac_f64_e32 v[50:51], v[74:75], v[58:59]
	s_set_gpr_idx_on s23, gpr_idx(SRC0)
	v_mov_b32_e32 v56, v18
	s_set_gpr_idx_off
	s_add_i32 s25, s11, -6
	s_waitcnt lgkmcnt(2)
	v_fmac_f64_e32 v[50:51], v[76:77], v[60:61]
	s_set_gpr_idx_on s24, gpr_idx(SRC0)
	v_mov_b32_e32 v59, v18
	s_set_gpr_idx_off
	s_add_i32 s26, s11, -3
	v_fmac_f64_e32 v[50:51], v[56:57], v[62:63]
	s_set_gpr_idx_on s25, gpr_idx(SRC0)
	v_mov_b32_e32 v58, v18
	s_set_gpr_idx_off
	s_add_i32 s27, s11, -4
	s_waitcnt lgkmcnt(1)
	v_fmac_f64_e32 v[50:51], v[58:59], v[64:65]
	s_set_gpr_idx_on s26, gpr_idx(SRC0)
	v_mov_b32_e32 v57, v18
	s_set_gpr_idx_off
	s_add_i32 s28, s11, -1
	s_set_gpr_idx_on s27, gpr_idx(SRC0)
	v_mov_b32_e32 v56, v18
	s_set_gpr_idx_off
	s_add_i32 s29, s11, -2
	v_fmac_f64_e32 v[50:51], v[56:57], v[66:67]
	s_set_gpr_idx_on s28, gpr_idx(SRC0)
	v_mov_b32_e32 v57, v18
	s_set_gpr_idx_off
	s_add_u32 s4, s4, 8
	s_set_gpr_idx_on s29, gpr_idx(SRC0)
	v_mov_b32_e32 v56, v18
	s_set_gpr_idx_off
	v_add_u32_e32 v54, s4, v52
	s_waitcnt lgkmcnt(0)
	v_fmac_f64_e32 v[50:51], v[56:57], v[68:69]
	s_set_gpr_idx_on s11, gpr_idx(SRC0)
	v_mov_b32_e32 v57, v19
	s_set_gpr_idx_off
	s_addc_u32 s5, s5, 0
	s_add_i32 s10, s10, 64
	s_add_i32 s12, s4, -7
	v_cmp_eq_u32_e32 vcc, 9, v54
	s_set_gpr_idx_on s11, gpr_idx(SRC0)
	v_mov_b32_e32 v56, v18
	s_set_gpr_idx_off
	v_mov_b32_e32 v54, s12
	s_or_b64 s[8:9], vcc, s[8:9]
	v_fmac_f64_e32 v[50:51], v[56:57], v[70:71]
	s_andn2_b64 exec, exec, s[8:9]
	s_cbranch_execnz .LBB71_73
; %bb.74:
	s_or_b64 exec, exec, s[8:9]
.LBB71_75:
	s_or_b64 exec, exec, s[0:1]
	v_and_b32_e32 v52, 7, v53
	v_cmp_ne_u32_e32 vcc, 0, v52
	s_and_saveexec_b64 s[8:9], vcc
	s_cbranch_execz .LBB71_79
; %bb.76:
	v_lshl_add_u32 v56, v54, 3, 64
	v_mov_b32_e32 v53, 0
	s_mov_b64 s[10:11], 0
.LBB71_77:                              ; =>This Inner Loop Header: Depth=1
	v_cmp_eq_u32_e32 vcc, 1, v54
	v_cndmask_b32_e32 v57, v19, v21, vcc
	v_add_u32_e32 v52, -1, v52
	v_cmp_eq_u32_e64 s[0:1], 2, v54
	v_cndmask_b32_e64 v57, v57, v23, s[0:1]
	v_cndmask_b32_e32 v60, v18, v20, vcc
	v_cmp_eq_u32_e32 vcc, 0, v52
	v_cmp_eq_u32_e64 s[4:5], 3, v54
	v_cndmask_b32_e64 v57, v57, v25, s[4:5]
	v_cndmask_b32_e64 v60, v60, v22, s[0:1]
	s_or_b64 s[10:11], vcc, s[10:11]
	v_cmp_eq_u32_e32 vcc, 4, v54
	ds_read_b64 v[58:59], v56
	v_cndmask_b32_e32 v57, v57, v27, vcc
	v_cndmask_b32_e64 v60, v60, v24, s[4:5]
	v_cmp_eq_u32_e64 s[0:1], 5, v54
	v_cndmask_b32_e64 v57, v57, v29, s[0:1]
	v_cndmask_b32_e32 v60, v60, v26, vcc
	v_cmp_eq_u32_e32 vcc, 6, v54
	v_cndmask_b32_e32 v57, v57, v31, vcc
	v_cmp_eq_u32_e64 s[4:5], 7, v54
	v_cndmask_b32_e64 v60, v60, v28, s[0:1]
	v_cndmask_b32_e64 v61, v57, v33, s[4:5]
	v_cndmask_b32_e32 v57, v60, v30, vcc
	v_add_co_u32_e64 v54, s[0:1], 1, v54
	v_cndmask_b32_e64 v60, v57, v32, s[4:5]
	v_add_u32_e32 v56, 8, v56
	v_addc_co_u32_e64 v53, s[0:1], 0, v53, s[0:1]
	s_waitcnt lgkmcnt(0)
	v_fmac_f64_e32 v[50:51], v[60:61], v[58:59]
	s_andn2_b64 exec, exec, s[10:11]
	s_cbranch_execnz .LBB71_77
; %bb.78:
	s_or_b64 exec, exec, s[10:11]
.LBB71_79:
	s_or_b64 exec, exec, s[8:9]
.LBB71_80:
	s_or_b64 exec, exec, s[6:7]
	v_mov_b32_e32 v20, 0
	ds_read_b64 v[20:21], v20 offset:8
	s_waitcnt lgkmcnt(0)
	v_mul_f64 v[20:21], v[50:51], v[20:21]
.LBB71_81:
	s_or_b64 exec, exec, s[16:17]
	v_cmp_ne_u32_e32 vcc, 0, v0
	ds_write_b64 v55, v[18:19]
	s_waitcnt lgkmcnt(0)
	; wave barrier
	s_waitcnt lgkmcnt(0)
	s_and_saveexec_b64 s[14:15], vcc
	s_cbranch_execz .LBB71_97
; %bb.82:
	s_andn2_b64 vcc, exec, s[18:19]
	s_cbranch_vccnz .LBB71_84
; %bb.83:
	v_cmp_eq_u32_e32 vcc, 1, v0
	v_cndmask_b32_e32 v50, v19, v21, vcc
	v_cmp_eq_u32_e64 s[0:1], 2, v0
	v_cndmask_b32_e64 v50, v50, v23, s[0:1]
	v_cmp_eq_u32_e64 s[4:5], 3, v0
	v_cndmask_b32_e64 v50, v50, v25, s[4:5]
	v_cmp_eq_u32_e64 s[6:7], 4, v0
	v_cndmask_b32_e64 v50, v50, v27, s[6:7]
	v_cmp_eq_u32_e64 s[8:9], 5, v0
	v_cndmask_b32_e64 v50, v50, v29, s[8:9]
	v_cmp_eq_u32_e64 s[10:11], 6, v0
	v_cndmask_b32_e64 v50, v50, v31, s[10:11]
	v_cmp_eq_u32_e64 s[12:13], 7, v0
	v_cndmask_b32_e64 v51, v50, v33, s[12:13]
	v_cndmask_b32_e32 v50, v18, v20, vcc
	v_cndmask_b32_e64 v50, v50, v22, s[0:1]
	v_cndmask_b32_e64 v50, v50, v24, s[4:5]
	ds_read_b64 v[52:53], v55
	v_cndmask_b32_e64 v50, v50, v26, s[6:7]
	v_cndmask_b32_e64 v50, v50, v28, s[8:9]
	;; [unrolled: 1-line block ×4, first 2 shown]
	s_waitcnt lgkmcnt(0)
	v_mul_f64 v[50:51], v[50:51], v[52:53]
	s_cbranch_execz .LBB71_85
	s_branch .LBB71_86
.LBB71_84:
                                        ; implicit-def: $vgpr50_vgpr51
.LBB71_85:
	ds_read_b64 v[50:51], v55
.LBB71_86:
	s_and_saveexec_b64 s[4:5], s[2:3]
	s_cbranch_execz .LBB71_96
; %bb.87:
	v_add_u32_e32 v52, -2, v0
	v_add_u32_e32 v53, -1, v0
	v_cmp_lt_u32_e32 vcc, 6, v52
	v_mov_b32_e32 v54, 1
	s_and_saveexec_b64 s[0:1], vcc
	s_cbranch_execz .LBB71_91
; %bb.88:
	v_and_b32_e32 v52, -8, v53
	v_sub_u32_e32 v52, 0, v52
	s_mov_b64 s[2:3], 8
	s_movk_i32 s8, 0x48
	s_mov_b64 s[6:7], 0
.LBB71_89:                              ; =>This Inner Loop Header: Depth=1
	s_lshl_b32 s9, s2, 1
	s_add_i32 s10, s9, -13
	v_mov_b32_e32 v70, s8
	s_add_i32 s11, s9, -14
	s_set_gpr_idx_on s10, gpr_idx(SRC0)
	v_mov_b32_e32 v65, v18
	s_set_gpr_idx_off
	s_add_i32 s12, s9, -11
	s_set_gpr_idx_on s11, gpr_idx(SRC0)
	v_mov_b32_e32 v64, v18
	s_set_gpr_idx_off
	ds_read2_b64 v[56:59], v70 offset1:1
	s_add_i32 s13, s9, -12
	s_set_gpr_idx_on s12, gpr_idx(SRC0)
	v_mov_b32_e32 v67, v18
	s_set_gpr_idx_off
	s_add_i32 s16, s9, -9
	s_set_gpr_idx_on s13, gpr_idx(SRC0)
	v_mov_b32_e32 v66, v18
	s_set_gpr_idx_off
	;; [unrolled: 4-line block ×4, first 2 shown]
	ds_read2_b64 v[60:63], v70 offset0:2 offset1:3
	s_add_i32 s21, s9, -8
	s_waitcnt lgkmcnt(1)
	v_fmac_f64_e32 v[50:51], v[64:65], v[56:57]
	s_set_gpr_idx_on s20, gpr_idx(SRC0)
	v_mov_b32_e32 v65, v18
	s_set_gpr_idx_off
	s_add_i32 s22, s9, -5
	v_fmac_f64_e32 v[50:51], v[66:67], v[58:59]
	s_set_gpr_idx_on s21, gpr_idx(SRC0)
	v_mov_b32_e32 v64, v18
	s_set_gpr_idx_off
	s_add_i32 s23, s9, -6
	s_set_gpr_idx_on s22, gpr_idx(SRC0)
	v_mov_b32_e32 v67, v18
	s_set_gpr_idx_off
	s_add_i32 s24, s9, -3
	;; [unrolled: 4-line block ×3, first 2 shown]
	ds_read2_b64 v[56:59], v70 offset0:4 offset1:5
	s_waitcnt lgkmcnt(1)
	v_fmac_f64_e32 v[50:51], v[68:69], v[60:61]
	s_set_gpr_idx_on s24, gpr_idx(SRC0)
	v_mov_b32_e32 v69, v18
	s_set_gpr_idx_off
	s_add_i32 s26, s9, -1
	v_fmac_f64_e32 v[50:51], v[64:65], v[62:63]
	s_set_gpr_idx_on s25, gpr_idx(SRC0)
	v_mov_b32_e32 v68, v18
	s_set_gpr_idx_off
	s_add_i32 s27, s9, -2
	s_set_gpr_idx_on s26, gpr_idx(SRC0)
	v_mov_b32_e32 v65, v18
	s_set_gpr_idx_off
	s_set_gpr_idx_on s27, gpr_idx(SRC0)
	v_mov_b32_e32 v64, v18
	s_set_gpr_idx_off
	ds_read2_b64 v[60:63], v70 offset0:6 offset1:7
	s_add_u32 s2, s2, 8
	s_waitcnt lgkmcnt(1)
	v_fmac_f64_e32 v[50:51], v[66:67], v[56:57]
	s_set_gpr_idx_on s9, gpr_idx(SRC0)
	v_mov_b32_e32 v57, v19
	s_set_gpr_idx_off
	v_add_u32_e32 v54, s2, v52
	v_fmac_f64_e32 v[50:51], v[68:69], v[58:59]
	s_set_gpr_idx_on s9, gpr_idx(SRC0)
	v_mov_b32_e32 v56, v18
	s_set_gpr_idx_off
	s_addc_u32 s3, s3, 0
	s_add_i32 s8, s8, 64
	s_add_i32 s10, s2, -7
	v_cmp_eq_u32_e32 vcc, 8, v54
	s_waitcnt lgkmcnt(0)
	v_fmac_f64_e32 v[50:51], v[64:65], v[60:61]
	v_mov_b32_e32 v54, s10
	s_or_b64 s[6:7], vcc, s[6:7]
	v_fmac_f64_e32 v[50:51], v[56:57], v[62:63]
	s_andn2_b64 exec, exec, s[6:7]
	s_cbranch_execnz .LBB71_89
; %bb.90:
	s_or_b64 exec, exec, s[6:7]
.LBB71_91:
	s_or_b64 exec, exec, s[0:1]
	v_and_b32_e32 v52, 7, v53
	v_cmp_ne_u32_e32 vcc, 0, v52
	s_and_saveexec_b64 s[6:7], vcc
	s_cbranch_execz .LBB71_95
; %bb.92:
	v_lshl_add_u32 v56, v54, 3, 64
	v_mov_b32_e32 v53, 0
	s_mov_b64 s[8:9], 0
.LBB71_93:                              ; =>This Inner Loop Header: Depth=1
	v_cmp_eq_u32_e32 vcc, 1, v54
	v_cndmask_b32_e32 v57, v19, v21, vcc
	v_add_u32_e32 v52, -1, v52
	v_cmp_eq_u32_e64 s[0:1], 2, v54
	v_cndmask_b32_e64 v57, v57, v23, s[0:1]
	v_cndmask_b32_e32 v60, v18, v20, vcc
	v_cmp_eq_u32_e32 vcc, 0, v52
	v_cmp_eq_u32_e64 s[2:3], 3, v54
	v_cndmask_b32_e64 v57, v57, v25, s[2:3]
	v_cndmask_b32_e64 v60, v60, v22, s[0:1]
	s_or_b64 s[8:9], vcc, s[8:9]
	v_cmp_eq_u32_e32 vcc, 4, v54
	ds_read_b64 v[58:59], v56
	v_cndmask_b32_e32 v57, v57, v27, vcc
	v_cndmask_b32_e64 v60, v60, v24, s[2:3]
	v_cmp_eq_u32_e64 s[0:1], 5, v54
	v_cndmask_b32_e64 v57, v57, v29, s[0:1]
	v_cndmask_b32_e32 v60, v60, v26, vcc
	v_cmp_eq_u32_e32 vcc, 6, v54
	v_cndmask_b32_e32 v57, v57, v31, vcc
	v_cmp_eq_u32_e64 s[2:3], 7, v54
	v_cndmask_b32_e64 v60, v60, v28, s[0:1]
	v_cndmask_b32_e64 v61, v57, v33, s[2:3]
	v_cndmask_b32_e32 v57, v60, v30, vcc
	v_add_co_u32_e64 v54, s[0:1], 1, v54
	v_cndmask_b32_e64 v60, v57, v32, s[2:3]
	v_add_u32_e32 v56, 8, v56
	v_addc_co_u32_e64 v53, s[0:1], 0, v53, s[0:1]
	s_waitcnt lgkmcnt(0)
	v_fmac_f64_e32 v[50:51], v[60:61], v[58:59]
	s_andn2_b64 exec, exec, s[8:9]
	s_cbranch_execnz .LBB71_93
; %bb.94:
	s_or_b64 exec, exec, s[8:9]
.LBB71_95:
	s_or_b64 exec, exec, s[6:7]
.LBB71_96:
	s_or_b64 exec, exec, s[4:5]
	v_mov_b32_e32 v18, 0
	ds_read_b64 v[18:19], v18
	s_waitcnt lgkmcnt(0)
	v_mul_f64 v[18:19], v[50:51], v[18:19]
.LBB71_97:
	s_or_b64 exec, exec, s[14:15]
	s_branch .LBB71_161
.LBB71_98:
	v_cmp_eq_u32_e64 s[2:3], 0, v0
	s_waitcnt vmcnt(7)
	ds_write_b64 v55, v[4:5]
	s_waitcnt lgkmcnt(0)
	; wave barrier
	s_waitcnt lgkmcnt(0)
	s_and_saveexec_b64 s[14:15], s[2:3]
	s_cbranch_execz .LBB71_104
; %bb.99:
	s_and_b64 vcc, exec, s[18:19]
	s_cbranch_vccz .LBB71_101
; %bb.100:
	v_cmp_eq_u32_e32 vcc, 1, v0
	s_waitcnt vmcnt(1)
	v_cndmask_b32_e32 v5, v3, v5, vcc
	v_cmp_eq_u32_e64 s[0:1], 2, v0
	v_cndmask_b32_e32 v4, v2, v4, vcc
	v_cndmask_b32_e64 v5, v5, v7, s[0:1]
	v_cmp_eq_u32_e64 s[4:5], 3, v0
	v_cndmask_b32_e64 v4, v4, v6, s[0:1]
	v_cndmask_b32_e64 v5, v5, v9, s[4:5]
	v_cmp_eq_u32_e64 s[6:7], 4, v0
	v_cndmask_b32_e64 v4, v4, v8, s[4:5]
	ds_read_b64 v[18:19], v55
	v_cndmask_b32_e64 v5, v5, v11, s[6:7]
	v_cmp_eq_u32_e64 s[8:9], 5, v0
	v_cndmask_b32_e64 v4, v4, v10, s[6:7]
	v_cndmask_b32_e64 v5, v5, v13, s[8:9]
	v_cmp_eq_u32_e64 s[10:11], 6, v0
	v_cndmask_b32_e64 v4, v4, v12, s[8:9]
	;; [unrolled: 3-line block ×3, first 2 shown]
	s_waitcnt vmcnt(0)
	v_cndmask_b32_e64 v5, v5, v17, s[12:13]
	v_cndmask_b32_e64 v4, v4, v16, s[12:13]
	s_waitcnt lgkmcnt(0)
	v_mul_f64 v[4:5], v[4:5], v[18:19]
	s_cbranch_execz .LBB71_102
	s_branch .LBB71_103
.LBB71_101:
                                        ; implicit-def: $vgpr4_vgpr5
.LBB71_102:
	ds_read_b64 v[4:5], v55
.LBB71_103:
	v_mov_b32_e32 v18, 0
	ds_read_b64 v[18:19], v18 offset:8
	s_waitcnt lgkmcnt(0)
	v_mul_f64 v[4:5], v[4:5], v[18:19]
.LBB71_104:
	s_or_b64 exec, exec, s[14:15]
	v_cndmask_b32_e64 v18, 0, 1, s[18:19]
	v_add_u32_e32 v20, 1, v0
	v_cmp_gt_u32_e32 vcc, 2, v0
	v_cmp_ne_u32_e64 s[0:1], 1, v18
	s_waitcnt vmcnt(6)
	ds_write_b64 v55, v[6:7]
	s_waitcnt lgkmcnt(0)
	; wave barrier
	s_waitcnt lgkmcnt(0)
	s_and_saveexec_b64 s[16:17], vcc
	s_cbranch_execz .LBB71_112
; %bb.105:
	s_and_b64 vcc, exec, s[0:1]
	s_cbranch_vccnz .LBB71_107
; %bb.106:
	v_cmp_eq_u32_e32 vcc, 1, v0
	s_waitcnt vmcnt(1)
	v_cndmask_b32_e32 v18, v3, v5, vcc
	v_cmp_eq_u32_e64 s[4:5], 2, v0
	v_cndmask_b32_e64 v18, v18, v7, s[4:5]
	v_cmp_eq_u32_e64 s[6:7], 3, v0
	v_cndmask_b32_e64 v18, v18, v9, s[6:7]
	;; [unrolled: 2-line block ×5, first 2 shown]
	v_cmp_eq_u32_e64 s[14:15], 7, v0
	s_waitcnt vmcnt(0)
	v_cndmask_b32_e64 v19, v18, v17, s[14:15]
	v_cndmask_b32_e32 v18, v2, v4, vcc
	v_cndmask_b32_e64 v18, v18, v6, s[4:5]
	v_cndmask_b32_e64 v18, v18, v8, s[6:7]
	ds_read_b64 v[22:23], v55
	v_cndmask_b32_e64 v18, v18, v10, s[8:9]
	v_cndmask_b32_e64 v18, v18, v12, s[10:11]
	;; [unrolled: 1-line block ×4, first 2 shown]
	s_waitcnt lgkmcnt(0)
	v_mul_f64 v[18:19], v[18:19], v[22:23]
	s_cbranch_execz .LBB71_108
	s_branch .LBB71_109
.LBB71_107:
                                        ; implicit-def: $vgpr18_vgpr19
.LBB71_108:
	ds_read_b64 v[18:19], v55
.LBB71_109:
	s_and_saveexec_b64 s[18:19], s[2:3]
	s_cbranch_execz .LBB71_111
; %bb.110:
	v_cmp_eq_u32_e32 vcc, 1, v20
	s_waitcnt vmcnt(1)
	v_cndmask_b32_e32 v21, v3, v5, vcc
	v_cmp_eq_u32_e64 s[4:5], 2, v20
	v_cndmask_b32_e64 v7, v21, v7, s[4:5]
	v_cndmask_b32_e32 v21, v2, v4, vcc
	v_cmp_eq_u32_e64 s[6:7], 3, v20
	v_cndmask_b32_e64 v6, v21, v6, s[4:5]
	v_cndmask_b32_e64 v7, v7, v9, s[6:7]
	v_cmp_eq_u32_e64 s[8:9], 4, v20
	v_cndmask_b32_e64 v6, v6, v8, s[6:7]
	ds_read_b64 v[22:23], v55 offset:8
	v_cndmask_b32_e64 v7, v7, v11, s[8:9]
	v_cmp_eq_u32_e64 s[10:11], 5, v20
	v_cndmask_b32_e64 v6, v6, v10, s[8:9]
	v_cndmask_b32_e64 v7, v7, v13, s[10:11]
	v_cmp_eq_u32_e64 s[12:13], 6, v20
	v_cndmask_b32_e64 v6, v6, v12, s[10:11]
	;; [unrolled: 3-line block ×3, first 2 shown]
	s_waitcnt vmcnt(0)
	v_cndmask_b32_e64 v7, v7, v17, s[14:15]
	v_cndmask_b32_e64 v6, v6, v16, s[14:15]
	s_waitcnt lgkmcnt(0)
	v_fmac_f64_e32 v[18:19], v[6:7], v[22:23]
.LBB71_111:
	s_or_b64 exec, exec, s[18:19]
	v_mov_b32_e32 v6, 0
	ds_read_b64 v[6:7], v6 offset:16
	s_waitcnt lgkmcnt(0)
	v_mul_f64 v[6:7], v[18:19], v[6:7]
.LBB71_112:
	s_or_b64 exec, exec, s[16:17]
	v_cmp_gt_u32_e32 vcc, 3, v0
	s_waitcnt vmcnt(5)
	ds_write_b64 v55, v[8:9]
	s_waitcnt lgkmcnt(0)
	; wave barrier
	s_waitcnt lgkmcnt(0)
	s_and_saveexec_b64 s[16:17], vcc
	s_cbranch_execz .LBB71_120
; %bb.113:
	s_and_b64 vcc, exec, s[0:1]
	s_cbranch_vccnz .LBB71_115
; %bb.114:
	v_cmp_eq_u32_e32 vcc, 1, v0
	s_waitcnt vmcnt(1)
	v_cndmask_b32_e32 v18, v3, v5, vcc
	v_cmp_eq_u32_e64 s[4:5], 2, v0
	v_cndmask_b32_e64 v18, v18, v7, s[4:5]
	v_cmp_eq_u32_e64 s[6:7], 3, v0
	v_cndmask_b32_e64 v18, v18, v9, s[6:7]
	;; [unrolled: 2-line block ×5, first 2 shown]
	v_cmp_eq_u32_e64 s[14:15], 7, v0
	s_waitcnt vmcnt(0)
	v_cndmask_b32_e64 v19, v18, v17, s[14:15]
	v_cndmask_b32_e32 v18, v2, v4, vcc
	v_cndmask_b32_e64 v18, v18, v6, s[4:5]
	v_cndmask_b32_e64 v18, v18, v8, s[6:7]
	ds_read_b64 v[22:23], v55
	v_cndmask_b32_e64 v18, v18, v10, s[8:9]
	v_cndmask_b32_e64 v18, v18, v12, s[10:11]
	;; [unrolled: 1-line block ×4, first 2 shown]
	s_waitcnt lgkmcnt(0)
	v_mul_f64 v[18:19], v[18:19], v[22:23]
	s_cbranch_execz .LBB71_116
	s_branch .LBB71_117
.LBB71_115:
                                        ; implicit-def: $vgpr18_vgpr19
.LBB71_116:
	ds_read_b64 v[18:19], v55
.LBB71_117:
	v_cmp_ne_u32_e32 vcc, 2, v0
	s_and_saveexec_b64 s[18:19], vcc
	s_cbranch_execz .LBB71_119
; %bb.118:
	v_cmp_eq_u32_e32 vcc, 1, v20
	s_waitcnt vmcnt(1)
	v_cndmask_b32_e32 v21, v3, v5, vcc
	v_cmp_eq_u32_e64 s[4:5], 2, v20
	v_cmp_eq_u32_e64 s[6:7], 3, v20
	;; [unrolled: 1-line block ×6, first 2 shown]
	v_cndmask_b32_e32 v20, v2, v4, vcc
	v_cndmask_b32_e64 v21, v21, v7, s[4:5]
	v_cndmask_b32_e64 v20, v20, v6, s[4:5]
	v_cndmask_b32_e64 v9, v21, v9, s[6:7]
	v_cndmask_b32_e64 v8, v20, v8, s[6:7]
	v_mov_b32_e32 v22, 0
	v_cndmask_b32_e64 v9, v9, v11, s[8:9]
	v_cndmask_b32_e64 v8, v8, v10, s[8:9]
	ds_read_b64 v[20:21], v55 offset:8
	ds_read_b64 v[22:23], v22 offset:80
	v_cndmask_b32_e64 v9, v9, v13, s[10:11]
	v_cndmask_b32_e64 v8, v8, v12, s[10:11]
	;; [unrolled: 1-line block ×4, first 2 shown]
	s_waitcnt vmcnt(0)
	v_cndmask_b32_e64 v9, v9, v17, s[14:15]
	v_cndmask_b32_e64 v8, v8, v16, s[14:15]
	s_waitcnt lgkmcnt(1)
	v_fmac_f64_e32 v[18:19], v[8:9], v[20:21]
	s_waitcnt lgkmcnt(0)
	v_fma_f64 v[8:9], v[6:7], v[22:23], v[18:19]
	v_cndmask_b32_e64 v19, v19, v9, s[2:3]
	v_cndmask_b32_e64 v18, v18, v8, s[2:3]
.LBB71_119:
	s_or_b64 exec, exec, s[18:19]
	v_mov_b32_e32 v8, 0
	ds_read_b64 v[8:9], v8 offset:24
	s_waitcnt lgkmcnt(0)
	v_mul_f64 v[8:9], v[18:19], v[8:9]
.LBB71_120:
	s_or_b64 exec, exec, s[16:17]
	v_cmp_gt_u32_e32 vcc, 4, v0
	s_waitcnt vmcnt(4)
	ds_write_b64 v55, v[10:11]
	s_waitcnt lgkmcnt(0)
	; wave barrier
	s_waitcnt lgkmcnt(0)
	s_and_saveexec_b64 s[14:15], vcc
	s_cbranch_execz .LBB71_130
; %bb.121:
	s_and_b64 vcc, exec, s[0:1]
	s_cbranch_vccnz .LBB71_123
; %bb.122:
	v_cmp_eq_u32_e32 vcc, 1, v0
	s_waitcnt vmcnt(1)
	v_cndmask_b32_e32 v18, v3, v5, vcc
	v_cmp_eq_u32_e64 s[2:3], 2, v0
	v_cndmask_b32_e64 v18, v18, v7, s[2:3]
	v_cmp_eq_u32_e64 s[4:5], 3, v0
	v_cndmask_b32_e64 v18, v18, v9, s[4:5]
	;; [unrolled: 2-line block ×5, first 2 shown]
	v_cmp_eq_u32_e64 s[12:13], 7, v0
	s_waitcnt vmcnt(0)
	v_cndmask_b32_e64 v19, v18, v17, s[12:13]
	v_cndmask_b32_e32 v18, v2, v4, vcc
	v_cndmask_b32_e64 v18, v18, v6, s[2:3]
	v_cndmask_b32_e64 v18, v18, v8, s[4:5]
	ds_read_b64 v[20:21], v55
	v_cndmask_b32_e64 v18, v18, v10, s[6:7]
	v_cndmask_b32_e64 v18, v18, v12, s[8:9]
	;; [unrolled: 1-line block ×4, first 2 shown]
	s_waitcnt lgkmcnt(0)
	v_mul_f64 v[18:19], v[18:19], v[20:21]
	s_cbranch_execz .LBB71_124
	s_branch .LBB71_125
.LBB71_123:
                                        ; implicit-def: $vgpr18_vgpr19
.LBB71_124:
	ds_read_b64 v[18:19], v55
.LBB71_125:
	v_cmp_ne_u32_e32 vcc, 3, v0
	s_and_saveexec_b64 s[6:7], vcc
	s_cbranch_execz .LBB71_129
; %bb.126:
	v_mov_b32_e32 v20, 0x48
	v_lshl_add_u32 v22, v0, 3, v20
	s_mov_b64 s[8:9], 0
	v_pk_mov_b32 v[20:21], v[0:1], v[0:1] op_sel:[0,1]
.LBB71_127:                             ; =>This Inner Loop Header: Depth=1
	v_add_co_u32_e32 v20, vcc, 1, v20
	v_addc_co_u32_e32 v21, vcc, 0, v21, vcc
	v_cmp_eq_u32_e32 vcc, 1, v20
	s_waitcnt vmcnt(1)
	v_cndmask_b32_e32 v23, v3, v5, vcc
	v_cmp_eq_u32_e64 s[4:5], 2, v20
	v_cmp_lt_u32_e64 s[2:3], 2, v20
	v_cndmask_b32_e64 v23, v23, v7, s[4:5]
	v_cndmask_b32_e32 v26, v2, v4, vcc
	v_cmp_eq_u32_e32 vcc, 3, v20
	s_or_b64 s[8:9], s[2:3], s[8:9]
	v_cndmask_b32_e32 v23, v23, v9, vcc
	v_cndmask_b32_e64 v26, v26, v6, s[4:5]
	v_cmp_eq_u32_e64 s[2:3], 4, v20
	ds_read_b64 v[24:25], v22
	v_cndmask_b32_e64 v23, v23, v11, s[2:3]
	v_cndmask_b32_e32 v26, v26, v8, vcc
	v_cmp_eq_u32_e32 vcc, 5, v20
	v_cndmask_b32_e32 v23, v23, v13, vcc
	v_cndmask_b32_e64 v26, v26, v10, s[2:3]
	v_cmp_eq_u32_e64 s[2:3], 6, v20
	v_cndmask_b32_e64 v23, v23, v15, s[2:3]
	v_cndmask_b32_e32 v26, v26, v12, vcc
	v_cmp_eq_u32_e32 vcc, 7, v20
	s_waitcnt vmcnt(0)
	v_cndmask_b32_e32 v27, v23, v17, vcc
	v_cndmask_b32_e64 v23, v26, v14, s[2:3]
	v_cndmask_b32_e32 v26, v23, v16, vcc
	v_add_u32_e32 v22, 8, v22
	s_waitcnt lgkmcnt(0)
	v_fmac_f64_e32 v[18:19], v[26:27], v[24:25]
	s_andn2_b64 exec, exec, s[8:9]
	s_cbranch_execnz .LBB71_127
; %bb.128:
	s_or_b64 exec, exec, s[8:9]
.LBB71_129:
	s_or_b64 exec, exec, s[6:7]
	v_mov_b32_e32 v10, 0
	ds_read_b64 v[10:11], v10 offset:32
	s_waitcnt lgkmcnt(0)
	v_mul_f64 v[10:11], v[18:19], v[10:11]
.LBB71_130:
	s_or_b64 exec, exec, s[14:15]
	v_cmp_gt_u32_e32 vcc, 5, v0
	s_waitcnt vmcnt(3)
	ds_write_b64 v55, v[12:13]
	s_waitcnt lgkmcnt(0)
	; wave barrier
	s_waitcnt lgkmcnt(0)
	s_and_saveexec_b64 s[14:15], vcc
	s_cbranch_execz .LBB71_140
; %bb.131:
	s_and_b64 vcc, exec, s[0:1]
	s_cbranch_vccnz .LBB71_133
; %bb.132:
	v_cmp_eq_u32_e32 vcc, 1, v0
	s_waitcnt vmcnt(1)
	v_cndmask_b32_e32 v18, v3, v5, vcc
	v_cmp_eq_u32_e64 s[2:3], 2, v0
	v_cndmask_b32_e64 v18, v18, v7, s[2:3]
	v_cmp_eq_u32_e64 s[4:5], 3, v0
	v_cndmask_b32_e64 v18, v18, v9, s[4:5]
	v_cmp_eq_u32_e64 s[6:7], 4, v0
	v_cndmask_b32_e64 v18, v18, v11, s[6:7]
	v_cmp_eq_u32_e64 s[8:9], 5, v0
	v_cndmask_b32_e64 v18, v18, v13, s[8:9]
	v_cmp_eq_u32_e64 s[10:11], 6, v0
	v_cndmask_b32_e64 v18, v18, v15, s[10:11]
	v_cmp_eq_u32_e64 s[12:13], 7, v0
	s_waitcnt vmcnt(0)
	v_cndmask_b32_e64 v19, v18, v17, s[12:13]
	v_cndmask_b32_e32 v18, v2, v4, vcc
	v_cndmask_b32_e64 v18, v18, v6, s[2:3]
	v_cndmask_b32_e64 v18, v18, v8, s[4:5]
	ds_read_b64 v[20:21], v55
	v_cndmask_b32_e64 v18, v18, v10, s[6:7]
	v_cndmask_b32_e64 v18, v18, v12, s[8:9]
	;; [unrolled: 1-line block ×4, first 2 shown]
	s_waitcnt lgkmcnt(0)
	v_mul_f64 v[18:19], v[18:19], v[20:21]
	s_cbranch_execz .LBB71_134
	s_branch .LBB71_135
.LBB71_133:
                                        ; implicit-def: $vgpr18_vgpr19
.LBB71_134:
	ds_read_b64 v[18:19], v55
.LBB71_135:
	v_cmp_ne_u32_e32 vcc, 4, v0
	s_and_saveexec_b64 s[6:7], vcc
	s_cbranch_execz .LBB71_139
; %bb.136:
	v_mov_b32_e32 v20, 0x48
	v_lshl_add_u32 v22, v0, 3, v20
	s_mov_b64 s[8:9], 0
	v_pk_mov_b32 v[20:21], v[0:1], v[0:1] op_sel:[0,1]
.LBB71_137:                             ; =>This Inner Loop Header: Depth=1
	v_add_co_u32_e32 v20, vcc, 1, v20
	v_addc_co_u32_e32 v21, vcc, 0, v21, vcc
	v_cmp_eq_u32_e32 vcc, 1, v20
	s_waitcnt vmcnt(1)
	v_cndmask_b32_e32 v23, v3, v5, vcc
	v_cmp_eq_u32_e64 s[4:5], 2, v20
	v_cmp_lt_u32_e64 s[2:3], 3, v20
	v_cndmask_b32_e64 v23, v23, v7, s[4:5]
	v_cndmask_b32_e32 v26, v2, v4, vcc
	v_cmp_eq_u32_e32 vcc, 3, v20
	s_or_b64 s[8:9], s[2:3], s[8:9]
	v_cndmask_b32_e32 v23, v23, v9, vcc
	v_cndmask_b32_e64 v26, v26, v6, s[4:5]
	v_cmp_eq_u32_e64 s[2:3], 4, v20
	ds_read_b64 v[24:25], v22
	v_cndmask_b32_e64 v23, v23, v11, s[2:3]
	v_cndmask_b32_e32 v26, v26, v8, vcc
	v_cmp_eq_u32_e32 vcc, 5, v20
	v_cndmask_b32_e32 v23, v23, v13, vcc
	v_cndmask_b32_e64 v26, v26, v10, s[2:3]
	v_cmp_eq_u32_e64 s[2:3], 6, v20
	v_cndmask_b32_e64 v23, v23, v15, s[2:3]
	v_cndmask_b32_e32 v26, v26, v12, vcc
	v_cmp_eq_u32_e32 vcc, 7, v20
	s_waitcnt vmcnt(0)
	v_cndmask_b32_e32 v27, v23, v17, vcc
	v_cndmask_b32_e64 v23, v26, v14, s[2:3]
	v_cndmask_b32_e32 v26, v23, v16, vcc
	v_add_u32_e32 v22, 8, v22
	s_waitcnt lgkmcnt(0)
	v_fmac_f64_e32 v[18:19], v[26:27], v[24:25]
	s_andn2_b64 exec, exec, s[8:9]
	s_cbranch_execnz .LBB71_137
; %bb.138:
	s_or_b64 exec, exec, s[8:9]
.LBB71_139:
	s_or_b64 exec, exec, s[6:7]
	v_mov_b32_e32 v12, 0
	ds_read_b64 v[12:13], v12 offset:40
	s_waitcnt lgkmcnt(0)
	v_mul_f64 v[12:13], v[18:19], v[12:13]
.LBB71_140:
	s_or_b64 exec, exec, s[14:15]
	v_cmp_gt_u32_e64 s[2:3], 6, v0
	s_waitcnt vmcnt(2)
	ds_write_b64 v55, v[14:15]
	s_waitcnt lgkmcnt(0)
	; wave barrier
	s_waitcnt lgkmcnt(0)
	s_and_saveexec_b64 s[16:17], s[2:3]
	s_cbranch_execz .LBB71_150
; %bb.141:
	s_and_b64 vcc, exec, s[0:1]
	s_cbranch_vccnz .LBB71_143
; %bb.142:
	v_cmp_eq_u32_e32 vcc, 1, v0
	s_waitcnt vmcnt(1)
	v_cndmask_b32_e32 v18, v3, v5, vcc
	v_cmp_eq_u32_e64 s[4:5], 2, v0
	v_cndmask_b32_e64 v18, v18, v7, s[4:5]
	v_cmp_eq_u32_e64 s[6:7], 3, v0
	v_cndmask_b32_e64 v18, v18, v9, s[6:7]
	;; [unrolled: 2-line block ×5, first 2 shown]
	v_cmp_eq_u32_e64 s[14:15], 7, v0
	s_waitcnt vmcnt(0)
	v_cndmask_b32_e64 v19, v18, v17, s[14:15]
	v_cndmask_b32_e32 v18, v2, v4, vcc
	v_cndmask_b32_e64 v18, v18, v6, s[4:5]
	v_cndmask_b32_e64 v18, v18, v8, s[6:7]
	ds_read_b64 v[20:21], v55
	v_cndmask_b32_e64 v18, v18, v10, s[8:9]
	v_cndmask_b32_e64 v18, v18, v12, s[10:11]
	;; [unrolled: 1-line block ×4, first 2 shown]
	s_waitcnt lgkmcnt(0)
	v_mul_f64 v[18:19], v[18:19], v[20:21]
	s_cbranch_execz .LBB71_144
	s_branch .LBB71_145
.LBB71_143:
                                        ; implicit-def: $vgpr18_vgpr19
.LBB71_144:
	ds_read_b64 v[18:19], v55
.LBB71_145:
	v_cmp_ne_u32_e32 vcc, 5, v0
	s_and_saveexec_b64 s[8:9], vcc
	s_cbranch_execz .LBB71_149
; %bb.146:
	v_mov_b32_e32 v20, 0x48
	v_lshl_add_u32 v22, v0, 3, v20
	s_mov_b64 s[10:11], 0
	v_pk_mov_b32 v[20:21], v[0:1], v[0:1] op_sel:[0,1]
.LBB71_147:                             ; =>This Inner Loop Header: Depth=1
	v_add_co_u32_e32 v20, vcc, 1, v20
	v_addc_co_u32_e32 v21, vcc, 0, v21, vcc
	v_cmp_eq_u32_e32 vcc, 1, v20
	s_waitcnt vmcnt(1)
	v_cndmask_b32_e32 v23, v3, v5, vcc
	v_cmp_eq_u32_e64 s[6:7], 2, v20
	v_cmp_lt_u32_e64 s[4:5], 4, v20
	v_cndmask_b32_e64 v23, v23, v7, s[6:7]
	v_cndmask_b32_e32 v26, v2, v4, vcc
	v_cmp_eq_u32_e32 vcc, 3, v20
	s_or_b64 s[10:11], s[4:5], s[10:11]
	v_cndmask_b32_e32 v23, v23, v9, vcc
	v_cndmask_b32_e64 v26, v26, v6, s[6:7]
	v_cmp_eq_u32_e64 s[4:5], 4, v20
	ds_read_b64 v[24:25], v22
	v_cndmask_b32_e64 v23, v23, v11, s[4:5]
	v_cndmask_b32_e32 v26, v26, v8, vcc
	v_cmp_eq_u32_e32 vcc, 5, v20
	v_cndmask_b32_e32 v23, v23, v13, vcc
	v_cndmask_b32_e64 v26, v26, v10, s[4:5]
	v_cmp_eq_u32_e64 s[4:5], 6, v20
	v_cndmask_b32_e64 v23, v23, v15, s[4:5]
	v_cndmask_b32_e32 v26, v26, v12, vcc
	v_cmp_eq_u32_e32 vcc, 7, v20
	s_waitcnt vmcnt(0)
	v_cndmask_b32_e32 v27, v23, v17, vcc
	v_cndmask_b32_e64 v23, v26, v14, s[4:5]
	v_cndmask_b32_e32 v26, v23, v16, vcc
	v_add_u32_e32 v22, 8, v22
	s_waitcnt lgkmcnt(0)
	v_fmac_f64_e32 v[18:19], v[26:27], v[24:25]
	s_andn2_b64 exec, exec, s[10:11]
	s_cbranch_execnz .LBB71_147
; %bb.148:
	s_or_b64 exec, exec, s[10:11]
.LBB71_149:
	s_or_b64 exec, exec, s[8:9]
	v_mov_b32_e32 v14, 0
	ds_read_b64 v[14:15], v14 offset:48
	s_waitcnt lgkmcnt(0)
	v_mul_f64 v[14:15], v[18:19], v[14:15]
.LBB71_150:
	s_or_b64 exec, exec, s[16:17]
	v_cmp_ne_u32_e32 vcc, 7, v0
	s_waitcnt vmcnt(0)
	ds_write_b64 v55, v[16:17]
	s_waitcnt lgkmcnt(0)
	; wave barrier
	s_waitcnt lgkmcnt(0)
	s_and_saveexec_b64 s[14:15], vcc
	s_cbranch_execz .LBB71_160
; %bb.151:
	s_and_b64 vcc, exec, s[0:1]
	s_cbranch_vccnz .LBB71_153
; %bb.152:
	v_cmp_eq_u32_e32 vcc, 1, v0
	v_cndmask_b32_e32 v18, v3, v5, vcc
	v_cmp_eq_u32_e64 s[0:1], 2, v0
	v_cndmask_b32_e64 v18, v18, v7, s[0:1]
	v_cmp_eq_u32_e64 s[4:5], 3, v0
	v_cndmask_b32_e64 v18, v18, v9, s[4:5]
	;; [unrolled: 2-line block ×6, first 2 shown]
	v_cndmask_b32_e32 v18, v2, v4, vcc
	v_cndmask_b32_e64 v18, v18, v6, s[0:1]
	v_cndmask_b32_e64 v18, v18, v8, s[4:5]
	ds_read_b64 v[20:21], v55
	v_cndmask_b32_e64 v18, v18, v10, s[6:7]
	v_cndmask_b32_e64 v18, v18, v12, s[8:9]
	;; [unrolled: 1-line block ×4, first 2 shown]
	s_waitcnt lgkmcnt(0)
	v_mul_f64 v[18:19], v[18:19], v[20:21]
	s_cbranch_execz .LBB71_154
	s_branch .LBB71_155
.LBB71_153:
                                        ; implicit-def: $vgpr18_vgpr19
.LBB71_154:
	ds_read_b64 v[18:19], v55
.LBB71_155:
	s_and_saveexec_b64 s[4:5], s[2:3]
	s_cbranch_execz .LBB71_159
; %bb.156:
	v_mov_b32_e32 v20, 0x48
	v_lshl_add_u32 v20, v0, 3, v20
	s_mov_b64 s[6:7], 0
.LBB71_157:                             ; =>This Inner Loop Header: Depth=1
	v_add_co_u32_e32 v0, vcc, 1, v0
	v_addc_co_u32_e32 v1, vcc, 0, v1, vcc
	v_cmp_eq_u32_e32 vcc, 1, v0
	v_cndmask_b32_e32 v21, v3, v5, vcc
	v_cmp_eq_u32_e64 s[2:3], 2, v0
	v_cmp_lt_u32_e64 s[0:1], 5, v0
	v_cndmask_b32_e64 v21, v21, v7, s[2:3]
	v_cndmask_b32_e32 v24, v2, v4, vcc
	v_cmp_eq_u32_e32 vcc, 3, v0
	s_or_b64 s[6:7], s[0:1], s[6:7]
	v_cndmask_b32_e32 v21, v21, v9, vcc
	v_cndmask_b32_e64 v24, v24, v6, s[2:3]
	v_cmp_eq_u32_e64 s[0:1], 4, v0
	ds_read_b64 v[22:23], v20
	v_cndmask_b32_e64 v21, v21, v11, s[0:1]
	v_cndmask_b32_e32 v24, v24, v8, vcc
	v_cmp_eq_u32_e32 vcc, 5, v0
	v_cndmask_b32_e32 v21, v21, v13, vcc
	v_cndmask_b32_e64 v24, v24, v10, s[0:1]
	v_cmp_eq_u32_e64 s[0:1], 6, v0
	v_cndmask_b32_e64 v21, v21, v15, s[0:1]
	v_cndmask_b32_e32 v24, v24, v12, vcc
	v_cmp_eq_u32_e32 vcc, 7, v0
	v_cndmask_b32_e32 v25, v21, v17, vcc
	v_cndmask_b32_e64 v21, v24, v14, s[0:1]
	v_cndmask_b32_e32 v24, v21, v16, vcc
	v_add_u32_e32 v20, 8, v20
	s_waitcnt lgkmcnt(0)
	v_fmac_f64_e32 v[18:19], v[24:25], v[22:23]
	s_andn2_b64 exec, exec, s[6:7]
	s_cbranch_execnz .LBB71_157
; %bb.158:
	s_or_b64 exec, exec, s[6:7]
.LBB71_159:
	s_or_b64 exec, exec, s[4:5]
	v_mov_b32_e32 v0, 0
	ds_read_b64 v[0:1], v0 offset:56
	s_waitcnt lgkmcnt(0)
	v_mul_f64 v[16:17], v[18:19], v[0:1]
.LBB71_160:
	s_or_b64 exec, exec, s[14:15]
	v_pk_mov_b32 v[32:33], v[16:17], v[16:17] op_sel:[0,1]
	v_pk_mov_b32 v[30:31], v[14:15], v[14:15] op_sel:[0,1]
	v_pk_mov_b32 v[28:29], v[12:13], v[12:13] op_sel:[0,1]
	v_pk_mov_b32 v[26:27], v[10:11], v[10:11] op_sel:[0,1]
	v_pk_mov_b32 v[24:25], v[8:9], v[8:9] op_sel:[0,1]
	v_pk_mov_b32 v[22:23], v[6:7], v[6:7] op_sel:[0,1]
	v_pk_mov_b32 v[20:21], v[4:5], v[4:5] op_sel:[0,1]
	v_pk_mov_b32 v[18:19], v[2:3], v[2:3] op_sel:[0,1]
.LBB71_161:
	global_store_dwordx2 v[34:35], v[18:19], off
	global_store_dwordx2 v[36:37], v[20:21], off
	;; [unrolled: 1-line block ×8, first 2 shown]
.LBB71_162:
	s_endpgm
	.section	.rodata,"a",@progbits
	.p2align	6, 0x0
	.amdhsa_kernel _ZN9rocsolver6v33100L18trti2_kernel_smallILi8EdPKPdEEv13rocblas_fill_17rocblas_diagonal_T1_iil
		.amdhsa_group_segment_fixed_size 128
		.amdhsa_private_segment_fixed_size 0
		.amdhsa_kernarg_size 32
		.amdhsa_user_sgpr_count 6
		.amdhsa_user_sgpr_private_segment_buffer 1
		.amdhsa_user_sgpr_dispatch_ptr 0
		.amdhsa_user_sgpr_queue_ptr 0
		.amdhsa_user_sgpr_kernarg_segment_ptr 1
		.amdhsa_user_sgpr_dispatch_id 0
		.amdhsa_user_sgpr_flat_scratch_init 0
		.amdhsa_user_sgpr_kernarg_preload_length 0
		.amdhsa_user_sgpr_kernarg_preload_offset 0
		.amdhsa_user_sgpr_private_segment_size 0
		.amdhsa_uses_dynamic_stack 0
		.amdhsa_system_sgpr_private_segment_wavefront_offset 0
		.amdhsa_system_sgpr_workgroup_id_x 1
		.amdhsa_system_sgpr_workgroup_id_y 0
		.amdhsa_system_sgpr_workgroup_id_z 0
		.amdhsa_system_sgpr_workgroup_info 0
		.amdhsa_system_vgpr_workitem_id 0
		.amdhsa_next_free_vgpr 78
		.amdhsa_next_free_sgpr 30
		.amdhsa_accum_offset 80
		.amdhsa_reserve_vcc 1
		.amdhsa_reserve_flat_scratch 0
		.amdhsa_float_round_mode_32 0
		.amdhsa_float_round_mode_16_64 0
		.amdhsa_float_denorm_mode_32 3
		.amdhsa_float_denorm_mode_16_64 3
		.amdhsa_dx10_clamp 1
		.amdhsa_ieee_mode 1
		.amdhsa_fp16_overflow 0
		.amdhsa_tg_split 0
		.amdhsa_exception_fp_ieee_invalid_op 0
		.amdhsa_exception_fp_denorm_src 0
		.amdhsa_exception_fp_ieee_div_zero 0
		.amdhsa_exception_fp_ieee_overflow 0
		.amdhsa_exception_fp_ieee_underflow 0
		.amdhsa_exception_fp_ieee_inexact 0
		.amdhsa_exception_int_div_zero 0
	.end_amdhsa_kernel
	.section	.text._ZN9rocsolver6v33100L18trti2_kernel_smallILi8EdPKPdEEv13rocblas_fill_17rocblas_diagonal_T1_iil,"axG",@progbits,_ZN9rocsolver6v33100L18trti2_kernel_smallILi8EdPKPdEEv13rocblas_fill_17rocblas_diagonal_T1_iil,comdat
.Lfunc_end71:
	.size	_ZN9rocsolver6v33100L18trti2_kernel_smallILi8EdPKPdEEv13rocblas_fill_17rocblas_diagonal_T1_iil, .Lfunc_end71-_ZN9rocsolver6v33100L18trti2_kernel_smallILi8EdPKPdEEv13rocblas_fill_17rocblas_diagonal_T1_iil
                                        ; -- End function
	.section	.AMDGPU.csdata,"",@progbits
; Kernel info:
; codeLenInByte = 9436
; NumSgprs: 34
; NumVgprs: 78
; NumAgprs: 0
; TotalNumVgprs: 78
; ScratchSize: 0
; MemoryBound: 0
; FloatMode: 240
; IeeeMode: 1
; LDSByteSize: 128 bytes/workgroup (compile time only)
; SGPRBlocks: 4
; VGPRBlocks: 9
; NumSGPRsForWavesPerEU: 34
; NumVGPRsForWavesPerEU: 78
; AccumOffset: 80
; Occupancy: 6
; WaveLimiterHint : 1
; COMPUTE_PGM_RSRC2:SCRATCH_EN: 0
; COMPUTE_PGM_RSRC2:USER_SGPR: 6
; COMPUTE_PGM_RSRC2:TRAP_HANDLER: 0
; COMPUTE_PGM_RSRC2:TGID_X_EN: 1
; COMPUTE_PGM_RSRC2:TGID_Y_EN: 0
; COMPUTE_PGM_RSRC2:TGID_Z_EN: 0
; COMPUTE_PGM_RSRC2:TIDIG_COMP_CNT: 0
; COMPUTE_PGM_RSRC3_GFX90A:ACCUM_OFFSET: 19
; COMPUTE_PGM_RSRC3_GFX90A:TG_SPLIT: 0
	.section	.text._ZN9rocsolver6v33100L18trti2_kernel_smallILi9EdPKPdEEv13rocblas_fill_17rocblas_diagonal_T1_iil,"axG",@progbits,_ZN9rocsolver6v33100L18trti2_kernel_smallILi9EdPKPdEEv13rocblas_fill_17rocblas_diagonal_T1_iil,comdat
	.globl	_ZN9rocsolver6v33100L18trti2_kernel_smallILi9EdPKPdEEv13rocblas_fill_17rocblas_diagonal_T1_iil ; -- Begin function _ZN9rocsolver6v33100L18trti2_kernel_smallILi9EdPKPdEEv13rocblas_fill_17rocblas_diagonal_T1_iil
	.p2align	8
	.type	_ZN9rocsolver6v33100L18trti2_kernel_smallILi9EdPKPdEEv13rocblas_fill_17rocblas_diagonal_T1_iil,@function
_ZN9rocsolver6v33100L18trti2_kernel_smallILi9EdPKPdEEv13rocblas_fill_17rocblas_diagonal_T1_iil: ; @_ZN9rocsolver6v33100L18trti2_kernel_smallILi9EdPKPdEEv13rocblas_fill_17rocblas_diagonal_T1_iil
; %bb.0:
	v_cmp_gt_u32_e32 vcc, 9, v0
	s_and_saveexec_b64 s[0:1], vcc
	s_cbranch_execz .LBB72_188
; %bb.1:
	s_load_dwordx2 s[0:1], s[4:5], 0x10
	s_load_dwordx4 s[20:23], s[4:5], 0x0
	s_ashr_i32 s7, s6, 31
	s_lshl_b64 s[2:3], s[6:7], 3
	v_lshlrev_b32_e32 v36, 3, v0
	s_waitcnt lgkmcnt(0)
	s_ashr_i32 s5, s0, 31
	s_add_u32 s2, s22, s2
	s_addc_u32 s3, s23, s3
	s_load_dwordx2 s[2:3], s[2:3], 0x0
	s_mov_b32 s4, s0
	s_lshl_b64 s[4:5], s[4:5], 3
	v_mov_b32_e32 v34, 0
	v_mov_b32_e32 v35, 0xbff00000
	s_waitcnt lgkmcnt(0)
	s_add_u32 s2, s2, s4
	s_addc_u32 s3, s3, s5
	v_mov_b32_e32 v1, s3
	v_add_co_u32_e32 v66, vcc, s2, v36
	s_ashr_i32 s5, s1, 31
	s_mov_b32 s4, s1
	s_add_i32 s0, s1, s1
	v_addc_co_u32_e32 v67, vcc, 0, v1, vcc
	s_lshl_b64 s[4:5], s[4:5], 3
	v_add_u32_e32 v4, s0, v0
	v_mov_b32_e32 v1, s5
	v_add_co_u32_e32 v68, vcc, s4, v66
	v_ashrrev_i32_e32 v5, 31, v4
	v_addc_co_u32_e32 v69, vcc, v67, v1, vcc
	v_lshlrev_b64 v[6:7], 3, v[4:5]
	v_add_u32_e32 v4, s1, v4
	v_mov_b32_e32 v1, s3
	v_add_co_u32_e32 v70, vcc, s2, v6
	v_ashrrev_i32_e32 v5, 31, v4
	v_addc_co_u32_e32 v71, vcc, v1, v7, vcc
	v_lshlrev_b64 v[6:7], 3, v[4:5]
	v_add_u32_e32 v12, s1, v4
	v_add_co_u32_e32 v72, vcc, s2, v6
	v_ashrrev_i32_e32 v13, 31, v12
	v_addc_co_u32_e32 v73, vcc, v1, v7, vcc
	v_lshlrev_b64 v[4:5], 3, v[12:13]
	v_add_u32_e32 v12, s1, v12
	v_add_co_u32_e32 v74, vcc, s2, v4
	v_ashrrev_i32_e32 v13, 31, v12
	v_addc_co_u32_e32 v75, vcc, v1, v5, vcc
	v_lshlrev_b64 v[14:15], 3, v[12:13]
	v_add_u32_e32 v12, s1, v12
	v_add_co_u32_e32 v76, vcc, s2, v14
	v_ashrrev_i32_e32 v13, 31, v12
	v_addc_co_u32_e32 v77, vcc, v1, v15, vcc
	v_lshlrev_b64 v[14:15], 3, v[12:13]
	v_add_u32_e32 v12, s1, v12
	v_add_co_u32_e32 v78, vcc, s2, v14
	v_ashrrev_i32_e32 v13, 31, v12
	v_addc_co_u32_e32 v79, vcc, v1, v15, vcc
	v_lshlrev_b64 v[14:15], 3, v[12:13]
	v_add_u32_e32 v12, s1, v12
	v_add_co_u32_e32 v80, vcc, s2, v14
	v_ashrrev_i32_e32 v13, 31, v12
	v_addc_co_u32_e32 v81, vcc, v1, v15, vcc
	v_lshlrev_b64 v[12:13], 3, v[12:13]
	v_add_co_u32_e32 v82, vcc, s2, v12
	global_load_dwordx2 v[2:3], v36, s[2:3]
	global_load_dwordx2 v[4:5], v[68:69], off
	global_load_dwordx2 v[6:7], v[70:71], off
	;; [unrolled: 1-line block ×4, first 2 shown]
	v_addc_co_u32_e32 v83, vcc, v1, v13, vcc
	global_load_dwordx2 v[12:13], v[76:77], off
	global_load_dwordx2 v[14:15], v[78:79], off
	;; [unrolled: 1-line block ×4, first 2 shown]
	s_cmpk_lg_i32 s21, 0x84
	v_mov_b32_e32 v1, 0
	s_cselect_b64 s[18:19], -1, 0
	s_cmpk_eq_i32 s21, 0x84
	v_cmp_eq_u32_e64 s[0:1], 0, v0
	s_cbranch_scc1 .LBB72_3
; %bb.2:
	v_cmp_eq_u32_e64 s[2:3], 1, v0
	s_waitcnt vmcnt(7)
	v_cndmask_b32_e64 v20, v3, v5, s[2:3]
	v_cmp_eq_u32_e64 s[4:5], 2, v0
	s_waitcnt vmcnt(6)
	v_cndmask_b32_e64 v20, v20, v7, s[4:5]
	;; [unrolled: 3-line block ×8, first 2 shown]
	v_cndmask_b32_e64 v20, v2, v4, s[2:3]
	v_cndmask_b32_e64 v20, v20, v6, s[4:5]
	;; [unrolled: 1-line block ×8, first 2 shown]
	v_div_scale_f64 v[22:23], s[22:23], v[20:21], v[20:21], 1.0
	v_rcp_f64_e32 v[24:25], v[22:23]
	v_fma_f64 v[26:27], -v[22:23], v[24:25], 1.0
	v_fmac_f64_e32 v[24:25], v[24:25], v[26:27]
	v_fma_f64 v[26:27], -v[22:23], v[24:25], 1.0
	v_fmac_f64_e32 v[24:25], v[24:25], v[26:27]
	v_div_scale_f64 v[26:27], vcc, 1.0, v[20:21], 1.0
	v_mul_f64 v[28:29], v[26:27], v[24:25]
	v_fma_f64 v[22:23], -v[22:23], v[28:29], v[26:27]
	s_nop 1
	v_div_fmas_f64 v[22:23], v[22:23], v[24:25], v[28:29]
	v_div_fixup_f64 v[34:35], v[22:23], v[20:21], 1.0
	v_cndmask_b32_e64 v19, v19, v35, s[16:17]
	v_cndmask_b32_e64 v18, v18, v34, s[16:17]
	;; [unrolled: 1-line block ×18, first 2 shown]
	v_xor_b32_e32 v35, 0x80000000, v35
.LBB72_3:
	s_cmpk_eq_i32 s20, 0x79
	v_add_u32_e32 v87, 0x50, v36
	ds_write_b64 v36, v[34:35]
	s_cbranch_scc1 .LBB72_7
; %bb.4:
	s_waitcnt vmcnt(0)
	v_pk_mov_b32 v[64:65], v[32:33], v[32:33] op_sel:[0,1]
	v_cmp_eq_u32_e64 s[0:1], 8, v0
	v_pk_mov_b32 v[62:63], v[30:31], v[30:31] op_sel:[0,1]
	v_pk_mov_b32 v[60:61], v[28:29], v[28:29] op_sel:[0,1]
	;; [unrolled: 1-line block ×15, first 2 shown]
	ds_write_b64 v87, v[16:17]
	s_waitcnt lgkmcnt(0)
	; wave barrier
	s_waitcnt lgkmcnt(0)
	s_and_saveexec_b64 s[16:17], s[0:1]
	s_cbranch_execz .LBB72_11
; %bb.5:
	s_and_b64 vcc, exec, s[18:19]
	s_cbranch_vccz .LBB72_8
; %bb.6:
	v_cmp_eq_u32_e32 vcc, 1, v0
	v_cndmask_b32_e32 v34, v3, v5, vcc
	v_cmp_eq_u32_e64 s[2:3], 2, v0
	v_cndmask_b32_e64 v34, v34, v7, s[2:3]
	v_cmp_eq_u32_e64 s[4:5], 3, v0
	v_cndmask_b32_e64 v34, v34, v9, s[4:5]
	;; [unrolled: 2-line block ×7, first 2 shown]
	v_cndmask_b32_e32 v34, v2, v4, vcc
	v_cndmask_b32_e64 v34, v34, v6, s[2:3]
	v_cndmask_b32_e64 v34, v34, v8, s[4:5]
	;; [unrolled: 1-line block ×3, first 2 shown]
	ds_read_b64 v[36:37], v87
	v_cndmask_b32_e64 v34, v34, v12, s[8:9]
	v_cndmask_b32_e64 v34, v34, v14, s[10:11]
	;; [unrolled: 1-line block ×4, first 2 shown]
	s_waitcnt lgkmcnt(0)
	v_mul_f64 v[38:39], v[34:35], v[36:37]
	s_cbranch_execz .LBB72_9
	s_branch .LBB72_10
.LBB72_7:
                                        ; implicit-def: $vgpr34_vgpr35_vgpr36_vgpr37_vgpr38_vgpr39_vgpr40_vgpr41_vgpr42_vgpr43_vgpr44_vgpr45_vgpr46_vgpr47_vgpr48_vgpr49_vgpr50_vgpr51_vgpr52_vgpr53_vgpr54_vgpr55_vgpr56_vgpr57_vgpr58_vgpr59_vgpr60_vgpr61_vgpr62_vgpr63_vgpr64_vgpr65
	s_cbranch_execnz .LBB72_114
	s_branch .LBB72_187
.LBB72_8:
                                        ; implicit-def: $vgpr38_vgpr39
.LBB72_9:
	ds_read_b64 v[38:39], v87
.LBB72_10:
	v_mov_b32_e32 v34, 0
	ds_read_b64 v[40:41], v34 offset:56
	v_mov_b32_e32 v34, v2
	v_mov_b32_e32 v35, v3
	;; [unrolled: 1-line block ×4, first 2 shown]
	s_waitcnt lgkmcnt(0)
	v_mul_f64 v[48:49], v[38:39], v[40:41]
	v_mov_b32_e32 v38, v6
	v_mov_b32_e32 v39, v7
	v_mov_b32_e32 v40, v8
	v_mov_b32_e32 v41, v9
	v_mov_b32_e32 v42, v10
	v_mov_b32_e32 v43, v11
	v_mov_b32_e32 v44, v12
	v_mov_b32_e32 v45, v13
	v_mov_b32_e32 v46, v14
	v_mov_b32_e32 v47, v15
	v_mov_b32_e32 v50, v18
	v_mov_b32_e32 v51, v19
.LBB72_11:
	s_or_b64 exec, exec, s[16:17]
	v_cmp_lt_u32_e64 s[2:3], 6, v0
	ds_write_b64 v87, v[46:47]
	s_waitcnt lgkmcnt(0)
	; wave barrier
	s_waitcnt lgkmcnt(0)
	s_and_saveexec_b64 s[20:21], s[2:3]
	s_cbranch_execz .LBB72_17
; %bb.12:
	s_andn2_b64 vcc, exec, s[18:19]
	s_cbranch_vccnz .LBB72_14
; %bb.13:
	v_cmp_eq_u32_e32 vcc, 1, v0
	v_cndmask_b32_e32 v52, v35, v37, vcc
	v_cmp_eq_u32_e64 s[4:5], 2, v0
	v_cndmask_b32_e64 v52, v52, v39, s[4:5]
	v_cmp_eq_u32_e64 s[6:7], 3, v0
	v_cndmask_b32_e64 v52, v52, v41, s[6:7]
	;; [unrolled: 2-line block ×5, first 2 shown]
	v_cndmask_b32_e32 v52, v34, v36, vcc
	v_cndmask_b32_e64 v52, v52, v38, s[4:5]
	v_cndmask_b32_e64 v52, v52, v40, s[6:7]
	;; [unrolled: 1-line block ×3, first 2 shown]
	ds_read_b64 v[52:53], v87
	v_cndmask_b32_e64 v54, v54, v44, s[10:11]
	v_cmp_eq_u32_e64 s[14:15], 7, v0
	v_cndmask_b32_e64 v46, v54, v46, s[12:13]
	v_cndmask_b32_e64 v47, v47, v49, s[14:15]
	v_cmp_eq_u32_e64 s[16:17], 8, v0
	v_cndmask_b32_e64 v46, v46, v48, s[14:15]
	v_cndmask_b32_e64 v47, v47, v51, s[16:17]
	;; [unrolled: 1-line block ×3, first 2 shown]
	s_waitcnt lgkmcnt(0)
	v_mul_f64 v[46:47], v[46:47], v[52:53]
	s_cbranch_execz .LBB72_15
	s_branch .LBB72_16
.LBB72_14:
                                        ; implicit-def: $vgpr46_vgpr47
.LBB72_15:
	ds_read_b64 v[46:47], v87
.LBB72_16:
	v_mov_b32_e32 v52, 0
	ds_read2_b64 v[52:55], v52 offset0:6 offset1:17
	s_waitcnt lgkmcnt(0)
	v_fma_f64 v[54:55], v[48:49], v[54:55], v[46:47]
	v_cndmask_b32_e64 v47, v47, v55, s[0:1]
	v_cndmask_b32_e64 v46, v46, v54, s[0:1]
	v_mul_f64 v[46:47], v[46:47], v[52:53]
.LBB72_17:
	s_or_b64 exec, exec, s[20:21]
	v_cmp_lt_u32_e64 s[0:1], 5, v0
	ds_write_b64 v87, v[44:45]
	s_waitcnt lgkmcnt(0)
	; wave barrier
	s_waitcnt lgkmcnt(0)
	s_and_saveexec_b64 s[20:21], s[0:1]
	s_cbranch_execz .LBB72_33
; %bb.18:
	s_andn2_b64 vcc, exec, s[18:19]
	s_cbranch_vccnz .LBB72_20
; %bb.19:
	v_cmp_eq_u32_e32 vcc, 1, v0
	v_cndmask_b32_e32 v84, v35, v37, vcc
	v_cmp_eq_u32_e64 s[4:5], 2, v0
	v_cndmask_b32_e64 v84, v84, v39, s[4:5]
	v_cmp_eq_u32_e64 s[6:7], 3, v0
	v_cndmask_b32_e64 v84, v84, v41, s[6:7]
	v_cmp_eq_u32_e64 s[8:9], 4, v0
	v_cndmask_b32_e64 v84, v84, v43, s[8:9]
	v_cmp_eq_u32_e64 s[10:11], 5, v0
	v_cndmask_b32_e64 v84, v84, v45, s[10:11]
	v_cmp_eq_u32_e64 s[12:13], 6, v0
	v_cndmask_b32_e64 v84, v84, v47, s[12:13]
	v_cmp_eq_u32_e64 s[14:15], 7, v0
	v_cndmask_b32_e64 v84, v84, v49, s[14:15]
	v_cmp_eq_u32_e64 s[16:17], 8, v0
	v_cndmask_b32_e64 v85, v84, v51, s[16:17]
	v_cndmask_b32_e32 v84, v34, v36, vcc
	v_cndmask_b32_e64 v84, v84, v38, s[4:5]
	v_cndmask_b32_e64 v84, v84, v40, s[6:7]
	;; [unrolled: 1-line block ×3, first 2 shown]
	ds_read_b64 v[88:89], v87
	v_cndmask_b32_e64 v84, v84, v44, s[10:11]
	v_cndmask_b32_e64 v84, v84, v46, s[12:13]
	;; [unrolled: 1-line block ×4, first 2 shown]
	s_waitcnt lgkmcnt(0)
	v_mul_f64 v[84:85], v[84:85], v[88:89]
	s_cbranch_execz .LBB72_21
	s_branch .LBB72_22
.LBB72_20:
                                        ; implicit-def: $vgpr84_vgpr85
.LBB72_21:
	ds_read_b64 v[84:85], v87
.LBB72_22:
	s_and_saveexec_b64 s[6:7], s[2:3]
	s_cbranch_execz .LBB72_32
; %bb.23:
	v_add_u32_e32 v86, -7, v0
	v_add_u32_e32 v89, -6, v0
	v_cmp_lt_u32_e32 vcc, 6, v86
	v_mov_b32_e32 v88, 6
	s_and_saveexec_b64 s[2:3], vcc
	s_cbranch_execz .LBB72_27
; %bb.24:
	v_and_b32_e32 v86, -8, v89
	v_sub_u32_e32 v86, 0, v86
	s_mov_b64 s[4:5], 13
	s_movk_i32 s10, 0x80
	s_mov_b64 s[8:9], 0
.LBB72_25:                              ; =>This Inner Loop Header: Depth=1
	s_lshl_b32 s11, s4, 1
	s_add_i32 s12, s11, -13
	s_add_i32 s13, s11, -14
	s_set_gpr_idx_on s12, gpr_idx(SRC0)
	v_mov_b32_e32 v107, v34
	s_set_gpr_idx_off
	v_mov_b32_e32 v88, s10
	s_add_i32 s14, s11, -11
	s_set_gpr_idx_on s13, gpr_idx(SRC0)
	v_mov_b32_e32 v106, v34
	s_set_gpr_idx_off
	s_add_i32 s15, s11, -12
	ds_read_b128 v[90:93], v88
	ds_read_b128 v[94:97], v88 offset:16
	ds_read_b128 v[98:101], v88 offset:32
	;; [unrolled: 1-line block ×3, first 2 shown]
	s_set_gpr_idx_on s14, gpr_idx(SRC0)
	v_mov_b32_e32 v109, v34
	s_set_gpr_idx_off
	s_add_i32 s16, s11, -9
	s_set_gpr_idx_on s15, gpr_idx(SRC0)
	v_mov_b32_e32 v108, v34
	s_set_gpr_idx_off
	s_add_i32 s17, s11, -10
	;; [unrolled: 4-line block ×4, first 2 shown]
	s_waitcnt lgkmcnt(3)
	v_fmac_f64_e32 v[84:85], v[106:107], v[90:91]
	s_set_gpr_idx_on s22, gpr_idx(SRC0)
	v_mov_b32_e32 v91, v34
	s_set_gpr_idx_off
	s_add_i32 s24, s11, -5
	v_fmac_f64_e32 v[84:85], v[108:109], v[92:93]
	s_set_gpr_idx_on s23, gpr_idx(SRC0)
	v_mov_b32_e32 v90, v34
	s_set_gpr_idx_off
	s_add_i32 s25, s11, -6
	s_waitcnt lgkmcnt(2)
	v_fmac_f64_e32 v[84:85], v[110:111], v[94:95]
	s_set_gpr_idx_on s24, gpr_idx(SRC0)
	v_mov_b32_e32 v93, v34
	s_set_gpr_idx_off
	s_add_i32 s26, s11, -3
	v_fmac_f64_e32 v[84:85], v[90:91], v[96:97]
	s_set_gpr_idx_on s25, gpr_idx(SRC0)
	v_mov_b32_e32 v92, v34
	s_set_gpr_idx_off
	s_add_i32 s27, s11, -4
	s_waitcnt lgkmcnt(1)
	v_fmac_f64_e32 v[84:85], v[92:93], v[98:99]
	s_set_gpr_idx_on s26, gpr_idx(SRC0)
	v_mov_b32_e32 v91, v34
	s_set_gpr_idx_off
	s_add_i32 s28, s11, -1
	s_set_gpr_idx_on s27, gpr_idx(SRC0)
	v_mov_b32_e32 v90, v34
	s_set_gpr_idx_off
	s_add_i32 s29, s11, -2
	v_fmac_f64_e32 v[84:85], v[90:91], v[100:101]
	s_set_gpr_idx_on s28, gpr_idx(SRC0)
	v_mov_b32_e32 v91, v34
	s_set_gpr_idx_off
	s_add_u32 s4, s4, 8
	s_set_gpr_idx_on s29, gpr_idx(SRC0)
	v_mov_b32_e32 v90, v34
	s_set_gpr_idx_off
	v_add_u32_e32 v88, s4, v86
	s_waitcnt lgkmcnt(0)
	v_fmac_f64_e32 v[84:85], v[90:91], v[102:103]
	s_set_gpr_idx_on s11, gpr_idx(SRC0)
	v_mov_b32_e32 v91, v35
	s_set_gpr_idx_off
	s_addc_u32 s5, s5, 0
	s_add_i32 s10, s10, 64
	s_add_i32 s12, s4, -7
	v_cmp_eq_u32_e32 vcc, 13, v88
	s_set_gpr_idx_on s11, gpr_idx(SRC0)
	v_mov_b32_e32 v90, v34
	s_set_gpr_idx_off
	v_mov_b32_e32 v88, s12
	s_or_b64 s[8:9], vcc, s[8:9]
	v_fmac_f64_e32 v[84:85], v[90:91], v[104:105]
	s_andn2_b64 exec, exec, s[8:9]
	s_cbranch_execnz .LBB72_25
; %bb.26:
	s_or_b64 exec, exec, s[8:9]
.LBB72_27:
	s_or_b64 exec, exec, s[2:3]
	v_and_b32_e32 v52, 7, v89
	v_cmp_ne_u32_e32 vcc, 0, v52
	s_and_saveexec_b64 s[8:9], vcc
	s_cbranch_execz .LBB72_31
; %bb.28:
	v_mov_b32_e32 v53, 0x50
	v_lshl_add_u32 v54, v88, 3, v53
	v_mov_b32_e32 v53, 0
	s_mov_b64 s[10:11], 0
.LBB72_29:                              ; =>This Inner Loop Header: Depth=1
	v_cmp_eq_u32_e32 vcc, 1, v88
	v_cndmask_b32_e32 v55, v35, v37, vcc
	v_add_u32_e32 v52, -1, v52
	v_cmp_eq_u32_e64 s[2:3], 2, v88
	v_cndmask_b32_e64 v55, v55, v39, s[2:3]
	v_cndmask_b32_e32 v58, v34, v36, vcc
	v_cmp_eq_u32_e32 vcc, 0, v52
	v_cmp_eq_u32_e64 s[4:5], 3, v88
	v_cndmask_b32_e64 v55, v55, v41, s[4:5]
	v_cndmask_b32_e64 v58, v58, v38, s[2:3]
	s_or_b64 s[10:11], vcc, s[10:11]
	v_cmp_eq_u32_e32 vcc, 4, v88
	v_cndmask_b32_e32 v55, v55, v43, vcc
	v_cndmask_b32_e64 v58, v58, v40, s[4:5]
	v_cmp_eq_u32_e64 s[2:3], 5, v88
	ds_read_b64 v[56:57], v54
	v_cndmask_b32_e64 v55, v55, v45, s[2:3]
	v_cndmask_b32_e32 v58, v58, v42, vcc
	v_cmp_eq_u32_e32 vcc, 6, v88
	v_cndmask_b32_e32 v55, v55, v47, vcc
	v_cndmask_b32_e64 v58, v58, v44, s[2:3]
	v_cmp_eq_u32_e64 s[2:3], 7, v88
	v_cndmask_b32_e64 v55, v55, v49, s[2:3]
	v_cmp_eq_u32_e64 s[4:5], 8, v88
	v_cndmask_b32_e32 v58, v58, v46, vcc
	v_cndmask_b32_e64 v59, v55, v51, s[4:5]
	v_cndmask_b32_e64 v55, v58, v48, s[2:3]
	v_add_co_u32_e32 v88, vcc, 1, v88
	v_cndmask_b32_e64 v58, v55, v50, s[4:5]
	v_add_u32_e32 v54, 8, v54
	v_addc_co_u32_e32 v53, vcc, 0, v53, vcc
	s_waitcnt lgkmcnt(0)
	v_fmac_f64_e32 v[84:85], v[58:59], v[56:57]
	s_andn2_b64 exec, exec, s[10:11]
	s_cbranch_execnz .LBB72_29
; %bb.30:
	s_or_b64 exec, exec, s[10:11]
.LBB72_31:
	s_or_b64 exec, exec, s[8:9]
.LBB72_32:
	s_or_b64 exec, exec, s[6:7]
	v_mov_b32_e32 v44, 0
	ds_read_b64 v[44:45], v44 offset:40
	s_waitcnt lgkmcnt(0)
	v_mul_f64 v[44:45], v[84:85], v[44:45]
.LBB72_33:
	s_or_b64 exec, exec, s[20:21]
	v_cmp_lt_u32_e64 s[2:3], 4, v0
	ds_write_b64 v87, v[42:43]
	s_waitcnt lgkmcnt(0)
	; wave barrier
	s_waitcnt lgkmcnt(0)
	s_and_saveexec_b64 s[20:21], s[2:3]
	s_cbranch_execz .LBB72_49
; %bb.34:
	s_andn2_b64 vcc, exec, s[18:19]
	s_cbranch_vccnz .LBB72_36
; %bb.35:
	v_cmp_eq_u32_e32 vcc, 1, v0
	v_cndmask_b32_e32 v84, v35, v37, vcc
	v_cmp_eq_u32_e64 s[4:5], 2, v0
	v_cndmask_b32_e64 v84, v84, v39, s[4:5]
	v_cmp_eq_u32_e64 s[6:7], 3, v0
	v_cndmask_b32_e64 v84, v84, v41, s[6:7]
	;; [unrolled: 2-line block ×7, first 2 shown]
	v_cndmask_b32_e32 v84, v34, v36, vcc
	v_cndmask_b32_e64 v84, v84, v38, s[4:5]
	v_cndmask_b32_e64 v84, v84, v40, s[6:7]
	;; [unrolled: 1-line block ×3, first 2 shown]
	ds_read_b64 v[88:89], v87
	v_cndmask_b32_e64 v84, v84, v44, s[10:11]
	v_cndmask_b32_e64 v84, v84, v46, s[12:13]
	;; [unrolled: 1-line block ×4, first 2 shown]
	s_waitcnt lgkmcnt(0)
	v_mul_f64 v[84:85], v[84:85], v[88:89]
	s_cbranch_execz .LBB72_37
	s_branch .LBB72_38
.LBB72_36:
                                        ; implicit-def: $vgpr84_vgpr85
.LBB72_37:
	ds_read_b64 v[84:85], v87
.LBB72_38:
	s_and_saveexec_b64 s[6:7], s[0:1]
	s_cbranch_execz .LBB72_48
; %bb.39:
	v_add_u32_e32 v86, -6, v0
	v_add_u32_e32 v89, -5, v0
	v_cmp_lt_u32_e32 vcc, 6, v86
	v_mov_b32_e32 v88, 5
	s_and_saveexec_b64 s[0:1], vcc
	s_cbranch_execz .LBB72_43
; %bb.40:
	v_and_b32_e32 v86, -8, v89
	v_sub_u32_e32 v86, 0, v86
	s_mov_b64 s[4:5], 12
	s_movk_i32 s10, 0x78
	s_mov_b64 s[8:9], 0
.LBB72_41:                              ; =>This Inner Loop Header: Depth=1
	s_lshl_b32 s11, s4, 1
	s_add_i32 s12, s11, -13
	v_mov_b32_e32 v104, s10
	s_add_i32 s13, s11, -14
	s_set_gpr_idx_on s12, gpr_idx(SRC0)
	v_mov_b32_e32 v99, v34
	s_set_gpr_idx_off
	s_add_i32 s14, s11, -11
	s_set_gpr_idx_on s13, gpr_idx(SRC0)
	v_mov_b32_e32 v98, v34
	s_set_gpr_idx_off
	ds_read2_b64 v[90:93], v104 offset1:1
	s_add_i32 s15, s11, -12
	s_set_gpr_idx_on s14, gpr_idx(SRC0)
	v_mov_b32_e32 v101, v34
	s_set_gpr_idx_off
	s_add_i32 s16, s11, -9
	s_set_gpr_idx_on s15, gpr_idx(SRC0)
	v_mov_b32_e32 v100, v34
	s_set_gpr_idx_off
	;; [unrolled: 4-line block ×4, first 2 shown]
	ds_read2_b64 v[94:97], v104 offset0:2 offset1:3
	s_add_i32 s23, s11, -8
	s_waitcnt lgkmcnt(1)
	v_fmac_f64_e32 v[84:85], v[98:99], v[90:91]
	s_set_gpr_idx_on s22, gpr_idx(SRC0)
	v_mov_b32_e32 v99, v34
	s_set_gpr_idx_off
	s_add_i32 s24, s11, -5
	v_fmac_f64_e32 v[84:85], v[100:101], v[92:93]
	s_set_gpr_idx_on s23, gpr_idx(SRC0)
	v_mov_b32_e32 v98, v34
	s_set_gpr_idx_off
	s_add_i32 s25, s11, -6
	s_set_gpr_idx_on s24, gpr_idx(SRC0)
	v_mov_b32_e32 v101, v34
	s_set_gpr_idx_off
	s_add_i32 s26, s11, -3
	;; [unrolled: 4-line block ×3, first 2 shown]
	ds_read2_b64 v[90:93], v104 offset0:4 offset1:5
	s_waitcnt lgkmcnt(1)
	v_fmac_f64_e32 v[84:85], v[102:103], v[94:95]
	s_set_gpr_idx_on s26, gpr_idx(SRC0)
	v_mov_b32_e32 v103, v34
	s_set_gpr_idx_off
	s_add_i32 s28, s11, -1
	v_fmac_f64_e32 v[84:85], v[98:99], v[96:97]
	s_set_gpr_idx_on s27, gpr_idx(SRC0)
	v_mov_b32_e32 v102, v34
	s_set_gpr_idx_off
	s_add_i32 s29, s11, -2
	s_set_gpr_idx_on s28, gpr_idx(SRC0)
	v_mov_b32_e32 v99, v34
	s_set_gpr_idx_off
	s_set_gpr_idx_on s29, gpr_idx(SRC0)
	v_mov_b32_e32 v98, v34
	s_set_gpr_idx_off
	ds_read2_b64 v[94:97], v104 offset0:6 offset1:7
	s_add_u32 s4, s4, 8
	s_waitcnt lgkmcnt(1)
	v_fmac_f64_e32 v[84:85], v[100:101], v[90:91]
	s_set_gpr_idx_on s11, gpr_idx(SRC0)
	v_mov_b32_e32 v91, v35
	s_set_gpr_idx_off
	v_add_u32_e32 v88, s4, v86
	v_fmac_f64_e32 v[84:85], v[102:103], v[92:93]
	s_set_gpr_idx_on s11, gpr_idx(SRC0)
	v_mov_b32_e32 v90, v34
	s_set_gpr_idx_off
	s_addc_u32 s5, s5, 0
	s_add_i32 s10, s10, 64
	s_add_i32 s12, s4, -7
	v_cmp_eq_u32_e32 vcc, 12, v88
	s_waitcnt lgkmcnt(0)
	v_fmac_f64_e32 v[84:85], v[98:99], v[94:95]
	v_mov_b32_e32 v88, s12
	s_or_b64 s[8:9], vcc, s[8:9]
	v_fmac_f64_e32 v[84:85], v[90:91], v[96:97]
	s_andn2_b64 exec, exec, s[8:9]
	s_cbranch_execnz .LBB72_41
; %bb.42:
	s_or_b64 exec, exec, s[8:9]
.LBB72_43:
	s_or_b64 exec, exec, s[0:1]
	v_and_b32_e32 v52, 7, v89
	v_cmp_ne_u32_e32 vcc, 0, v52
	s_and_saveexec_b64 s[8:9], vcc
	s_cbranch_execz .LBB72_47
; %bb.44:
	v_mov_b32_e32 v53, 0x50
	v_lshl_add_u32 v54, v88, 3, v53
	v_mov_b32_e32 v53, 0
	s_mov_b64 s[10:11], 0
.LBB72_45:                              ; =>This Inner Loop Header: Depth=1
	v_cmp_eq_u32_e32 vcc, 1, v88
	v_cndmask_b32_e32 v55, v35, v37, vcc
	v_add_u32_e32 v52, -1, v52
	v_cmp_eq_u32_e64 s[0:1], 2, v88
	v_cndmask_b32_e64 v55, v55, v39, s[0:1]
	v_cndmask_b32_e32 v58, v34, v36, vcc
	v_cmp_eq_u32_e32 vcc, 0, v52
	v_cmp_eq_u32_e64 s[4:5], 3, v88
	v_cndmask_b32_e64 v55, v55, v41, s[4:5]
	v_cndmask_b32_e64 v58, v58, v38, s[0:1]
	s_or_b64 s[10:11], vcc, s[10:11]
	v_cmp_eq_u32_e32 vcc, 4, v88
	v_cndmask_b32_e32 v55, v55, v43, vcc
	v_cndmask_b32_e64 v58, v58, v40, s[4:5]
	v_cmp_eq_u32_e64 s[0:1], 5, v88
	ds_read_b64 v[56:57], v54
	v_cndmask_b32_e64 v55, v55, v45, s[0:1]
	v_cndmask_b32_e32 v58, v58, v42, vcc
	v_cmp_eq_u32_e32 vcc, 6, v88
	v_cndmask_b32_e32 v55, v55, v47, vcc
	v_cndmask_b32_e64 v58, v58, v44, s[0:1]
	v_cmp_eq_u32_e64 s[0:1], 7, v88
	v_cndmask_b32_e64 v55, v55, v49, s[0:1]
	v_cmp_eq_u32_e64 s[4:5], 8, v88
	v_cndmask_b32_e32 v58, v58, v46, vcc
	v_cndmask_b32_e64 v59, v55, v51, s[4:5]
	v_cndmask_b32_e64 v55, v58, v48, s[0:1]
	v_add_co_u32_e32 v88, vcc, 1, v88
	v_cndmask_b32_e64 v58, v55, v50, s[4:5]
	v_add_u32_e32 v54, 8, v54
	v_addc_co_u32_e32 v53, vcc, 0, v53, vcc
	s_waitcnt lgkmcnt(0)
	v_fmac_f64_e32 v[84:85], v[58:59], v[56:57]
	s_andn2_b64 exec, exec, s[10:11]
	s_cbranch_execnz .LBB72_45
; %bb.46:
	s_or_b64 exec, exec, s[10:11]
.LBB72_47:
	s_or_b64 exec, exec, s[8:9]
.LBB72_48:
	s_or_b64 exec, exec, s[6:7]
	v_mov_b32_e32 v42, 0
	ds_read_b64 v[42:43], v42 offset:32
	s_waitcnt lgkmcnt(0)
	v_mul_f64 v[42:43], v[84:85], v[42:43]
.LBB72_49:
	s_or_b64 exec, exec, s[20:21]
	v_cmp_lt_u32_e64 s[0:1], 3, v0
	ds_write_b64 v87, v[40:41]
	s_waitcnt lgkmcnt(0)
	; wave barrier
	s_waitcnt lgkmcnt(0)
	s_and_saveexec_b64 s[20:21], s[0:1]
	s_cbranch_execz .LBB72_65
; %bb.50:
	s_andn2_b64 vcc, exec, s[18:19]
	s_cbranch_vccnz .LBB72_52
; %bb.51:
	v_cmp_eq_u32_e32 vcc, 1, v0
	v_cndmask_b32_e32 v84, v35, v37, vcc
	v_cmp_eq_u32_e64 s[4:5], 2, v0
	v_cndmask_b32_e64 v84, v84, v39, s[4:5]
	v_cmp_eq_u32_e64 s[6:7], 3, v0
	v_cndmask_b32_e64 v84, v84, v41, s[6:7]
	;; [unrolled: 2-line block ×7, first 2 shown]
	v_cndmask_b32_e32 v84, v34, v36, vcc
	v_cndmask_b32_e64 v84, v84, v38, s[4:5]
	v_cndmask_b32_e64 v84, v84, v40, s[6:7]
	;; [unrolled: 1-line block ×3, first 2 shown]
	ds_read_b64 v[88:89], v87
	v_cndmask_b32_e64 v84, v84, v44, s[10:11]
	v_cndmask_b32_e64 v84, v84, v46, s[12:13]
	;; [unrolled: 1-line block ×4, first 2 shown]
	s_waitcnt lgkmcnt(0)
	v_mul_f64 v[84:85], v[84:85], v[88:89]
	s_cbranch_execz .LBB72_53
	s_branch .LBB72_54
.LBB72_52:
                                        ; implicit-def: $vgpr84_vgpr85
.LBB72_53:
	ds_read_b64 v[84:85], v87
.LBB72_54:
	s_and_saveexec_b64 s[6:7], s[2:3]
	s_cbranch_execz .LBB72_64
; %bb.55:
	v_add_u32_e32 v86, -5, v0
	v_add_u32_e32 v89, -4, v0
	v_cmp_lt_u32_e32 vcc, 6, v86
	v_mov_b32_e32 v88, 4
	s_and_saveexec_b64 s[2:3], vcc
	s_cbranch_execz .LBB72_59
; %bb.56:
	v_and_b32_e32 v86, -8, v89
	v_sub_u32_e32 v86, 0, v86
	s_mov_b64 s[4:5], 5
	s_movk_i32 s10, 0x70
	s_mov_b64 s[8:9], 0
.LBB72_57:                              ; =>This Inner Loop Header: Depth=1
	s_lshl_b32 s11, s4, 1
	s_add_i32 s12, s11, -1
	s_add_i32 s13, s11, -2
	s_set_gpr_idx_on s12, gpr_idx(SRC0)
	v_mov_b32_e32 v107, v34
	s_set_gpr_idx_off
	v_mov_b32_e32 v88, s10
	s_set_gpr_idx_on s13, gpr_idx(SRC0)
	v_mov_b32_e32 v106, v34
	s_set_gpr_idx_off
	ds_read_b128 v[90:93], v88
	ds_read_b128 v[94:97], v88 offset:16
	ds_read_b128 v[98:101], v88 offset:32
	;; [unrolled: 1-line block ×3, first 2 shown]
	s_set_gpr_idx_on s11, gpr_idx(SRC0)
	v_mov_b32_e32 v109, v35
	s_add_i32 s14, s11, 3
	v_mov_b32_e32 v108, v34
	s_set_gpr_idx_off
	s_add_i32 s15, s11, 2
	s_set_gpr_idx_on s14, gpr_idx(SRC0)
	v_mov_b32_e32 v111, v34
	s_set_gpr_idx_off
	s_add_i32 s16, s11, 5
	s_set_gpr_idx_on s15, gpr_idx(SRC0)
	v_mov_b32_e32 v110, v34
	s_set_gpr_idx_off
	s_add_i32 s17, s11, 4
	s_waitcnt lgkmcnt(3)
	v_fmac_f64_e32 v[84:85], v[106:107], v[90:91]
	s_set_gpr_idx_on s16, gpr_idx(SRC0)
	v_mov_b32_e32 v91, v34
	s_set_gpr_idx_off
	s_add_i32 s22, s11, 7
	v_fmac_f64_e32 v[84:85], v[108:109], v[92:93]
	s_set_gpr_idx_on s17, gpr_idx(SRC0)
	v_mov_b32_e32 v90, v34
	s_set_gpr_idx_off
	s_add_i32 s23, s11, 6
	s_waitcnt lgkmcnt(2)
	v_fmac_f64_e32 v[84:85], v[110:111], v[94:95]
	s_set_gpr_idx_on s22, gpr_idx(SRC0)
	v_mov_b32_e32 v93, v34
	s_set_gpr_idx_off
	s_add_i32 s24, s11, 9
	v_fmac_f64_e32 v[84:85], v[90:91], v[96:97]
	s_set_gpr_idx_on s23, gpr_idx(SRC0)
	v_mov_b32_e32 v92, v34
	s_set_gpr_idx_off
	s_add_i32 s25, s11, 8
	s_waitcnt lgkmcnt(1)
	v_fmac_f64_e32 v[84:85], v[92:93], v[98:99]
	s_set_gpr_idx_on s24, gpr_idx(SRC0)
	v_mov_b32_e32 v91, v34
	s_set_gpr_idx_off
	s_add_i32 s26, s11, 11
	s_set_gpr_idx_on s25, gpr_idx(SRC0)
	v_mov_b32_e32 v90, v34
	s_set_gpr_idx_off
	s_add_i32 s27, s11, 10
	s_add_i32 s28, s11, 13
	;; [unrolled: 1-line block ×3, first 2 shown]
	v_fmac_f64_e32 v[84:85], v[90:91], v[100:101]
	s_set_gpr_idx_on s26, gpr_idx(SRC0)
	v_mov_b32_e32 v91, v34
	s_set_gpr_idx_off
	s_add_u32 s4, s4, 8
	s_set_gpr_idx_on s27, gpr_idx(SRC0)
	v_mov_b32_e32 v90, v34
	s_set_gpr_idx_off
	v_add_u32_e32 v88, s4, v86
	s_waitcnt lgkmcnt(0)
	v_fmac_f64_e32 v[84:85], v[90:91], v[102:103]
	s_set_gpr_idx_on s28, gpr_idx(SRC0)
	v_mov_b32_e32 v91, v34
	s_set_gpr_idx_off
	s_addc_u32 s5, s5, 0
	s_add_i32 s10, s10, 64
	s_add_i32 s12, s4, -1
	v_cmp_eq_u32_e32 vcc, 5, v88
	s_set_gpr_idx_on s29, gpr_idx(SRC0)
	v_mov_b32_e32 v90, v34
	s_set_gpr_idx_off
	v_mov_b32_e32 v88, s12
	s_or_b64 s[8:9], vcc, s[8:9]
	v_fmac_f64_e32 v[84:85], v[90:91], v[104:105]
	s_andn2_b64 exec, exec, s[8:9]
	s_cbranch_execnz .LBB72_57
; %bb.58:
	s_or_b64 exec, exec, s[8:9]
.LBB72_59:
	s_or_b64 exec, exec, s[2:3]
	v_and_b32_e32 v52, 7, v89
	v_cmp_ne_u32_e32 vcc, 0, v52
	s_and_saveexec_b64 s[8:9], vcc
	s_cbranch_execz .LBB72_63
; %bb.60:
	v_mov_b32_e32 v53, 0x50
	v_lshl_add_u32 v54, v88, 3, v53
	v_mov_b32_e32 v53, 0
	s_mov_b64 s[10:11], 0
.LBB72_61:                              ; =>This Inner Loop Header: Depth=1
	v_cmp_eq_u32_e32 vcc, 1, v88
	v_cndmask_b32_e32 v55, v35, v37, vcc
	v_add_u32_e32 v52, -1, v52
	v_cmp_eq_u32_e64 s[2:3], 2, v88
	v_cndmask_b32_e64 v55, v55, v39, s[2:3]
	v_cndmask_b32_e32 v58, v34, v36, vcc
	v_cmp_eq_u32_e32 vcc, 0, v52
	v_cmp_eq_u32_e64 s[4:5], 3, v88
	v_cndmask_b32_e64 v55, v55, v41, s[4:5]
	v_cndmask_b32_e64 v58, v58, v38, s[2:3]
	s_or_b64 s[10:11], vcc, s[10:11]
	v_cmp_eq_u32_e32 vcc, 4, v88
	v_cndmask_b32_e32 v55, v55, v43, vcc
	v_cndmask_b32_e64 v58, v58, v40, s[4:5]
	v_cmp_eq_u32_e64 s[2:3], 5, v88
	ds_read_b64 v[56:57], v54
	v_cndmask_b32_e64 v55, v55, v45, s[2:3]
	v_cndmask_b32_e32 v58, v58, v42, vcc
	v_cmp_eq_u32_e32 vcc, 6, v88
	v_cndmask_b32_e32 v55, v55, v47, vcc
	v_cndmask_b32_e64 v58, v58, v44, s[2:3]
	v_cmp_eq_u32_e64 s[2:3], 7, v88
	v_cndmask_b32_e64 v55, v55, v49, s[2:3]
	v_cmp_eq_u32_e64 s[4:5], 8, v88
	v_cndmask_b32_e32 v58, v58, v46, vcc
	v_cndmask_b32_e64 v59, v55, v51, s[4:5]
	v_cndmask_b32_e64 v55, v58, v48, s[2:3]
	v_add_co_u32_e32 v88, vcc, 1, v88
	v_cndmask_b32_e64 v58, v55, v50, s[4:5]
	v_add_u32_e32 v54, 8, v54
	v_addc_co_u32_e32 v53, vcc, 0, v53, vcc
	s_waitcnt lgkmcnt(0)
	v_fmac_f64_e32 v[84:85], v[58:59], v[56:57]
	s_andn2_b64 exec, exec, s[10:11]
	s_cbranch_execnz .LBB72_61
; %bb.62:
	s_or_b64 exec, exec, s[10:11]
.LBB72_63:
	s_or_b64 exec, exec, s[8:9]
.LBB72_64:
	s_or_b64 exec, exec, s[6:7]
	v_mov_b32_e32 v40, 0
	ds_read_b64 v[40:41], v40 offset:24
	s_waitcnt lgkmcnt(0)
	v_mul_f64 v[40:41], v[84:85], v[40:41]
.LBB72_65:
	s_or_b64 exec, exec, s[20:21]
	v_cmp_lt_u32_e64 s[2:3], 2, v0
	ds_write_b64 v87, v[38:39]
	s_waitcnt lgkmcnt(0)
	; wave barrier
	s_waitcnt lgkmcnt(0)
	s_and_saveexec_b64 s[20:21], s[2:3]
	s_cbranch_execz .LBB72_81
; %bb.66:
	s_andn2_b64 vcc, exec, s[18:19]
	s_cbranch_vccnz .LBB72_68
; %bb.67:
	v_cmp_eq_u32_e32 vcc, 1, v0
	v_cndmask_b32_e32 v84, v35, v37, vcc
	v_cmp_eq_u32_e64 s[4:5], 2, v0
	v_cndmask_b32_e64 v84, v84, v39, s[4:5]
	v_cmp_eq_u32_e64 s[6:7], 3, v0
	v_cndmask_b32_e64 v84, v84, v41, s[6:7]
	v_cmp_eq_u32_e64 s[8:9], 4, v0
	v_cndmask_b32_e64 v84, v84, v43, s[8:9]
	v_cmp_eq_u32_e64 s[10:11], 5, v0
	v_cndmask_b32_e64 v84, v84, v45, s[10:11]
	v_cmp_eq_u32_e64 s[12:13], 6, v0
	v_cndmask_b32_e64 v84, v84, v47, s[12:13]
	v_cmp_eq_u32_e64 s[14:15], 7, v0
	v_cndmask_b32_e64 v84, v84, v49, s[14:15]
	v_cmp_eq_u32_e64 s[16:17], 8, v0
	v_cndmask_b32_e64 v85, v84, v51, s[16:17]
	v_cndmask_b32_e32 v84, v34, v36, vcc
	v_cndmask_b32_e64 v84, v84, v38, s[4:5]
	v_cndmask_b32_e64 v84, v84, v40, s[6:7]
	;; [unrolled: 1-line block ×3, first 2 shown]
	ds_read_b64 v[88:89], v87
	v_cndmask_b32_e64 v84, v84, v44, s[10:11]
	v_cndmask_b32_e64 v84, v84, v46, s[12:13]
	;; [unrolled: 1-line block ×4, first 2 shown]
	s_waitcnt lgkmcnt(0)
	v_mul_f64 v[84:85], v[84:85], v[88:89]
	s_cbranch_execz .LBB72_69
	s_branch .LBB72_70
.LBB72_68:
                                        ; implicit-def: $vgpr84_vgpr85
.LBB72_69:
	ds_read_b64 v[84:85], v87
.LBB72_70:
	s_and_saveexec_b64 s[6:7], s[0:1]
	s_cbranch_execz .LBB72_80
; %bb.71:
	v_add_u32_e32 v86, -4, v0
	v_add_u32_e32 v89, -3, v0
	v_cmp_lt_u32_e32 vcc, 6, v86
	v_mov_b32_e32 v88, 3
	s_and_saveexec_b64 s[0:1], vcc
	s_cbranch_execz .LBB72_75
; %bb.72:
	v_and_b32_e32 v86, -8, v89
	v_sub_u32_e32 v86, 0, v86
	s_mov_b64 s[4:5], 10
	s_movk_i32 s10, 0x68
	s_mov_b64 s[8:9], 0
.LBB72_73:                              ; =>This Inner Loop Header: Depth=1
	s_lshl_b32 s11, s4, 1
	s_add_i32 s12, s11, -13
	v_mov_b32_e32 v104, s10
	s_add_i32 s13, s11, -14
	s_set_gpr_idx_on s12, gpr_idx(SRC0)
	v_mov_b32_e32 v99, v34
	s_set_gpr_idx_off
	s_add_i32 s14, s11, -11
	s_set_gpr_idx_on s13, gpr_idx(SRC0)
	v_mov_b32_e32 v98, v34
	s_set_gpr_idx_off
	ds_read2_b64 v[90:93], v104 offset1:1
	s_add_i32 s15, s11, -12
	s_set_gpr_idx_on s14, gpr_idx(SRC0)
	v_mov_b32_e32 v101, v34
	s_set_gpr_idx_off
	s_add_i32 s16, s11, -9
	s_set_gpr_idx_on s15, gpr_idx(SRC0)
	v_mov_b32_e32 v100, v34
	s_set_gpr_idx_off
	;; [unrolled: 4-line block ×4, first 2 shown]
	ds_read2_b64 v[94:97], v104 offset0:2 offset1:3
	s_add_i32 s23, s11, -8
	s_waitcnt lgkmcnt(1)
	v_fmac_f64_e32 v[84:85], v[98:99], v[90:91]
	s_set_gpr_idx_on s22, gpr_idx(SRC0)
	v_mov_b32_e32 v99, v34
	s_set_gpr_idx_off
	s_add_i32 s24, s11, -5
	v_fmac_f64_e32 v[84:85], v[100:101], v[92:93]
	s_set_gpr_idx_on s23, gpr_idx(SRC0)
	v_mov_b32_e32 v98, v34
	s_set_gpr_idx_off
	s_add_i32 s25, s11, -6
	s_set_gpr_idx_on s24, gpr_idx(SRC0)
	v_mov_b32_e32 v101, v34
	s_set_gpr_idx_off
	s_add_i32 s26, s11, -3
	;; [unrolled: 4-line block ×3, first 2 shown]
	ds_read2_b64 v[90:93], v104 offset0:4 offset1:5
	s_waitcnt lgkmcnt(1)
	v_fmac_f64_e32 v[84:85], v[102:103], v[94:95]
	s_set_gpr_idx_on s26, gpr_idx(SRC0)
	v_mov_b32_e32 v103, v34
	s_set_gpr_idx_off
	s_add_i32 s28, s11, -1
	v_fmac_f64_e32 v[84:85], v[98:99], v[96:97]
	s_set_gpr_idx_on s27, gpr_idx(SRC0)
	v_mov_b32_e32 v102, v34
	s_set_gpr_idx_off
	s_add_i32 s29, s11, -2
	s_set_gpr_idx_on s28, gpr_idx(SRC0)
	v_mov_b32_e32 v99, v34
	s_set_gpr_idx_off
	s_set_gpr_idx_on s29, gpr_idx(SRC0)
	v_mov_b32_e32 v98, v34
	s_set_gpr_idx_off
	ds_read2_b64 v[94:97], v104 offset0:6 offset1:7
	s_add_u32 s4, s4, 8
	s_waitcnt lgkmcnt(1)
	v_fmac_f64_e32 v[84:85], v[100:101], v[90:91]
	s_set_gpr_idx_on s11, gpr_idx(SRC0)
	v_mov_b32_e32 v91, v35
	s_set_gpr_idx_off
	v_add_u32_e32 v88, s4, v86
	v_fmac_f64_e32 v[84:85], v[102:103], v[92:93]
	s_set_gpr_idx_on s11, gpr_idx(SRC0)
	v_mov_b32_e32 v90, v34
	s_set_gpr_idx_off
	s_addc_u32 s5, s5, 0
	s_add_i32 s10, s10, 64
	s_add_i32 s12, s4, -7
	v_cmp_eq_u32_e32 vcc, 10, v88
	s_waitcnt lgkmcnt(0)
	v_fmac_f64_e32 v[84:85], v[98:99], v[94:95]
	v_mov_b32_e32 v88, s12
	s_or_b64 s[8:9], vcc, s[8:9]
	v_fmac_f64_e32 v[84:85], v[90:91], v[96:97]
	s_andn2_b64 exec, exec, s[8:9]
	s_cbranch_execnz .LBB72_73
; %bb.74:
	s_or_b64 exec, exec, s[8:9]
.LBB72_75:
	s_or_b64 exec, exec, s[0:1]
	v_and_b32_e32 v52, 7, v89
	v_cmp_ne_u32_e32 vcc, 0, v52
	s_and_saveexec_b64 s[8:9], vcc
	s_cbranch_execz .LBB72_79
; %bb.76:
	v_mov_b32_e32 v53, 0x50
	v_lshl_add_u32 v54, v88, 3, v53
	v_mov_b32_e32 v53, 0
	s_mov_b64 s[10:11], 0
.LBB72_77:                              ; =>This Inner Loop Header: Depth=1
	v_cmp_eq_u32_e32 vcc, 1, v88
	v_cndmask_b32_e32 v55, v35, v37, vcc
	v_add_u32_e32 v52, -1, v52
	v_cmp_eq_u32_e64 s[0:1], 2, v88
	v_cndmask_b32_e64 v55, v55, v39, s[0:1]
	v_cndmask_b32_e32 v58, v34, v36, vcc
	v_cmp_eq_u32_e32 vcc, 0, v52
	v_cmp_eq_u32_e64 s[4:5], 3, v88
	v_cndmask_b32_e64 v55, v55, v41, s[4:5]
	v_cndmask_b32_e64 v58, v58, v38, s[0:1]
	s_or_b64 s[10:11], vcc, s[10:11]
	v_cmp_eq_u32_e32 vcc, 4, v88
	v_cndmask_b32_e32 v55, v55, v43, vcc
	v_cndmask_b32_e64 v58, v58, v40, s[4:5]
	v_cmp_eq_u32_e64 s[0:1], 5, v88
	ds_read_b64 v[56:57], v54
	v_cndmask_b32_e64 v55, v55, v45, s[0:1]
	v_cndmask_b32_e32 v58, v58, v42, vcc
	v_cmp_eq_u32_e32 vcc, 6, v88
	v_cndmask_b32_e32 v55, v55, v47, vcc
	v_cndmask_b32_e64 v58, v58, v44, s[0:1]
	v_cmp_eq_u32_e64 s[0:1], 7, v88
	v_cndmask_b32_e64 v55, v55, v49, s[0:1]
	v_cmp_eq_u32_e64 s[4:5], 8, v88
	v_cndmask_b32_e32 v58, v58, v46, vcc
	v_cndmask_b32_e64 v59, v55, v51, s[4:5]
	v_cndmask_b32_e64 v55, v58, v48, s[0:1]
	v_add_co_u32_e32 v88, vcc, 1, v88
	v_cndmask_b32_e64 v58, v55, v50, s[4:5]
	v_add_u32_e32 v54, 8, v54
	v_addc_co_u32_e32 v53, vcc, 0, v53, vcc
	s_waitcnt lgkmcnt(0)
	v_fmac_f64_e32 v[84:85], v[58:59], v[56:57]
	s_andn2_b64 exec, exec, s[10:11]
	s_cbranch_execnz .LBB72_77
; %bb.78:
	s_or_b64 exec, exec, s[10:11]
.LBB72_79:
	s_or_b64 exec, exec, s[8:9]
.LBB72_80:
	s_or_b64 exec, exec, s[6:7]
	v_mov_b32_e32 v38, 0
	ds_read_b64 v[38:39], v38 offset:16
	s_waitcnt lgkmcnt(0)
	v_mul_f64 v[38:39], v[84:85], v[38:39]
.LBB72_81:
	s_or_b64 exec, exec, s[20:21]
	v_cmp_lt_u32_e64 s[0:1], 1, v0
	ds_write_b64 v87, v[36:37]
	s_waitcnt lgkmcnt(0)
	; wave barrier
	s_waitcnt lgkmcnt(0)
	s_and_saveexec_b64 s[20:21], s[0:1]
	s_cbranch_execz .LBB72_97
; %bb.82:
	s_andn2_b64 vcc, exec, s[18:19]
	s_cbranch_vccnz .LBB72_84
; %bb.83:
	v_cmp_eq_u32_e32 vcc, 1, v0
	v_cndmask_b32_e32 v84, v35, v37, vcc
	v_cmp_eq_u32_e64 s[4:5], 2, v0
	v_cndmask_b32_e64 v84, v84, v39, s[4:5]
	v_cmp_eq_u32_e64 s[6:7], 3, v0
	v_cndmask_b32_e64 v84, v84, v41, s[6:7]
	;; [unrolled: 2-line block ×7, first 2 shown]
	v_cndmask_b32_e32 v84, v34, v36, vcc
	v_cndmask_b32_e64 v84, v84, v38, s[4:5]
	v_cndmask_b32_e64 v84, v84, v40, s[6:7]
	;; [unrolled: 1-line block ×3, first 2 shown]
	ds_read_b64 v[88:89], v87
	v_cndmask_b32_e64 v84, v84, v44, s[10:11]
	v_cndmask_b32_e64 v84, v84, v46, s[12:13]
	;; [unrolled: 1-line block ×4, first 2 shown]
	s_waitcnt lgkmcnt(0)
	v_mul_f64 v[84:85], v[84:85], v[88:89]
	s_cbranch_execz .LBB72_85
	s_branch .LBB72_86
.LBB72_84:
                                        ; implicit-def: $vgpr84_vgpr85
.LBB72_85:
	ds_read_b64 v[84:85], v87
.LBB72_86:
	s_and_saveexec_b64 s[6:7], s[2:3]
	s_cbranch_execz .LBB72_96
; %bb.87:
	v_add_u32_e32 v86, -3, v0
	v_add_u32_e32 v89, -2, v0
	v_cmp_lt_u32_e32 vcc, 6, v86
	v_mov_b32_e32 v88, 2
	s_and_saveexec_b64 s[2:3], vcc
	s_cbranch_execz .LBB72_91
; %bb.88:
	v_and_b32_e32 v86, -8, v89
	v_sub_u32_e32 v86, 0, v86
	s_mov_b64 s[4:5], 9
	s_movk_i32 s10, 0x60
	s_mov_b64 s[8:9], 0
.LBB72_89:                              ; =>This Inner Loop Header: Depth=1
	s_lshl_b32 s11, s4, 1
	s_add_i32 s12, s11, -13
	s_add_i32 s13, s11, -14
	s_set_gpr_idx_on s12, gpr_idx(SRC0)
	v_mov_b32_e32 v107, v34
	s_set_gpr_idx_off
	v_mov_b32_e32 v88, s10
	s_add_i32 s14, s11, -11
	s_set_gpr_idx_on s13, gpr_idx(SRC0)
	v_mov_b32_e32 v106, v34
	s_set_gpr_idx_off
	s_add_i32 s15, s11, -12
	ds_read_b128 v[90:93], v88
	ds_read_b128 v[94:97], v88 offset:16
	ds_read_b128 v[98:101], v88 offset:32
	;; [unrolled: 1-line block ×3, first 2 shown]
	s_set_gpr_idx_on s14, gpr_idx(SRC0)
	v_mov_b32_e32 v109, v34
	s_set_gpr_idx_off
	s_add_i32 s16, s11, -9
	s_set_gpr_idx_on s15, gpr_idx(SRC0)
	v_mov_b32_e32 v108, v34
	s_set_gpr_idx_off
	s_add_i32 s17, s11, -10
	;; [unrolled: 4-line block ×4, first 2 shown]
	s_waitcnt lgkmcnt(3)
	v_fmac_f64_e32 v[84:85], v[106:107], v[90:91]
	s_set_gpr_idx_on s22, gpr_idx(SRC0)
	v_mov_b32_e32 v91, v34
	s_set_gpr_idx_off
	s_add_i32 s24, s11, -5
	v_fmac_f64_e32 v[84:85], v[108:109], v[92:93]
	s_set_gpr_idx_on s23, gpr_idx(SRC0)
	v_mov_b32_e32 v90, v34
	s_set_gpr_idx_off
	s_add_i32 s25, s11, -6
	s_waitcnt lgkmcnt(2)
	v_fmac_f64_e32 v[84:85], v[110:111], v[94:95]
	s_set_gpr_idx_on s24, gpr_idx(SRC0)
	v_mov_b32_e32 v93, v34
	s_set_gpr_idx_off
	s_add_i32 s26, s11, -3
	v_fmac_f64_e32 v[84:85], v[90:91], v[96:97]
	s_set_gpr_idx_on s25, gpr_idx(SRC0)
	v_mov_b32_e32 v92, v34
	s_set_gpr_idx_off
	s_add_i32 s27, s11, -4
	s_waitcnt lgkmcnt(1)
	v_fmac_f64_e32 v[84:85], v[92:93], v[98:99]
	s_set_gpr_idx_on s26, gpr_idx(SRC0)
	v_mov_b32_e32 v91, v34
	s_set_gpr_idx_off
	s_add_i32 s28, s11, -1
	s_set_gpr_idx_on s27, gpr_idx(SRC0)
	v_mov_b32_e32 v90, v34
	s_set_gpr_idx_off
	s_add_i32 s29, s11, -2
	v_fmac_f64_e32 v[84:85], v[90:91], v[100:101]
	s_set_gpr_idx_on s28, gpr_idx(SRC0)
	v_mov_b32_e32 v91, v34
	s_set_gpr_idx_off
	s_add_u32 s4, s4, 8
	s_set_gpr_idx_on s29, gpr_idx(SRC0)
	v_mov_b32_e32 v90, v34
	s_set_gpr_idx_off
	v_add_u32_e32 v88, s4, v86
	s_waitcnt lgkmcnt(0)
	v_fmac_f64_e32 v[84:85], v[90:91], v[102:103]
	s_set_gpr_idx_on s11, gpr_idx(SRC0)
	v_mov_b32_e32 v91, v35
	s_set_gpr_idx_off
	s_addc_u32 s5, s5, 0
	s_add_i32 s10, s10, 64
	s_add_i32 s12, s4, -7
	v_cmp_eq_u32_e32 vcc, 9, v88
	s_set_gpr_idx_on s11, gpr_idx(SRC0)
	v_mov_b32_e32 v90, v34
	s_set_gpr_idx_off
	v_mov_b32_e32 v88, s12
	s_or_b64 s[8:9], vcc, s[8:9]
	v_fmac_f64_e32 v[84:85], v[90:91], v[104:105]
	s_andn2_b64 exec, exec, s[8:9]
	s_cbranch_execnz .LBB72_89
; %bb.90:
	s_or_b64 exec, exec, s[8:9]
.LBB72_91:
	s_or_b64 exec, exec, s[2:3]
	v_and_b32_e32 v52, 7, v89
	v_cmp_ne_u32_e32 vcc, 0, v52
	s_and_saveexec_b64 s[8:9], vcc
	s_cbranch_execz .LBB72_95
; %bb.92:
	v_mov_b32_e32 v53, 0x50
	v_lshl_add_u32 v54, v88, 3, v53
	v_mov_b32_e32 v53, 0
	s_mov_b64 s[10:11], 0
.LBB72_93:                              ; =>This Inner Loop Header: Depth=1
	v_cmp_eq_u32_e32 vcc, 1, v88
	v_cndmask_b32_e32 v55, v35, v37, vcc
	v_add_u32_e32 v52, -1, v52
	v_cmp_eq_u32_e64 s[2:3], 2, v88
	v_cndmask_b32_e64 v55, v55, v39, s[2:3]
	v_cndmask_b32_e32 v58, v34, v36, vcc
	v_cmp_eq_u32_e32 vcc, 0, v52
	v_cmp_eq_u32_e64 s[4:5], 3, v88
	v_cndmask_b32_e64 v55, v55, v41, s[4:5]
	v_cndmask_b32_e64 v58, v58, v38, s[2:3]
	s_or_b64 s[10:11], vcc, s[10:11]
	v_cmp_eq_u32_e32 vcc, 4, v88
	v_cndmask_b32_e32 v55, v55, v43, vcc
	v_cndmask_b32_e64 v58, v58, v40, s[4:5]
	v_cmp_eq_u32_e64 s[2:3], 5, v88
	ds_read_b64 v[56:57], v54
	v_cndmask_b32_e64 v55, v55, v45, s[2:3]
	v_cndmask_b32_e32 v58, v58, v42, vcc
	v_cmp_eq_u32_e32 vcc, 6, v88
	v_cndmask_b32_e32 v55, v55, v47, vcc
	v_cndmask_b32_e64 v58, v58, v44, s[2:3]
	v_cmp_eq_u32_e64 s[2:3], 7, v88
	v_cndmask_b32_e64 v55, v55, v49, s[2:3]
	v_cmp_eq_u32_e64 s[4:5], 8, v88
	v_cndmask_b32_e32 v58, v58, v46, vcc
	v_cndmask_b32_e64 v59, v55, v51, s[4:5]
	v_cndmask_b32_e64 v55, v58, v48, s[2:3]
	v_add_co_u32_e32 v88, vcc, 1, v88
	v_cndmask_b32_e64 v58, v55, v50, s[4:5]
	v_add_u32_e32 v54, 8, v54
	v_addc_co_u32_e32 v53, vcc, 0, v53, vcc
	s_waitcnt lgkmcnt(0)
	v_fmac_f64_e32 v[84:85], v[58:59], v[56:57]
	s_andn2_b64 exec, exec, s[10:11]
	s_cbranch_execnz .LBB72_93
; %bb.94:
	s_or_b64 exec, exec, s[10:11]
.LBB72_95:
	s_or_b64 exec, exec, s[8:9]
.LBB72_96:
	s_or_b64 exec, exec, s[6:7]
	v_mov_b32_e32 v36, 0
	ds_read_b64 v[36:37], v36 offset:8
	s_waitcnt lgkmcnt(0)
	v_mul_f64 v[36:37], v[84:85], v[36:37]
.LBB72_97:
	s_or_b64 exec, exec, s[20:21]
	v_cmp_ne_u32_e32 vcc, 0, v0
	ds_write_b64 v87, v[34:35]
	s_waitcnt lgkmcnt(0)
	; wave barrier
	s_waitcnt lgkmcnt(0)
	s_and_saveexec_b64 s[16:17], vcc
	s_cbranch_execz .LBB72_113
; %bb.98:
	s_andn2_b64 vcc, exec, s[18:19]
	s_cbranch_vccnz .LBB72_100
; %bb.99:
	v_cmp_eq_u32_e32 vcc, 1, v0
	v_cndmask_b32_e32 v84, v35, v37, vcc
	v_cmp_eq_u32_e64 s[2:3], 2, v0
	v_cndmask_b32_e64 v84, v84, v39, s[2:3]
	v_cmp_eq_u32_e64 s[4:5], 3, v0
	v_cndmask_b32_e64 v84, v84, v41, s[4:5]
	;; [unrolled: 2-line block ×7, first 2 shown]
	v_cndmask_b32_e32 v84, v34, v36, vcc
	v_cndmask_b32_e64 v84, v84, v38, s[2:3]
	v_cndmask_b32_e64 v84, v84, v40, s[4:5]
	;; [unrolled: 1-line block ×3, first 2 shown]
	ds_read_b64 v[88:89], v87
	v_cndmask_b32_e64 v84, v84, v44, s[8:9]
	v_cndmask_b32_e64 v84, v84, v46, s[10:11]
	v_cndmask_b32_e64 v84, v84, v48, s[12:13]
	v_cndmask_b32_e64 v84, v84, v50, s[14:15]
	s_waitcnt lgkmcnt(0)
	v_mul_f64 v[84:85], v[84:85], v[88:89]
	s_cbranch_execz .LBB72_101
	s_branch .LBB72_102
.LBB72_100:
                                        ; implicit-def: $vgpr84_vgpr85
.LBB72_101:
	ds_read_b64 v[84:85], v87
.LBB72_102:
	s_and_saveexec_b64 s[4:5], s[0:1]
	s_cbranch_execz .LBB72_112
; %bb.103:
	v_add_u32_e32 v86, -2, v0
	v_add_u32_e32 v89, -1, v0
	v_cmp_lt_u32_e32 vcc, 6, v86
	v_mov_b32_e32 v88, 1
	s_and_saveexec_b64 s[0:1], vcc
	s_cbranch_execz .LBB72_107
; %bb.104:
	v_and_b32_e32 v86, -8, v89
	v_sub_u32_e32 v86, 0, v86
	s_mov_b64 s[2:3], 8
	s_movk_i32 s8, 0x58
	s_mov_b64 s[6:7], 0
.LBB72_105:                             ; =>This Inner Loop Header: Depth=1
	s_lshl_b32 s9, s2, 1
	s_add_i32 s10, s9, -13
	v_mov_b32_e32 v104, s8
	s_add_i32 s11, s9, -14
	s_set_gpr_idx_on s10, gpr_idx(SRC0)
	v_mov_b32_e32 v99, v34
	s_set_gpr_idx_off
	s_add_i32 s12, s9, -11
	s_set_gpr_idx_on s11, gpr_idx(SRC0)
	v_mov_b32_e32 v98, v34
	s_set_gpr_idx_off
	ds_read2_b64 v[90:93], v104 offset1:1
	s_add_i32 s13, s9, -12
	s_set_gpr_idx_on s12, gpr_idx(SRC0)
	v_mov_b32_e32 v101, v34
	s_set_gpr_idx_off
	s_add_i32 s14, s9, -9
	s_set_gpr_idx_on s13, gpr_idx(SRC0)
	v_mov_b32_e32 v100, v34
	s_set_gpr_idx_off
	;; [unrolled: 4-line block ×4, first 2 shown]
	ds_read2_b64 v[94:97], v104 offset0:2 offset1:3
	s_add_i32 s21, s9, -8
	s_waitcnt lgkmcnt(1)
	v_fmac_f64_e32 v[84:85], v[98:99], v[90:91]
	s_set_gpr_idx_on s20, gpr_idx(SRC0)
	v_mov_b32_e32 v99, v34
	s_set_gpr_idx_off
	s_add_i32 s22, s9, -5
	v_fmac_f64_e32 v[84:85], v[100:101], v[92:93]
	s_set_gpr_idx_on s21, gpr_idx(SRC0)
	v_mov_b32_e32 v98, v34
	s_set_gpr_idx_off
	s_add_i32 s23, s9, -6
	s_set_gpr_idx_on s22, gpr_idx(SRC0)
	v_mov_b32_e32 v101, v34
	s_set_gpr_idx_off
	s_add_i32 s24, s9, -3
	;; [unrolled: 4-line block ×3, first 2 shown]
	ds_read2_b64 v[90:93], v104 offset0:4 offset1:5
	s_waitcnt lgkmcnt(1)
	v_fmac_f64_e32 v[84:85], v[102:103], v[94:95]
	s_set_gpr_idx_on s24, gpr_idx(SRC0)
	v_mov_b32_e32 v103, v34
	s_set_gpr_idx_off
	s_add_i32 s26, s9, -1
	v_fmac_f64_e32 v[84:85], v[98:99], v[96:97]
	s_set_gpr_idx_on s25, gpr_idx(SRC0)
	v_mov_b32_e32 v102, v34
	s_set_gpr_idx_off
	s_add_i32 s27, s9, -2
	s_set_gpr_idx_on s26, gpr_idx(SRC0)
	v_mov_b32_e32 v99, v34
	s_set_gpr_idx_off
	s_set_gpr_idx_on s27, gpr_idx(SRC0)
	v_mov_b32_e32 v98, v34
	s_set_gpr_idx_off
	ds_read2_b64 v[94:97], v104 offset0:6 offset1:7
	s_add_u32 s2, s2, 8
	s_waitcnt lgkmcnt(1)
	v_fmac_f64_e32 v[84:85], v[100:101], v[90:91]
	s_set_gpr_idx_on s9, gpr_idx(SRC0)
	v_mov_b32_e32 v91, v35
	s_set_gpr_idx_off
	v_add_u32_e32 v88, s2, v86
	v_fmac_f64_e32 v[84:85], v[102:103], v[92:93]
	s_set_gpr_idx_on s9, gpr_idx(SRC0)
	v_mov_b32_e32 v90, v34
	s_set_gpr_idx_off
	s_addc_u32 s3, s3, 0
	s_add_i32 s8, s8, 64
	s_add_i32 s10, s2, -7
	v_cmp_eq_u32_e32 vcc, 8, v88
	s_waitcnt lgkmcnt(0)
	v_fmac_f64_e32 v[84:85], v[98:99], v[94:95]
	v_mov_b32_e32 v88, s10
	s_or_b64 s[6:7], vcc, s[6:7]
	v_fmac_f64_e32 v[84:85], v[90:91], v[96:97]
	s_andn2_b64 exec, exec, s[6:7]
	s_cbranch_execnz .LBB72_105
; %bb.106:
	s_or_b64 exec, exec, s[6:7]
.LBB72_107:
	s_or_b64 exec, exec, s[0:1]
	v_and_b32_e32 v52, 7, v89
	v_cmp_ne_u32_e32 vcc, 0, v52
	s_and_saveexec_b64 s[6:7], vcc
	s_cbranch_execz .LBB72_111
; %bb.108:
	v_mov_b32_e32 v53, 0x50
	v_lshl_add_u32 v54, v88, 3, v53
	v_mov_b32_e32 v53, 0
	s_mov_b64 s[8:9], 0
.LBB72_109:                             ; =>This Inner Loop Header: Depth=1
	v_cmp_eq_u32_e32 vcc, 1, v88
	v_cndmask_b32_e32 v55, v35, v37, vcc
	v_add_u32_e32 v52, -1, v52
	v_cmp_eq_u32_e64 s[0:1], 2, v88
	v_cndmask_b32_e64 v55, v55, v39, s[0:1]
	v_cndmask_b32_e32 v58, v34, v36, vcc
	v_cmp_eq_u32_e32 vcc, 0, v52
	v_cmp_eq_u32_e64 s[2:3], 3, v88
	v_cndmask_b32_e64 v55, v55, v41, s[2:3]
	v_cndmask_b32_e64 v58, v58, v38, s[0:1]
	s_or_b64 s[8:9], vcc, s[8:9]
	v_cmp_eq_u32_e32 vcc, 4, v88
	v_cndmask_b32_e32 v55, v55, v43, vcc
	v_cndmask_b32_e64 v58, v58, v40, s[2:3]
	v_cmp_eq_u32_e64 s[0:1], 5, v88
	ds_read_b64 v[56:57], v54
	v_cndmask_b32_e64 v55, v55, v45, s[0:1]
	v_cndmask_b32_e32 v58, v58, v42, vcc
	v_cmp_eq_u32_e32 vcc, 6, v88
	v_cndmask_b32_e32 v55, v55, v47, vcc
	v_cndmask_b32_e64 v58, v58, v44, s[0:1]
	v_cmp_eq_u32_e64 s[0:1], 7, v88
	v_cndmask_b32_e64 v55, v55, v49, s[0:1]
	v_cmp_eq_u32_e64 s[2:3], 8, v88
	v_cndmask_b32_e32 v58, v58, v46, vcc
	v_cndmask_b32_e64 v59, v55, v51, s[2:3]
	v_cndmask_b32_e64 v55, v58, v48, s[0:1]
	v_add_co_u32_e32 v88, vcc, 1, v88
	v_cndmask_b32_e64 v58, v55, v50, s[2:3]
	v_add_u32_e32 v54, 8, v54
	v_addc_co_u32_e32 v53, vcc, 0, v53, vcc
	s_waitcnt lgkmcnt(0)
	v_fmac_f64_e32 v[84:85], v[58:59], v[56:57]
	s_andn2_b64 exec, exec, s[8:9]
	s_cbranch_execnz .LBB72_109
; %bb.110:
	s_or_b64 exec, exec, s[8:9]
.LBB72_111:
	s_or_b64 exec, exec, s[6:7]
.LBB72_112:
	s_or_b64 exec, exec, s[4:5]
	v_mov_b32_e32 v34, 0
	ds_read_b64 v[34:35], v34
	s_waitcnt lgkmcnt(0)
	v_mul_f64 v[34:35], v[84:85], v[34:35]
.LBB72_113:
	s_or_b64 exec, exec, s[16:17]
	s_branch .LBB72_187
.LBB72_114:
	v_cmp_eq_u32_e64 s[2:3], 0, v0
	s_waitcnt vmcnt(7)
	ds_write_b64 v87, v[4:5]
	s_waitcnt lgkmcnt(0)
	; wave barrier
	s_waitcnt lgkmcnt(0)
	s_and_saveexec_b64 s[16:17], s[2:3]
	s_cbranch_execz .LBB72_120
; %bb.115:
	s_and_b64 vcc, exec, s[18:19]
	s_cbranch_vccz .LBB72_117
; %bb.116:
	v_cmp_eq_u32_e32 vcc, 1, v0
	v_cndmask_b32_e32 v5, v3, v5, vcc
	v_cmp_eq_u32_e64 s[0:1], 2, v0
	v_cndmask_b32_e32 v4, v2, v4, vcc
	s_waitcnt vmcnt(6)
	v_cndmask_b32_e64 v5, v5, v7, s[0:1]
	v_cmp_eq_u32_e64 s[4:5], 3, v0
	v_cndmask_b32_e64 v4, v4, v6, s[0:1]
	s_waitcnt vmcnt(5)
	v_cndmask_b32_e64 v5, v5, v9, s[4:5]
	v_cmp_eq_u32_e64 s[6:7], 4, v0
	v_cndmask_b32_e64 v4, v4, v8, s[4:5]
	;; [unrolled: 4-line block ×3, first 2 shown]
	ds_read_b64 v[20:21], v87
	s_waitcnt vmcnt(3)
	v_cndmask_b32_e64 v5, v5, v13, s[8:9]
	v_cmp_eq_u32_e64 s[10:11], 6, v0
	v_cndmask_b32_e64 v4, v4, v12, s[8:9]
	s_waitcnt vmcnt(2)
	v_cndmask_b32_e64 v5, v5, v15, s[10:11]
	v_cmp_eq_u32_e64 s[12:13], 7, v0
	v_cndmask_b32_e64 v4, v4, v14, s[10:11]
	;; [unrolled: 4-line block ×3, first 2 shown]
	s_waitcnt vmcnt(0)
	v_cndmask_b32_e64 v5, v5, v19, s[14:15]
	v_cndmask_b32_e64 v4, v4, v18, s[14:15]
	s_waitcnt lgkmcnt(0)
	v_mul_f64 v[4:5], v[4:5], v[20:21]
	s_cbranch_execz .LBB72_118
	s_branch .LBB72_119
.LBB72_117:
                                        ; implicit-def: $vgpr4_vgpr5
.LBB72_118:
	ds_read_b64 v[4:5], v87
.LBB72_119:
	v_mov_b32_e32 v20, 0
	ds_read_b64 v[20:21], v20 offset:8
	s_waitcnt lgkmcnt(0)
	v_mul_f64 v[4:5], v[4:5], v[20:21]
.LBB72_120:
	s_or_b64 exec, exec, s[16:17]
	v_cndmask_b32_e64 v35, 0, 1, s[18:19]
	v_add_u32_e32 v34, 1, v0
	v_cmp_gt_u32_e32 vcc, 2, v0
	v_cmp_ne_u32_e64 s[0:1], 1, v35
	s_waitcnt vmcnt(6)
	ds_write_b64 v87, v[6:7]
	s_waitcnt lgkmcnt(0)
	; wave barrier
	s_waitcnt lgkmcnt(0)
	s_and_saveexec_b64 s[18:19], vcc
	s_cbranch_execz .LBB72_128
; %bb.121:
	s_and_b64 vcc, exec, s[0:1]
	s_cbranch_vccnz .LBB72_123
; %bb.122:
	v_cmp_eq_u32_e32 vcc, 1, v0
	v_cndmask_b32_e32 v20, v3, v5, vcc
	v_cmp_eq_u32_e64 s[4:5], 2, v0
	v_cndmask_b32_e64 v20, v20, v7, s[4:5]
	v_cmp_eq_u32_e64 s[6:7], 3, v0
	s_waitcnt vmcnt(5)
	v_cndmask_b32_e64 v20, v20, v9, s[6:7]
	v_cmp_eq_u32_e64 s[8:9], 4, v0
	s_waitcnt vmcnt(4)
	;; [unrolled: 3-line block ×6, first 2 shown]
	v_cndmask_b32_e64 v21, v20, v19, s[16:17]
	v_cndmask_b32_e32 v20, v2, v4, vcc
	v_cndmask_b32_e64 v20, v20, v6, s[4:5]
	v_cndmask_b32_e64 v20, v20, v8, s[6:7]
	v_cndmask_b32_e64 v20, v20, v10, s[8:9]
	ds_read_b64 v[22:23], v87
	v_cndmask_b32_e64 v20, v20, v12, s[10:11]
	v_cndmask_b32_e64 v20, v20, v14, s[12:13]
	;; [unrolled: 1-line block ×4, first 2 shown]
	s_waitcnt lgkmcnt(0)
	v_mul_f64 v[20:21], v[20:21], v[22:23]
	s_cbranch_execz .LBB72_124
	s_branch .LBB72_125
.LBB72_123:
                                        ; implicit-def: $vgpr20_vgpr21
.LBB72_124:
	ds_read_b64 v[20:21], v87
.LBB72_125:
	s_and_saveexec_b64 s[20:21], s[2:3]
	s_cbranch_execz .LBB72_127
; %bb.126:
	v_cmp_eq_u32_e32 vcc, 1, v34
	v_cndmask_b32_e32 v22, v3, v5, vcc
	v_cmp_eq_u32_e64 s[4:5], 2, v34
	v_cndmask_b32_e64 v7, v22, v7, s[4:5]
	v_cndmask_b32_e32 v22, v2, v4, vcc
	v_cmp_eq_u32_e64 s[6:7], 3, v34
	v_cndmask_b32_e64 v6, v22, v6, s[4:5]
	s_waitcnt vmcnt(5)
	v_cndmask_b32_e64 v7, v7, v9, s[6:7]
	v_cmp_eq_u32_e64 s[8:9], 4, v34
	v_cndmask_b32_e64 v6, v6, v8, s[6:7]
	s_waitcnt vmcnt(4)
	v_cndmask_b32_e64 v7, v7, v11, s[8:9]
	v_cmp_eq_u32_e64 s[10:11], 5, v34
	v_cndmask_b32_e64 v6, v6, v10, s[8:9]
	ds_read_b64 v[22:23], v87 offset:8
	s_waitcnt vmcnt(3)
	v_cndmask_b32_e64 v7, v7, v13, s[10:11]
	v_cmp_eq_u32_e64 s[12:13], 6, v34
	v_cndmask_b32_e64 v6, v6, v12, s[10:11]
	s_waitcnt vmcnt(2)
	v_cndmask_b32_e64 v7, v7, v15, s[12:13]
	v_cmp_eq_u32_e64 s[14:15], 7, v34
	v_cndmask_b32_e64 v6, v6, v14, s[12:13]
	;; [unrolled: 4-line block ×3, first 2 shown]
	s_waitcnt vmcnt(0)
	v_cndmask_b32_e64 v7, v7, v19, s[16:17]
	v_cndmask_b32_e64 v6, v6, v18, s[16:17]
	s_waitcnt lgkmcnt(0)
	v_fmac_f64_e32 v[20:21], v[6:7], v[22:23]
.LBB72_127:
	s_or_b64 exec, exec, s[20:21]
	v_mov_b32_e32 v6, 0
	ds_read_b64 v[6:7], v6 offset:16
	s_waitcnt lgkmcnt(0)
	v_mul_f64 v[6:7], v[20:21], v[6:7]
.LBB72_128:
	s_or_b64 exec, exec, s[18:19]
	v_cmp_gt_u32_e32 vcc, 3, v0
	s_waitcnt vmcnt(5)
	ds_write_b64 v87, v[8:9]
	s_waitcnt lgkmcnt(0)
	; wave barrier
	s_waitcnt lgkmcnt(0)
	s_and_saveexec_b64 s[18:19], vcc
	s_cbranch_execz .LBB72_136
; %bb.129:
	s_and_b64 vcc, exec, s[0:1]
	s_cbranch_vccnz .LBB72_131
; %bb.130:
	v_cmp_eq_u32_e32 vcc, 1, v0
	v_cndmask_b32_e32 v20, v3, v5, vcc
	v_cmp_eq_u32_e64 s[4:5], 2, v0
	v_cndmask_b32_e64 v20, v20, v7, s[4:5]
	v_cmp_eq_u32_e64 s[6:7], 3, v0
	v_cndmask_b32_e64 v20, v20, v9, s[6:7]
	v_cmp_eq_u32_e64 s[8:9], 4, v0
	s_waitcnt vmcnt(4)
	v_cndmask_b32_e64 v20, v20, v11, s[8:9]
	v_cmp_eq_u32_e64 s[10:11], 5, v0
	s_waitcnt vmcnt(3)
	;; [unrolled: 3-line block ×5, first 2 shown]
	v_cndmask_b32_e64 v21, v20, v19, s[16:17]
	v_cndmask_b32_e32 v20, v2, v4, vcc
	v_cndmask_b32_e64 v20, v20, v6, s[4:5]
	v_cndmask_b32_e64 v20, v20, v8, s[6:7]
	;; [unrolled: 1-line block ×3, first 2 shown]
	ds_read_b64 v[22:23], v87
	v_cndmask_b32_e64 v20, v20, v12, s[10:11]
	v_cndmask_b32_e64 v20, v20, v14, s[12:13]
	;; [unrolled: 1-line block ×4, first 2 shown]
	s_waitcnt lgkmcnt(0)
	v_mul_f64 v[20:21], v[20:21], v[22:23]
	s_cbranch_execz .LBB72_132
	s_branch .LBB72_133
.LBB72_131:
                                        ; implicit-def: $vgpr20_vgpr21
.LBB72_132:
	ds_read_b64 v[20:21], v87
.LBB72_133:
	v_cmp_ne_u32_e32 vcc, 2, v0
	s_and_saveexec_b64 s[20:21], vcc
	s_cbranch_execz .LBB72_135
; %bb.134:
	v_cmp_eq_u32_e32 vcc, 1, v34
	v_cndmask_b32_e32 v22, v3, v5, vcc
	v_cmp_eq_u32_e64 s[4:5], 2, v34
	v_cndmask_b32_e64 v22, v22, v7, s[4:5]
	v_cmp_eq_u32_e64 s[6:7], 3, v34
	v_cndmask_b32_e64 v9, v22, v9, s[6:7]
	v_cndmask_b32_e32 v22, v2, v4, vcc
	v_cndmask_b32_e64 v22, v22, v6, s[4:5]
	v_cmp_eq_u32_e64 s[8:9], 4, v34
	v_cndmask_b32_e64 v8, v22, v8, s[6:7]
	s_waitcnt vmcnt(4)
	v_cndmask_b32_e64 v9, v9, v11, s[8:9]
	v_cmp_eq_u32_e64 s[10:11], 5, v34
	v_cndmask_b32_e64 v8, v8, v10, s[8:9]
	v_mov_b32_e32 v24, 0
	s_waitcnt vmcnt(3)
	v_cndmask_b32_e64 v9, v9, v13, s[10:11]
	v_cmp_eq_u32_e64 s[12:13], 6, v34
	v_cndmask_b32_e64 v8, v8, v12, s[10:11]
	ds_read_b64 v[22:23], v87 offset:8
	ds_read_b64 v[24:25], v24 offset:96
	s_waitcnt vmcnt(2)
	v_cndmask_b32_e64 v9, v9, v15, s[12:13]
	v_cmp_eq_u32_e64 s[14:15], 7, v34
	v_cndmask_b32_e64 v8, v8, v14, s[12:13]
	s_waitcnt vmcnt(1)
	v_cndmask_b32_e64 v9, v9, v17, s[14:15]
	v_cmp_eq_u32_e64 s[16:17], 8, v34
	v_cndmask_b32_e64 v8, v8, v16, s[14:15]
	s_waitcnt vmcnt(0)
	v_cndmask_b32_e64 v9, v9, v19, s[16:17]
	v_cndmask_b32_e64 v8, v8, v18, s[16:17]
	s_waitcnt lgkmcnt(1)
	v_fmac_f64_e32 v[20:21], v[8:9], v[22:23]
	s_waitcnt lgkmcnt(0)
	v_fma_f64 v[8:9], v[6:7], v[24:25], v[20:21]
	v_cndmask_b32_e64 v21, v21, v9, s[2:3]
	v_cndmask_b32_e64 v20, v20, v8, s[2:3]
.LBB72_135:
	s_or_b64 exec, exec, s[20:21]
	v_mov_b32_e32 v8, 0
	ds_read_b64 v[8:9], v8 offset:24
	s_waitcnt lgkmcnt(0)
	v_mul_f64 v[8:9], v[20:21], v[8:9]
.LBB72_136:
	s_or_b64 exec, exec, s[18:19]
	v_cmp_gt_u32_e32 vcc, 4, v0
	s_waitcnt vmcnt(4)
	ds_write_b64 v87, v[10:11]
	s_waitcnt lgkmcnt(0)
	; wave barrier
	s_waitcnt lgkmcnt(0)
	s_and_saveexec_b64 s[16:17], vcc
	s_cbranch_execz .LBB72_146
; %bb.137:
	s_and_b64 vcc, exec, s[0:1]
	s_cbranch_vccnz .LBB72_139
; %bb.138:
	v_cmp_eq_u32_e32 vcc, 1, v0
	v_cndmask_b32_e32 v20, v3, v5, vcc
	v_cmp_eq_u32_e64 s[2:3], 2, v0
	v_cndmask_b32_e64 v20, v20, v7, s[2:3]
	v_cmp_eq_u32_e64 s[4:5], 3, v0
	v_cndmask_b32_e64 v20, v20, v9, s[4:5]
	;; [unrolled: 2-line block ×3, first 2 shown]
	v_cmp_eq_u32_e64 s[8:9], 5, v0
	s_waitcnt vmcnt(3)
	v_cndmask_b32_e64 v20, v20, v13, s[8:9]
	v_cmp_eq_u32_e64 s[10:11], 6, v0
	s_waitcnt vmcnt(2)
	v_cndmask_b32_e64 v20, v20, v15, s[10:11]
	;; [unrolled: 3-line block ×4, first 2 shown]
	v_cndmask_b32_e32 v20, v2, v4, vcc
	v_cndmask_b32_e64 v20, v20, v6, s[2:3]
	v_cndmask_b32_e64 v20, v20, v8, s[4:5]
	;; [unrolled: 1-line block ×3, first 2 shown]
	ds_read_b64 v[22:23], v87
	v_cndmask_b32_e64 v20, v20, v12, s[8:9]
	v_cndmask_b32_e64 v20, v20, v14, s[10:11]
	;; [unrolled: 1-line block ×4, first 2 shown]
	s_waitcnt lgkmcnt(0)
	v_mul_f64 v[20:21], v[20:21], v[22:23]
	s_cbranch_execz .LBB72_140
	s_branch .LBB72_141
.LBB72_139:
                                        ; implicit-def: $vgpr20_vgpr21
.LBB72_140:
	ds_read_b64 v[20:21], v87
.LBB72_141:
	v_cmp_ne_u32_e32 vcc, 3, v0
	s_and_saveexec_b64 s[6:7], vcc
	s_cbranch_execz .LBB72_145
; %bb.142:
	v_mov_b32_e32 v22, 0x58
	v_lshl_add_u32 v24, v0, 3, v22
	s_mov_b64 s[8:9], 0
	v_pk_mov_b32 v[22:23], v[0:1], v[0:1] op_sel:[0,1]
.LBB72_143:                             ; =>This Inner Loop Header: Depth=1
	v_add_co_u32_e32 v22, vcc, 1, v22
	v_addc_co_u32_e32 v23, vcc, 0, v23, vcc
	v_cmp_eq_u32_e32 vcc, 1, v22
	v_cndmask_b32_e32 v25, v3, v5, vcc
	v_cmp_eq_u32_e64 s[4:5], 2, v22
	v_cmp_lt_u32_e64 s[2:3], 2, v22
	v_cndmask_b32_e64 v25, v25, v7, s[4:5]
	v_cndmask_b32_e32 v28, v2, v4, vcc
	v_cmp_eq_u32_e32 vcc, 3, v22
	s_or_b64 s[8:9], s[2:3], s[8:9]
	v_cndmask_b32_e32 v25, v25, v9, vcc
	v_cndmask_b32_e64 v28, v28, v6, s[4:5]
	v_cmp_eq_u32_e64 s[2:3], 4, v22
	v_cndmask_b32_e64 v25, v25, v11, s[2:3]
	v_cndmask_b32_e32 v28, v28, v8, vcc
	v_cmp_eq_u32_e32 vcc, 5, v22
	ds_read_b64 v[26:27], v24
	s_waitcnt vmcnt(3)
	v_cndmask_b32_e32 v25, v25, v13, vcc
	v_cndmask_b32_e64 v28, v28, v10, s[2:3]
	v_cmp_eq_u32_e64 s[2:3], 6, v22
	s_waitcnt vmcnt(2)
	v_cndmask_b32_e64 v25, v25, v15, s[2:3]
	v_cndmask_b32_e32 v28, v28, v12, vcc
	v_cmp_eq_u32_e32 vcc, 7, v22
	s_waitcnt vmcnt(1)
	v_cndmask_b32_e32 v25, v25, v17, vcc
	v_cndmask_b32_e64 v28, v28, v14, s[2:3]
	v_cmp_eq_u32_e64 s[2:3], 8, v22
	s_waitcnt vmcnt(0)
	v_cndmask_b32_e64 v29, v25, v19, s[2:3]
	v_cndmask_b32_e32 v25, v28, v16, vcc
	v_cndmask_b32_e64 v28, v25, v18, s[2:3]
	v_add_u32_e32 v24, 8, v24
	s_waitcnt lgkmcnt(0)
	v_fmac_f64_e32 v[20:21], v[28:29], v[26:27]
	s_andn2_b64 exec, exec, s[8:9]
	s_cbranch_execnz .LBB72_143
; %bb.144:
	s_or_b64 exec, exec, s[8:9]
.LBB72_145:
	s_or_b64 exec, exec, s[6:7]
	v_mov_b32_e32 v10, 0
	ds_read_b64 v[10:11], v10 offset:32
	s_waitcnt lgkmcnt(0)
	v_mul_f64 v[10:11], v[20:21], v[10:11]
.LBB72_146:
	s_or_b64 exec, exec, s[16:17]
	v_cmp_gt_u32_e32 vcc, 5, v0
	s_waitcnt vmcnt(3)
	ds_write_b64 v87, v[12:13]
	s_waitcnt lgkmcnt(0)
	; wave barrier
	s_waitcnt lgkmcnt(0)
	s_and_saveexec_b64 s[16:17], vcc
	s_cbranch_execz .LBB72_156
; %bb.147:
	s_and_b64 vcc, exec, s[0:1]
	s_cbranch_vccnz .LBB72_149
; %bb.148:
	v_cmp_eq_u32_e32 vcc, 1, v0
	v_cndmask_b32_e32 v20, v3, v5, vcc
	v_cmp_eq_u32_e64 s[2:3], 2, v0
	v_cndmask_b32_e64 v20, v20, v7, s[2:3]
	v_cmp_eq_u32_e64 s[4:5], 3, v0
	v_cndmask_b32_e64 v20, v20, v9, s[4:5]
	;; [unrolled: 2-line block ×4, first 2 shown]
	v_cmp_eq_u32_e64 s[10:11], 6, v0
	s_waitcnt vmcnt(2)
	v_cndmask_b32_e64 v20, v20, v15, s[10:11]
	v_cmp_eq_u32_e64 s[12:13], 7, v0
	s_waitcnt vmcnt(1)
	v_cndmask_b32_e64 v20, v20, v17, s[12:13]
	;; [unrolled: 3-line block ×3, first 2 shown]
	v_cndmask_b32_e32 v20, v2, v4, vcc
	v_cndmask_b32_e64 v20, v20, v6, s[2:3]
	v_cndmask_b32_e64 v20, v20, v8, s[4:5]
	;; [unrolled: 1-line block ×3, first 2 shown]
	ds_read_b64 v[22:23], v87
	v_cndmask_b32_e64 v20, v20, v12, s[8:9]
	v_cndmask_b32_e64 v20, v20, v14, s[10:11]
	;; [unrolled: 1-line block ×4, first 2 shown]
	s_waitcnt lgkmcnt(0)
	v_mul_f64 v[20:21], v[20:21], v[22:23]
	s_cbranch_execz .LBB72_150
	s_branch .LBB72_151
.LBB72_149:
                                        ; implicit-def: $vgpr20_vgpr21
.LBB72_150:
	ds_read_b64 v[20:21], v87
.LBB72_151:
	v_cmp_ne_u32_e32 vcc, 4, v0
	s_and_saveexec_b64 s[6:7], vcc
	s_cbranch_execz .LBB72_155
; %bb.152:
	v_mov_b32_e32 v22, 0x58
	v_lshl_add_u32 v24, v0, 3, v22
	s_mov_b64 s[8:9], 0
	v_pk_mov_b32 v[22:23], v[0:1], v[0:1] op_sel:[0,1]
.LBB72_153:                             ; =>This Inner Loop Header: Depth=1
	v_add_co_u32_e32 v22, vcc, 1, v22
	v_addc_co_u32_e32 v23, vcc, 0, v23, vcc
	v_cmp_eq_u32_e32 vcc, 1, v22
	v_cndmask_b32_e32 v25, v3, v5, vcc
	v_cmp_eq_u32_e64 s[4:5], 2, v22
	v_cmp_lt_u32_e64 s[2:3], 3, v22
	v_cndmask_b32_e64 v25, v25, v7, s[4:5]
	v_cndmask_b32_e32 v28, v2, v4, vcc
	v_cmp_eq_u32_e32 vcc, 3, v22
	s_or_b64 s[8:9], s[2:3], s[8:9]
	v_cndmask_b32_e32 v25, v25, v9, vcc
	v_cndmask_b32_e64 v28, v28, v6, s[4:5]
	v_cmp_eq_u32_e64 s[2:3], 4, v22
	v_cndmask_b32_e64 v25, v25, v11, s[2:3]
	v_cndmask_b32_e32 v28, v28, v8, vcc
	v_cmp_eq_u32_e32 vcc, 5, v22
	ds_read_b64 v[26:27], v24
	v_cndmask_b32_e32 v25, v25, v13, vcc
	v_cndmask_b32_e64 v28, v28, v10, s[2:3]
	v_cmp_eq_u32_e64 s[2:3], 6, v22
	s_waitcnt vmcnt(2)
	v_cndmask_b32_e64 v25, v25, v15, s[2:3]
	v_cndmask_b32_e32 v28, v28, v12, vcc
	v_cmp_eq_u32_e32 vcc, 7, v22
	s_waitcnt vmcnt(1)
	v_cndmask_b32_e32 v25, v25, v17, vcc
	v_cndmask_b32_e64 v28, v28, v14, s[2:3]
	v_cmp_eq_u32_e64 s[2:3], 8, v22
	s_waitcnt vmcnt(0)
	v_cndmask_b32_e64 v29, v25, v19, s[2:3]
	v_cndmask_b32_e32 v25, v28, v16, vcc
	v_cndmask_b32_e64 v28, v25, v18, s[2:3]
	v_add_u32_e32 v24, 8, v24
	s_waitcnt lgkmcnt(0)
	v_fmac_f64_e32 v[20:21], v[28:29], v[26:27]
	s_andn2_b64 exec, exec, s[8:9]
	s_cbranch_execnz .LBB72_153
; %bb.154:
	s_or_b64 exec, exec, s[8:9]
.LBB72_155:
	s_or_b64 exec, exec, s[6:7]
	v_mov_b32_e32 v12, 0
	ds_read_b64 v[12:13], v12 offset:40
	s_waitcnt lgkmcnt(0)
	v_mul_f64 v[12:13], v[20:21], v[12:13]
.LBB72_156:
	s_or_b64 exec, exec, s[16:17]
	v_cmp_gt_u32_e32 vcc, 6, v0
	s_waitcnt vmcnt(2)
	ds_write_b64 v87, v[14:15]
	s_waitcnt lgkmcnt(0)
	; wave barrier
	s_waitcnt lgkmcnt(0)
	s_and_saveexec_b64 s[16:17], vcc
	s_cbranch_execz .LBB72_166
; %bb.157:
	s_and_b64 vcc, exec, s[0:1]
	s_cbranch_vccnz .LBB72_159
; %bb.158:
	v_cmp_eq_u32_e32 vcc, 1, v0
	v_cndmask_b32_e32 v20, v3, v5, vcc
	v_cmp_eq_u32_e64 s[2:3], 2, v0
	v_cndmask_b32_e64 v20, v20, v7, s[2:3]
	v_cmp_eq_u32_e64 s[4:5], 3, v0
	v_cndmask_b32_e64 v20, v20, v9, s[4:5]
	;; [unrolled: 2-line block ×5, first 2 shown]
	v_cmp_eq_u32_e64 s[12:13], 7, v0
	s_waitcnt vmcnt(1)
	v_cndmask_b32_e64 v20, v20, v17, s[12:13]
	v_cmp_eq_u32_e64 s[14:15], 8, v0
	s_waitcnt vmcnt(0)
	v_cndmask_b32_e64 v21, v20, v19, s[14:15]
	v_cndmask_b32_e32 v20, v2, v4, vcc
	v_cndmask_b32_e64 v20, v20, v6, s[2:3]
	v_cndmask_b32_e64 v20, v20, v8, s[4:5]
	;; [unrolled: 1-line block ×3, first 2 shown]
	ds_read_b64 v[22:23], v87
	v_cndmask_b32_e64 v20, v20, v12, s[8:9]
	v_cndmask_b32_e64 v20, v20, v14, s[10:11]
	;; [unrolled: 1-line block ×4, first 2 shown]
	s_waitcnt lgkmcnt(0)
	v_mul_f64 v[20:21], v[20:21], v[22:23]
	s_cbranch_execz .LBB72_160
	s_branch .LBB72_161
.LBB72_159:
                                        ; implicit-def: $vgpr20_vgpr21
.LBB72_160:
	ds_read_b64 v[20:21], v87
.LBB72_161:
	v_cmp_ne_u32_e32 vcc, 5, v0
	s_and_saveexec_b64 s[6:7], vcc
	s_cbranch_execz .LBB72_165
; %bb.162:
	v_mov_b32_e32 v22, 0x58
	v_lshl_add_u32 v24, v0, 3, v22
	s_mov_b64 s[8:9], 0
	v_pk_mov_b32 v[22:23], v[0:1], v[0:1] op_sel:[0,1]
.LBB72_163:                             ; =>This Inner Loop Header: Depth=1
	v_add_co_u32_e32 v22, vcc, 1, v22
	v_addc_co_u32_e32 v23, vcc, 0, v23, vcc
	v_cmp_eq_u32_e32 vcc, 1, v22
	v_cndmask_b32_e32 v25, v3, v5, vcc
	v_cmp_eq_u32_e64 s[4:5], 2, v22
	v_cmp_lt_u32_e64 s[2:3], 4, v22
	v_cndmask_b32_e64 v25, v25, v7, s[4:5]
	v_cndmask_b32_e32 v28, v2, v4, vcc
	v_cmp_eq_u32_e32 vcc, 3, v22
	s_or_b64 s[8:9], s[2:3], s[8:9]
	v_cndmask_b32_e32 v25, v25, v9, vcc
	v_cndmask_b32_e64 v28, v28, v6, s[4:5]
	v_cmp_eq_u32_e64 s[2:3], 4, v22
	v_cndmask_b32_e64 v25, v25, v11, s[2:3]
	v_cndmask_b32_e32 v28, v28, v8, vcc
	v_cmp_eq_u32_e32 vcc, 5, v22
	ds_read_b64 v[26:27], v24
	v_cndmask_b32_e32 v25, v25, v13, vcc
	v_cndmask_b32_e64 v28, v28, v10, s[2:3]
	v_cmp_eq_u32_e64 s[2:3], 6, v22
	v_cndmask_b32_e64 v25, v25, v15, s[2:3]
	v_cndmask_b32_e32 v28, v28, v12, vcc
	v_cmp_eq_u32_e32 vcc, 7, v22
	s_waitcnt vmcnt(1)
	v_cndmask_b32_e32 v25, v25, v17, vcc
	v_cndmask_b32_e64 v28, v28, v14, s[2:3]
	v_cmp_eq_u32_e64 s[2:3], 8, v22
	s_waitcnt vmcnt(0)
	v_cndmask_b32_e64 v29, v25, v19, s[2:3]
	v_cndmask_b32_e32 v25, v28, v16, vcc
	v_cndmask_b32_e64 v28, v25, v18, s[2:3]
	v_add_u32_e32 v24, 8, v24
	s_waitcnt lgkmcnt(0)
	v_fmac_f64_e32 v[20:21], v[28:29], v[26:27]
	s_andn2_b64 exec, exec, s[8:9]
	s_cbranch_execnz .LBB72_163
; %bb.164:
	s_or_b64 exec, exec, s[8:9]
.LBB72_165:
	s_or_b64 exec, exec, s[6:7]
	v_mov_b32_e32 v14, 0
	ds_read_b64 v[14:15], v14 offset:48
	s_waitcnt lgkmcnt(0)
	v_mul_f64 v[14:15], v[20:21], v[14:15]
.LBB72_166:
	s_or_b64 exec, exec, s[16:17]
	v_cmp_gt_u32_e64 s[2:3], 7, v0
	s_waitcnt vmcnt(1)
	ds_write_b64 v87, v[16:17]
	s_waitcnt lgkmcnt(0)
	; wave barrier
	s_waitcnt lgkmcnt(0)
	s_and_saveexec_b64 s[18:19], s[2:3]
	s_cbranch_execz .LBB72_176
; %bb.167:
	s_and_b64 vcc, exec, s[0:1]
	s_cbranch_vccnz .LBB72_169
; %bb.168:
	v_cmp_eq_u32_e32 vcc, 1, v0
	v_cndmask_b32_e32 v20, v3, v5, vcc
	v_cmp_eq_u32_e64 s[4:5], 2, v0
	v_cndmask_b32_e64 v20, v20, v7, s[4:5]
	v_cmp_eq_u32_e64 s[6:7], 3, v0
	v_cndmask_b32_e64 v20, v20, v9, s[6:7]
	;; [unrolled: 2-line block ×6, first 2 shown]
	v_cmp_eq_u32_e64 s[16:17], 8, v0
	s_waitcnt vmcnt(0)
	v_cndmask_b32_e64 v21, v20, v19, s[16:17]
	v_cndmask_b32_e32 v20, v2, v4, vcc
	v_cndmask_b32_e64 v20, v20, v6, s[4:5]
	v_cndmask_b32_e64 v20, v20, v8, s[6:7]
	;; [unrolled: 1-line block ×3, first 2 shown]
	ds_read_b64 v[22:23], v87
	v_cndmask_b32_e64 v20, v20, v12, s[10:11]
	v_cndmask_b32_e64 v20, v20, v14, s[12:13]
	;; [unrolled: 1-line block ×4, first 2 shown]
	s_waitcnt lgkmcnt(0)
	v_mul_f64 v[20:21], v[20:21], v[22:23]
	s_cbranch_execz .LBB72_170
	s_branch .LBB72_171
.LBB72_169:
                                        ; implicit-def: $vgpr20_vgpr21
.LBB72_170:
	ds_read_b64 v[20:21], v87
.LBB72_171:
	v_cmp_ne_u32_e32 vcc, 6, v0
	s_and_saveexec_b64 s[8:9], vcc
	s_cbranch_execz .LBB72_175
; %bb.172:
	v_mov_b32_e32 v22, 0x58
	v_lshl_add_u32 v24, v0, 3, v22
	s_mov_b64 s[10:11], 0
	v_pk_mov_b32 v[22:23], v[0:1], v[0:1] op_sel:[0,1]
.LBB72_173:                             ; =>This Inner Loop Header: Depth=1
	v_add_co_u32_e32 v22, vcc, 1, v22
	v_addc_co_u32_e32 v23, vcc, 0, v23, vcc
	v_cmp_eq_u32_e32 vcc, 1, v22
	v_cndmask_b32_e32 v25, v3, v5, vcc
	v_cmp_eq_u32_e64 s[6:7], 2, v22
	v_cmp_lt_u32_e64 s[4:5], 5, v22
	v_cndmask_b32_e64 v25, v25, v7, s[6:7]
	v_cndmask_b32_e32 v28, v2, v4, vcc
	v_cmp_eq_u32_e32 vcc, 3, v22
	s_or_b64 s[10:11], s[4:5], s[10:11]
	v_cndmask_b32_e32 v25, v25, v9, vcc
	v_cndmask_b32_e64 v28, v28, v6, s[6:7]
	v_cmp_eq_u32_e64 s[4:5], 4, v22
	v_cndmask_b32_e64 v25, v25, v11, s[4:5]
	v_cndmask_b32_e32 v28, v28, v8, vcc
	v_cmp_eq_u32_e32 vcc, 5, v22
	ds_read_b64 v[26:27], v24
	v_cndmask_b32_e32 v25, v25, v13, vcc
	v_cndmask_b32_e64 v28, v28, v10, s[4:5]
	v_cmp_eq_u32_e64 s[4:5], 6, v22
	v_cndmask_b32_e64 v25, v25, v15, s[4:5]
	v_cndmask_b32_e32 v28, v28, v12, vcc
	v_cmp_eq_u32_e32 vcc, 7, v22
	v_cndmask_b32_e32 v25, v25, v17, vcc
	v_cndmask_b32_e64 v28, v28, v14, s[4:5]
	v_cmp_eq_u32_e64 s[4:5], 8, v22
	s_waitcnt vmcnt(0)
	v_cndmask_b32_e64 v29, v25, v19, s[4:5]
	v_cndmask_b32_e32 v25, v28, v16, vcc
	v_cndmask_b32_e64 v28, v25, v18, s[4:5]
	v_add_u32_e32 v24, 8, v24
	s_waitcnt lgkmcnt(0)
	v_fmac_f64_e32 v[20:21], v[28:29], v[26:27]
	s_andn2_b64 exec, exec, s[10:11]
	s_cbranch_execnz .LBB72_173
; %bb.174:
	s_or_b64 exec, exec, s[10:11]
.LBB72_175:
	s_or_b64 exec, exec, s[8:9]
	v_mov_b32_e32 v16, 0
	ds_read_b64 v[16:17], v16 offset:56
	s_waitcnt lgkmcnt(0)
	v_mul_f64 v[16:17], v[20:21], v[16:17]
.LBB72_176:
	s_or_b64 exec, exec, s[18:19]
	v_cmp_ne_u32_e32 vcc, 8, v0
	s_waitcnt vmcnt(0)
	ds_write_b64 v87, v[18:19]
	s_waitcnt lgkmcnt(0)
	; wave barrier
	s_waitcnt lgkmcnt(0)
	s_and_saveexec_b64 s[16:17], vcc
	s_cbranch_execz .LBB72_186
; %bb.177:
	s_and_b64 vcc, exec, s[0:1]
	s_cbranch_vccnz .LBB72_179
; %bb.178:
	v_cmp_eq_u32_e32 vcc, 1, v0
	v_cndmask_b32_e32 v20, v3, v5, vcc
	v_cmp_eq_u32_e64 s[0:1], 2, v0
	v_cndmask_b32_e64 v20, v20, v7, s[0:1]
	v_cmp_eq_u32_e64 s[4:5], 3, v0
	v_cndmask_b32_e64 v20, v20, v9, s[4:5]
	;; [unrolled: 2-line block ×7, first 2 shown]
	v_cndmask_b32_e32 v20, v2, v4, vcc
	v_cndmask_b32_e64 v20, v20, v6, s[0:1]
	v_cndmask_b32_e64 v20, v20, v8, s[4:5]
	;; [unrolled: 1-line block ×3, first 2 shown]
	ds_read_b64 v[22:23], v87
	v_cndmask_b32_e64 v20, v20, v12, s[8:9]
	v_cndmask_b32_e64 v20, v20, v14, s[10:11]
	;; [unrolled: 1-line block ×4, first 2 shown]
	s_waitcnt lgkmcnt(0)
	v_mul_f64 v[20:21], v[20:21], v[22:23]
	s_cbranch_execz .LBB72_180
	s_branch .LBB72_181
.LBB72_179:
                                        ; implicit-def: $vgpr20_vgpr21
.LBB72_180:
	ds_read_b64 v[20:21], v87
.LBB72_181:
	s_and_saveexec_b64 s[4:5], s[2:3]
	s_cbranch_execz .LBB72_185
; %bb.182:
	v_mov_b32_e32 v22, 0x58
	v_lshl_add_u32 v22, v0, 3, v22
	s_mov_b64 s[6:7], 0
.LBB72_183:                             ; =>This Inner Loop Header: Depth=1
	v_add_co_u32_e32 v0, vcc, 1, v0
	v_addc_co_u32_e32 v1, vcc, 0, v1, vcc
	v_cmp_eq_u32_e32 vcc, 1, v0
	v_cndmask_b32_e32 v23, v3, v5, vcc
	v_cmp_eq_u32_e64 s[2:3], 2, v0
	v_cmp_lt_u32_e64 s[0:1], 6, v0
	v_cndmask_b32_e64 v23, v23, v7, s[2:3]
	v_cndmask_b32_e32 v26, v2, v4, vcc
	v_cmp_eq_u32_e32 vcc, 3, v0
	s_or_b64 s[6:7], s[0:1], s[6:7]
	v_cndmask_b32_e32 v23, v23, v9, vcc
	v_cndmask_b32_e64 v26, v26, v6, s[2:3]
	v_cmp_eq_u32_e64 s[0:1], 4, v0
	v_cndmask_b32_e64 v23, v23, v11, s[0:1]
	v_cndmask_b32_e32 v26, v26, v8, vcc
	v_cmp_eq_u32_e32 vcc, 5, v0
	ds_read_b64 v[24:25], v22
	v_cndmask_b32_e32 v23, v23, v13, vcc
	v_cndmask_b32_e64 v26, v26, v10, s[0:1]
	v_cmp_eq_u32_e64 s[0:1], 6, v0
	v_cndmask_b32_e64 v23, v23, v15, s[0:1]
	v_cndmask_b32_e32 v26, v26, v12, vcc
	v_cmp_eq_u32_e32 vcc, 7, v0
	v_cndmask_b32_e32 v23, v23, v17, vcc
	v_cndmask_b32_e64 v26, v26, v14, s[0:1]
	v_cmp_eq_u32_e64 s[0:1], 8, v0
	v_cndmask_b32_e64 v27, v23, v19, s[0:1]
	v_cndmask_b32_e32 v23, v26, v16, vcc
	v_cndmask_b32_e64 v26, v23, v18, s[0:1]
	v_add_u32_e32 v22, 8, v22
	s_waitcnt lgkmcnt(0)
	v_fmac_f64_e32 v[20:21], v[26:27], v[24:25]
	s_andn2_b64 exec, exec, s[6:7]
	s_cbranch_execnz .LBB72_183
; %bb.184:
	s_or_b64 exec, exec, s[6:7]
.LBB72_185:
	s_or_b64 exec, exec, s[4:5]
	v_mov_b32_e32 v0, 0
	ds_read_b64 v[0:1], v0 offset:64
	s_waitcnt lgkmcnt(0)
	v_mul_f64 v[18:19], v[20:21], v[0:1]
.LBB72_186:
	s_or_b64 exec, exec, s[16:17]
	v_pk_mov_b32 v[64:65], v[32:33], v[32:33] op_sel:[0,1]
	v_pk_mov_b32 v[62:63], v[30:31], v[30:31] op_sel:[0,1]
	v_pk_mov_b32 v[60:61], v[28:29], v[28:29] op_sel:[0,1]
	v_pk_mov_b32 v[58:59], v[26:27], v[26:27] op_sel:[0,1]
	v_pk_mov_b32 v[56:57], v[24:25], v[24:25] op_sel:[0,1]
	v_pk_mov_b32 v[54:55], v[22:23], v[22:23] op_sel:[0,1]
	v_pk_mov_b32 v[52:53], v[20:21], v[20:21] op_sel:[0,1]
	v_pk_mov_b32 v[50:51], v[18:19], v[18:19] op_sel:[0,1]
	v_pk_mov_b32 v[48:49], v[16:17], v[16:17] op_sel:[0,1]
	v_pk_mov_b32 v[46:47], v[14:15], v[14:15] op_sel:[0,1]
	v_pk_mov_b32 v[44:45], v[12:13], v[12:13] op_sel:[0,1]
	v_pk_mov_b32 v[42:43], v[10:11], v[10:11] op_sel:[0,1]
	v_pk_mov_b32 v[40:41], v[8:9], v[8:9] op_sel:[0,1]
	v_pk_mov_b32 v[38:39], v[6:7], v[6:7] op_sel:[0,1]
	v_pk_mov_b32 v[36:37], v[4:5], v[4:5] op_sel:[0,1]
	v_pk_mov_b32 v[34:35], v[2:3], v[2:3] op_sel:[0,1]
.LBB72_187:
	global_store_dwordx2 v[66:67], v[34:35], off
	global_store_dwordx2 v[68:69], v[36:37], off
	;; [unrolled: 1-line block ×9, first 2 shown]
.LBB72_188:
	s_endpgm
	.section	.rodata,"a",@progbits
	.p2align	6, 0x0
	.amdhsa_kernel _ZN9rocsolver6v33100L18trti2_kernel_smallILi9EdPKPdEEv13rocblas_fill_17rocblas_diagonal_T1_iil
		.amdhsa_group_segment_fixed_size 152
		.amdhsa_private_segment_fixed_size 0
		.amdhsa_kernarg_size 32
		.amdhsa_user_sgpr_count 6
		.amdhsa_user_sgpr_private_segment_buffer 1
		.amdhsa_user_sgpr_dispatch_ptr 0
		.amdhsa_user_sgpr_queue_ptr 0
		.amdhsa_user_sgpr_kernarg_segment_ptr 1
		.amdhsa_user_sgpr_dispatch_id 0
		.amdhsa_user_sgpr_flat_scratch_init 0
		.amdhsa_user_sgpr_kernarg_preload_length 0
		.amdhsa_user_sgpr_kernarg_preload_offset 0
		.amdhsa_user_sgpr_private_segment_size 0
		.amdhsa_uses_dynamic_stack 0
		.amdhsa_system_sgpr_private_segment_wavefront_offset 0
		.amdhsa_system_sgpr_workgroup_id_x 1
		.amdhsa_system_sgpr_workgroup_id_y 0
		.amdhsa_system_sgpr_workgroup_id_z 0
		.amdhsa_system_sgpr_workgroup_info 0
		.amdhsa_system_vgpr_workitem_id 0
		.amdhsa_next_free_vgpr 112
		.amdhsa_next_free_sgpr 30
		.amdhsa_accum_offset 112
		.amdhsa_reserve_vcc 1
		.amdhsa_reserve_flat_scratch 0
		.amdhsa_float_round_mode_32 0
		.amdhsa_float_round_mode_16_64 0
		.amdhsa_float_denorm_mode_32 3
		.amdhsa_float_denorm_mode_16_64 3
		.amdhsa_dx10_clamp 1
		.amdhsa_ieee_mode 1
		.amdhsa_fp16_overflow 0
		.amdhsa_tg_split 0
		.amdhsa_exception_fp_ieee_invalid_op 0
		.amdhsa_exception_fp_denorm_src 0
		.amdhsa_exception_fp_ieee_div_zero 0
		.amdhsa_exception_fp_ieee_overflow 0
		.amdhsa_exception_fp_ieee_underflow 0
		.amdhsa_exception_fp_ieee_inexact 0
		.amdhsa_exception_int_div_zero 0
	.end_amdhsa_kernel
	.section	.text._ZN9rocsolver6v33100L18trti2_kernel_smallILi9EdPKPdEEv13rocblas_fill_17rocblas_diagonal_T1_iil,"axG",@progbits,_ZN9rocsolver6v33100L18trti2_kernel_smallILi9EdPKPdEEv13rocblas_fill_17rocblas_diagonal_T1_iil,comdat
.Lfunc_end72:
	.size	_ZN9rocsolver6v33100L18trti2_kernel_smallILi9EdPKPdEEv13rocblas_fill_17rocblas_diagonal_T1_iil, .Lfunc_end72-_ZN9rocsolver6v33100L18trti2_kernel_smallILi9EdPKPdEEv13rocblas_fill_17rocblas_diagonal_T1_iil
                                        ; -- End function
	.section	.AMDGPU.csdata,"",@progbits
; Kernel info:
; codeLenInByte = 11880
; NumSgprs: 34
; NumVgprs: 112
; NumAgprs: 0
; TotalNumVgprs: 112
; ScratchSize: 0
; MemoryBound: 0
; FloatMode: 240
; IeeeMode: 1
; LDSByteSize: 152 bytes/workgroup (compile time only)
; SGPRBlocks: 4
; VGPRBlocks: 13
; NumSGPRsForWavesPerEU: 34
; NumVGPRsForWavesPerEU: 112
; AccumOffset: 112
; Occupancy: 4
; WaveLimiterHint : 1
; COMPUTE_PGM_RSRC2:SCRATCH_EN: 0
; COMPUTE_PGM_RSRC2:USER_SGPR: 6
; COMPUTE_PGM_RSRC2:TRAP_HANDLER: 0
; COMPUTE_PGM_RSRC2:TGID_X_EN: 1
; COMPUTE_PGM_RSRC2:TGID_Y_EN: 0
; COMPUTE_PGM_RSRC2:TGID_Z_EN: 0
; COMPUTE_PGM_RSRC2:TIDIG_COMP_CNT: 0
; COMPUTE_PGM_RSRC3_GFX90A:ACCUM_OFFSET: 27
; COMPUTE_PGM_RSRC3_GFX90A:TG_SPLIT: 0
	.section	.text._ZN9rocsolver6v33100L18trti2_kernel_smallILi10EdPKPdEEv13rocblas_fill_17rocblas_diagonal_T1_iil,"axG",@progbits,_ZN9rocsolver6v33100L18trti2_kernel_smallILi10EdPKPdEEv13rocblas_fill_17rocblas_diagonal_T1_iil,comdat
	.globl	_ZN9rocsolver6v33100L18trti2_kernel_smallILi10EdPKPdEEv13rocblas_fill_17rocblas_diagonal_T1_iil ; -- Begin function _ZN9rocsolver6v33100L18trti2_kernel_smallILi10EdPKPdEEv13rocblas_fill_17rocblas_diagonal_T1_iil
	.p2align	8
	.type	_ZN9rocsolver6v33100L18trti2_kernel_smallILi10EdPKPdEEv13rocblas_fill_17rocblas_diagonal_T1_iil,@function
_ZN9rocsolver6v33100L18trti2_kernel_smallILi10EdPKPdEEv13rocblas_fill_17rocblas_diagonal_T1_iil: ; @_ZN9rocsolver6v33100L18trti2_kernel_smallILi10EdPKPdEEv13rocblas_fill_17rocblas_diagonal_T1_iil
; %bb.0:
	v_cmp_gt_u32_e32 vcc, 10, v0
	s_and_saveexec_b64 s[0:1], vcc
	s_cbranch_execz .LBB73_226
; %bb.1:
	s_load_dwordx2 s[0:1], s[4:5], 0x10
	s_load_dwordx4 s[20:23], s[4:5], 0x0
	s_ashr_i32 s7, s6, 31
	s_lshl_b64 s[2:3], s[6:7], 3
	v_lshlrev_b32_e32 v24, 3, v0
	s_waitcnt lgkmcnt(0)
	s_ashr_i32 s5, s0, 31
	s_add_u32 s2, s22, s2
	s_addc_u32 s3, s23, s3
	s_load_dwordx2 s[2:3], s[2:3], 0x0
	s_mov_b32 s4, s0
	s_lshl_b64 s[4:5], s[4:5], 3
	v_mov_b32_e32 v22, 0
	v_mov_b32_e32 v23, 0xbff00000
	s_waitcnt lgkmcnt(0)
	s_add_u32 s2, s2, s4
	s_addc_u32 s3, s3, s5
	v_mov_b32_e32 v1, s3
	v_add_co_u32_e32 v54, vcc, s2, v24
	s_ashr_i32 s5, s1, 31
	s_mov_b32 s4, s1
	s_add_i32 s0, s1, s1
	v_addc_co_u32_e32 v55, vcc, 0, v1, vcc
	s_lshl_b64 s[4:5], s[4:5], 3
	v_add_u32_e32 v2, s0, v0
	v_mov_b32_e32 v1, s5
	v_add_co_u32_e32 v56, vcc, s4, v54
	v_ashrrev_i32_e32 v3, 31, v2
	v_addc_co_u32_e32 v57, vcc, v55, v1, vcc
	v_lshlrev_b64 v[4:5], 3, v[2:3]
	v_add_u32_e32 v2, s1, v2
	v_mov_b32_e32 v1, s3
	v_add_co_u32_e32 v58, vcc, s2, v4
	v_ashrrev_i32_e32 v3, 31, v2
	v_addc_co_u32_e32 v59, vcc, v1, v5, vcc
	v_lshlrev_b64 v[4:5], 3, v[2:3]
	v_add_u32_e32 v2, s1, v2
	v_add_co_u32_e32 v60, vcc, s2, v4
	v_ashrrev_i32_e32 v3, 31, v2
	v_addc_co_u32_e32 v61, vcc, v1, v5, vcc
	v_lshlrev_b64 v[4:5], 3, v[2:3]
	v_add_u32_e32 v2, s1, v2
	;; [unrolled: 5-line block ×6, first 2 shown]
	v_add_co_u32_e32 v70, vcc, s2, v12
	v_ashrrev_i32_e32 v3, 31, v2
	global_load_dwordx2 v[4:5], v[56:57], off
	global_load_dwordx2 v[6:7], v[58:59], off
	global_load_dwordx2 v[8:9], v[60:61], off
	global_load_dwordx2 v[10:11], v[62:63], off
	v_addc_co_u32_e32 v71, vcc, v1, v13, vcc
	global_load_dwordx2 v[12:13], v[64:65], off
	global_load_dwordx2 v[14:15], v[66:67], off
	;; [unrolled: 1-line block ×4, first 2 shown]
	v_lshlrev_b64 v[2:3], 3, v[2:3]
	v_add_co_u32_e32 v72, vcc, s2, v2
	v_addc_co_u32_e32 v73, vcc, v1, v3, vcc
	global_load_dwordx2 v[2:3], v24, s[2:3]
	global_load_dwordx2 v[20:21], v[72:73], off
	s_cmpk_lg_i32 s21, 0x84
	v_mov_b32_e32 v1, 0
	s_cselect_b64 s[22:23], -1, 0
	s_cmpk_eq_i32 s21, 0x84
	v_cmp_eq_u32_e64 s[0:1], 0, v0
	s_cbranch_scc1 .LBB73_3
; %bb.2:
	v_cmp_eq_u32_e64 s[2:3], 1, v0
	s_waitcnt vmcnt(1)
	v_cndmask_b32_e64 v22, v3, v5, s[2:3]
	v_cmp_eq_u32_e64 s[4:5], 2, v0
	v_cndmask_b32_e64 v22, v22, v7, s[4:5]
	v_cmp_eq_u32_e64 s[6:7], 3, v0
	;; [unrolled: 2-line block ×8, first 2 shown]
	s_waitcnt vmcnt(0)
	v_cndmask_b32_e64 v23, v22, v21, s[18:19]
	v_cndmask_b32_e64 v22, v2, v4, s[2:3]
	;; [unrolled: 1-line block ×10, first 2 shown]
	v_div_scale_f64 v[26:27], s[24:25], v[22:23], v[22:23], 1.0
	v_rcp_f64_e32 v[28:29], v[26:27]
	v_fma_f64 v[30:31], -v[26:27], v[28:29], 1.0
	v_fmac_f64_e32 v[28:29], v[28:29], v[30:31]
	v_fma_f64 v[30:31], -v[26:27], v[28:29], 1.0
	v_fmac_f64_e32 v[28:29], v[28:29], v[30:31]
	v_div_scale_f64 v[30:31], vcc, 1.0, v[22:23], 1.0
	v_mul_f64 v[32:33], v[30:31], v[28:29]
	v_fma_f64 v[26:27], -v[26:27], v[32:33], v[30:31]
	s_nop 1
	v_div_fmas_f64 v[26:27], v[26:27], v[28:29], v[32:33]
	v_div_fixup_f64 v[22:23], v[26:27], v[22:23], 1.0
	v_cndmask_b32_e64 v21, v21, v23, s[18:19]
	v_cndmask_b32_e64 v20, v20, v22, s[18:19]
	;; [unrolled: 1-line block ×20, first 2 shown]
	v_xor_b32_e32 v23, 0x80000000, v23
.LBB73_3:
	s_cmpk_eq_i32 s20, 0x79
	v_add_u32_e32 v77, 0x50, v24
	ds_write_b64 v24, v[22:23]
	s_cbranch_scc1 .LBB73_7
; %bb.4:
	s_waitcnt vmcnt(0)
	v_pk_mov_b32 v[52:53], v[32:33], v[32:33] op_sel:[0,1]
	v_cmp_eq_u32_e64 s[0:1], 9, v0
	v_pk_mov_b32 v[50:51], v[30:31], v[30:31] op_sel:[0,1]
	v_pk_mov_b32 v[48:49], v[28:29], v[28:29] op_sel:[0,1]
	;; [unrolled: 1-line block ×15, first 2 shown]
	ds_write_b64 v77, v[18:19]
	s_waitcnt lgkmcnt(0)
	; wave barrier
	s_waitcnt lgkmcnt(0)
	s_and_saveexec_b64 s[18:19], s[0:1]
	s_cbranch_execz .LBB73_11
; %bb.5:
	s_and_b64 vcc, exec, s[22:23]
	s_cbranch_vccz .LBB73_8
; %bb.6:
	v_cmp_eq_u32_e32 vcc, 1, v0
	v_cndmask_b32_e32 v22, v3, v5, vcc
	v_cmp_eq_u32_e64 s[2:3], 2, v0
	v_cndmask_b32_e64 v22, v22, v7, s[2:3]
	v_cmp_eq_u32_e64 s[4:5], 3, v0
	v_cndmask_b32_e64 v22, v22, v9, s[4:5]
	;; [unrolled: 2-line block ×8, first 2 shown]
	v_cndmask_b32_e32 v22, v2, v4, vcc
	v_cndmask_b32_e64 v22, v22, v6, s[2:3]
	v_cndmask_b32_e64 v22, v22, v8, s[4:5]
	;; [unrolled: 1-line block ×4, first 2 shown]
	ds_read_b64 v[24:25], v77
	v_cndmask_b32_e64 v22, v22, v14, s[10:11]
	v_cndmask_b32_e64 v22, v22, v16, s[12:13]
	;; [unrolled: 1-line block ×4, first 2 shown]
	s_waitcnt lgkmcnt(0)
	v_mul_f64 v[26:27], v[22:23], v[24:25]
	s_cbranch_execz .LBB73_9
	s_branch .LBB73_10
.LBB73_7:
                                        ; implicit-def: $vgpr22_vgpr23_vgpr24_vgpr25_vgpr26_vgpr27_vgpr28_vgpr29_vgpr30_vgpr31_vgpr32_vgpr33_vgpr34_vgpr35_vgpr36_vgpr37_vgpr38_vgpr39_vgpr40_vgpr41_vgpr42_vgpr43_vgpr44_vgpr45_vgpr46_vgpr47_vgpr48_vgpr49_vgpr50_vgpr51_vgpr52_vgpr53
	s_cbranch_execnz .LBB73_130
	s_branch .LBB73_225
.LBB73_8:
                                        ; implicit-def: $vgpr26_vgpr27
.LBB73_9:
	ds_read_b64 v[26:27], v77
.LBB73_10:
	v_mov_b32_e32 v22, 0
	ds_read_b64 v[28:29], v22 offset:64
	v_mov_b32_e32 v22, v2
	v_mov_b32_e32 v23, v3
	;; [unrolled: 1-line block ×4, first 2 shown]
	s_waitcnt lgkmcnt(0)
	v_mul_f64 v[38:39], v[26:27], v[28:29]
	v_mov_b32_e32 v26, v6
	v_mov_b32_e32 v27, v7
	;; [unrolled: 1-line block ×14, first 2 shown]
.LBB73_11:
	s_or_b64 exec, exec, s[18:19]
	v_cmp_lt_u32_e64 s[2:3], 7, v0
	ds_write_b64 v77, v[36:37]
	s_waitcnt lgkmcnt(0)
	; wave barrier
	s_waitcnt lgkmcnt(0)
	s_and_saveexec_b64 s[20:21], s[2:3]
	s_cbranch_execz .LBB73_17
; %bb.12:
	s_andn2_b64 vcc, exec, s[22:23]
	s_cbranch_vccnz .LBB73_14
; %bb.13:
	v_cmp_eq_u32_e32 vcc, 1, v0
	v_cndmask_b32_e32 v42, v23, v25, vcc
	v_cmp_eq_u32_e64 s[4:5], 2, v0
	v_cndmask_b32_e64 v42, v42, v27, s[4:5]
	v_cmp_eq_u32_e64 s[6:7], 3, v0
	v_cndmask_b32_e64 v42, v42, v29, s[6:7]
	;; [unrolled: 2-line block ×6, first 2 shown]
	v_cndmask_b32_e32 v42, v22, v24, vcc
	v_cndmask_b32_e64 v42, v42, v26, s[4:5]
	v_cndmask_b32_e64 v42, v42, v28, s[6:7]
	;; [unrolled: 1-line block ×4, first 2 shown]
	ds_read_b64 v[42:43], v77
	v_cndmask_b32_e64 v44, v44, v34, s[12:13]
	v_cmp_eq_u32_e64 s[16:17], 8, v0
	v_cndmask_b32_e64 v36, v44, v36, s[14:15]
	v_cndmask_b32_e64 v37, v37, v39, s[16:17]
	v_cmp_eq_u32_e64 s[18:19], 9, v0
	v_cndmask_b32_e64 v36, v36, v38, s[16:17]
	v_cndmask_b32_e64 v37, v37, v41, s[18:19]
	;; [unrolled: 1-line block ×3, first 2 shown]
	s_waitcnt lgkmcnt(0)
	v_mul_f64 v[36:37], v[36:37], v[42:43]
	s_cbranch_execz .LBB73_15
	s_branch .LBB73_16
.LBB73_14:
                                        ; implicit-def: $vgpr36_vgpr37
.LBB73_15:
	ds_read_b64 v[36:37], v77
.LBB73_16:
	v_mov_b32_e32 v42, 0
	ds_read2_b64 v[42:45], v42 offset0:7 offset1:18
	s_waitcnt lgkmcnt(0)
	v_fma_f64 v[44:45], v[38:39], v[44:45], v[36:37]
	v_cndmask_b32_e64 v37, v37, v45, s[0:1]
	v_cndmask_b32_e64 v36, v36, v44, s[0:1]
	v_mul_f64 v[36:37], v[36:37], v[42:43]
.LBB73_17:
	s_or_b64 exec, exec, s[20:21]
	v_cmp_lt_u32_e64 s[0:1], 6, v0
	ds_write_b64 v77, v[34:35]
	s_waitcnt lgkmcnt(0)
	; wave barrier
	s_waitcnt lgkmcnt(0)
	s_and_saveexec_b64 s[20:21], s[0:1]
	s_cbranch_execz .LBB73_33
; %bb.18:
	s_andn2_b64 vcc, exec, s[22:23]
	s_cbranch_vccnz .LBB73_20
; %bb.19:
	v_cmp_eq_u32_e32 vcc, 1, v0
	v_cndmask_b32_e32 v74, v23, v25, vcc
	v_cmp_eq_u32_e64 s[4:5], 2, v0
	v_cndmask_b32_e64 v74, v74, v27, s[4:5]
	v_cmp_eq_u32_e64 s[6:7], 3, v0
	v_cndmask_b32_e64 v74, v74, v29, s[6:7]
	;; [unrolled: 2-line block ×8, first 2 shown]
	v_cndmask_b32_e32 v74, v22, v24, vcc
	v_cndmask_b32_e64 v74, v74, v26, s[4:5]
	v_cndmask_b32_e64 v74, v74, v28, s[6:7]
	;; [unrolled: 1-line block ×4, first 2 shown]
	ds_read_b64 v[78:79], v77
	v_cndmask_b32_e64 v74, v74, v34, s[12:13]
	v_cndmask_b32_e64 v74, v74, v36, s[14:15]
	v_cndmask_b32_e64 v74, v74, v38, s[16:17]
	v_cndmask_b32_e64 v74, v74, v40, s[18:19]
	s_waitcnt lgkmcnt(0)
	v_mul_f64 v[74:75], v[74:75], v[78:79]
	s_cbranch_execz .LBB73_21
	s_branch .LBB73_22
.LBB73_20:
                                        ; implicit-def: $vgpr74_vgpr75
.LBB73_21:
	ds_read_b64 v[74:75], v77
.LBB73_22:
	s_and_saveexec_b64 s[6:7], s[2:3]
	s_cbranch_execz .LBB73_32
; %bb.23:
	v_add_u32_e32 v76, -8, v0
	v_add_u32_e32 v79, -7, v0
	v_cmp_lt_u32_e32 vcc, 6, v76
	v_mov_b32_e32 v78, 7
	s_and_saveexec_b64 s[2:3], vcc
	s_cbranch_execz .LBB73_27
; %bb.24:
	v_and_b32_e32 v76, -8, v79
	v_sub_u32_e32 v76, 0, v76
	s_mov_b64 s[4:5], 14
	s_movk_i32 s10, 0x88
	s_mov_b64 s[8:9], 0
.LBB73_25:                              ; =>This Inner Loop Header: Depth=1
	s_lshl_b32 s11, s4, 1
	s_add_i32 s12, s11, -13
	v_mov_b32_e32 v94, s10
	s_add_i32 s13, s11, -14
	s_set_gpr_idx_on s12, gpr_idx(SRC0)
	v_mov_b32_e32 v89, v22
	s_set_gpr_idx_off
	s_add_i32 s14, s11, -11
	s_set_gpr_idx_on s13, gpr_idx(SRC0)
	v_mov_b32_e32 v88, v22
	s_set_gpr_idx_off
	ds_read2_b64 v[80:83], v94 offset1:1
	s_add_i32 s15, s11, -12
	s_set_gpr_idx_on s14, gpr_idx(SRC0)
	v_mov_b32_e32 v91, v22
	s_set_gpr_idx_off
	s_add_i32 s16, s11, -9
	s_set_gpr_idx_on s15, gpr_idx(SRC0)
	v_mov_b32_e32 v90, v22
	s_set_gpr_idx_off
	;; [unrolled: 4-line block ×4, first 2 shown]
	ds_read2_b64 v[84:87], v94 offset0:2 offset1:3
	s_add_i32 s19, s11, -8
	s_waitcnt lgkmcnt(1)
	v_fmac_f64_e32 v[74:75], v[88:89], v[80:81]
	s_set_gpr_idx_on s18, gpr_idx(SRC0)
	v_mov_b32_e32 v89, v22
	s_set_gpr_idx_off
	s_add_i32 s24, s11, -5
	v_fmac_f64_e32 v[74:75], v[90:91], v[82:83]
	s_set_gpr_idx_on s19, gpr_idx(SRC0)
	v_mov_b32_e32 v88, v22
	s_set_gpr_idx_off
	s_add_i32 s25, s11, -6
	s_set_gpr_idx_on s24, gpr_idx(SRC0)
	v_mov_b32_e32 v91, v22
	s_set_gpr_idx_off
	s_add_i32 s26, s11, -3
	;; [unrolled: 4-line block ×3, first 2 shown]
	ds_read2_b64 v[80:83], v94 offset0:4 offset1:5
	s_waitcnt lgkmcnt(1)
	v_fmac_f64_e32 v[74:75], v[92:93], v[84:85]
	s_set_gpr_idx_on s26, gpr_idx(SRC0)
	v_mov_b32_e32 v93, v22
	s_set_gpr_idx_off
	s_add_i32 s28, s11, -1
	v_fmac_f64_e32 v[74:75], v[88:89], v[86:87]
	s_set_gpr_idx_on s27, gpr_idx(SRC0)
	v_mov_b32_e32 v92, v22
	s_set_gpr_idx_off
	s_add_i32 s29, s11, -2
	s_set_gpr_idx_on s28, gpr_idx(SRC0)
	v_mov_b32_e32 v89, v22
	s_set_gpr_idx_off
	s_set_gpr_idx_on s29, gpr_idx(SRC0)
	v_mov_b32_e32 v88, v22
	s_set_gpr_idx_off
	ds_read2_b64 v[84:87], v94 offset0:6 offset1:7
	s_add_u32 s4, s4, 8
	s_waitcnt lgkmcnt(1)
	v_fmac_f64_e32 v[74:75], v[90:91], v[80:81]
	s_set_gpr_idx_on s11, gpr_idx(SRC0)
	v_mov_b32_e32 v81, v23
	s_set_gpr_idx_off
	v_add_u32_e32 v78, s4, v76
	v_fmac_f64_e32 v[74:75], v[92:93], v[82:83]
	s_set_gpr_idx_on s11, gpr_idx(SRC0)
	v_mov_b32_e32 v80, v22
	s_set_gpr_idx_off
	s_addc_u32 s5, s5, 0
	s_add_i32 s10, s10, 64
	s_add_i32 s12, s4, -7
	v_cmp_eq_u32_e32 vcc, 14, v78
	s_waitcnt lgkmcnt(0)
	v_fmac_f64_e32 v[74:75], v[88:89], v[84:85]
	v_mov_b32_e32 v78, s12
	s_or_b64 s[8:9], vcc, s[8:9]
	v_fmac_f64_e32 v[74:75], v[80:81], v[86:87]
	s_andn2_b64 exec, exec, s[8:9]
	s_cbranch_execnz .LBB73_25
; %bb.26:
	s_or_b64 exec, exec, s[8:9]
.LBB73_27:
	s_or_b64 exec, exec, s[2:3]
	v_and_b32_e32 v42, 7, v79
	v_cmp_ne_u32_e32 vcc, 0, v42
	s_and_saveexec_b64 s[8:9], vcc
	s_cbranch_execz .LBB73_31
; %bb.28:
	v_mov_b32_e32 v43, 0x50
	v_lshl_add_u32 v44, v78, 3, v43
	v_mov_b32_e32 v43, 0
	s_mov_b64 s[10:11], 0
.LBB73_29:                              ; =>This Inner Loop Header: Depth=1
	v_cmp_eq_u32_e32 vcc, 1, v78
	v_cndmask_b32_e32 v45, v23, v25, vcc
	v_add_u32_e32 v42, -1, v42
	v_cmp_eq_u32_e64 s[2:3], 2, v78
	v_cndmask_b32_e64 v45, v45, v27, s[2:3]
	v_cndmask_b32_e32 v48, v22, v24, vcc
	v_cmp_eq_u32_e32 vcc, 0, v42
	v_cmp_eq_u32_e64 s[4:5], 3, v78
	v_cndmask_b32_e64 v45, v45, v29, s[4:5]
	v_cndmask_b32_e64 v48, v48, v26, s[2:3]
	s_or_b64 s[10:11], vcc, s[10:11]
	v_cmp_eq_u32_e32 vcc, 4, v78
	v_cndmask_b32_e32 v45, v45, v31, vcc
	v_cndmask_b32_e64 v48, v48, v28, s[4:5]
	v_cmp_eq_u32_e64 s[2:3], 5, v78
	v_cndmask_b32_e64 v45, v45, v33, s[2:3]
	v_cndmask_b32_e32 v48, v48, v30, vcc
	v_cmp_eq_u32_e32 vcc, 6, v78
	ds_read_b64 v[46:47], v44
	v_cndmask_b32_e32 v45, v45, v35, vcc
	v_cndmask_b32_e64 v48, v48, v32, s[2:3]
	v_cmp_eq_u32_e64 s[2:3], 7, v78
	v_cndmask_b32_e64 v45, v45, v37, s[2:3]
	v_cndmask_b32_e32 v48, v48, v34, vcc
	v_cmp_eq_u32_e32 vcc, 8, v78
	v_cndmask_b32_e32 v45, v45, v39, vcc
	v_cmp_eq_u32_e64 s[4:5], 9, v78
	v_cndmask_b32_e64 v48, v48, v36, s[2:3]
	v_cndmask_b32_e64 v49, v45, v41, s[4:5]
	v_cndmask_b32_e32 v45, v48, v38, vcc
	v_add_co_u32_e64 v78, s[2:3], 1, v78
	v_cndmask_b32_e64 v48, v45, v40, s[4:5]
	v_add_u32_e32 v44, 8, v44
	v_addc_co_u32_e64 v43, s[2:3], 0, v43, s[2:3]
	s_waitcnt lgkmcnt(0)
	v_fmac_f64_e32 v[74:75], v[48:49], v[46:47]
	s_andn2_b64 exec, exec, s[10:11]
	s_cbranch_execnz .LBB73_29
; %bb.30:
	s_or_b64 exec, exec, s[10:11]
.LBB73_31:
	s_or_b64 exec, exec, s[8:9]
.LBB73_32:
	s_or_b64 exec, exec, s[6:7]
	v_mov_b32_e32 v34, 0
	ds_read_b64 v[34:35], v34 offset:48
	s_waitcnt lgkmcnt(0)
	v_mul_f64 v[34:35], v[74:75], v[34:35]
.LBB73_33:
	s_or_b64 exec, exec, s[20:21]
	v_cmp_lt_u32_e64 s[2:3], 5, v0
	ds_write_b64 v77, v[32:33]
	s_waitcnt lgkmcnt(0)
	; wave barrier
	s_waitcnt lgkmcnt(0)
	s_and_saveexec_b64 s[20:21], s[2:3]
	s_cbranch_execz .LBB73_49
; %bb.34:
	s_andn2_b64 vcc, exec, s[22:23]
	s_cbranch_vccnz .LBB73_36
; %bb.35:
	v_cmp_eq_u32_e32 vcc, 1, v0
	v_cndmask_b32_e32 v74, v23, v25, vcc
	v_cmp_eq_u32_e64 s[4:5], 2, v0
	v_cndmask_b32_e64 v74, v74, v27, s[4:5]
	v_cmp_eq_u32_e64 s[6:7], 3, v0
	v_cndmask_b32_e64 v74, v74, v29, s[6:7]
	;; [unrolled: 2-line block ×8, first 2 shown]
	v_cndmask_b32_e32 v74, v22, v24, vcc
	v_cndmask_b32_e64 v74, v74, v26, s[4:5]
	v_cndmask_b32_e64 v74, v74, v28, s[6:7]
	;; [unrolled: 1-line block ×4, first 2 shown]
	ds_read_b64 v[78:79], v77
	v_cndmask_b32_e64 v74, v74, v34, s[12:13]
	v_cndmask_b32_e64 v74, v74, v36, s[14:15]
	;; [unrolled: 1-line block ×4, first 2 shown]
	s_waitcnt lgkmcnt(0)
	v_mul_f64 v[74:75], v[74:75], v[78:79]
	s_cbranch_execz .LBB73_37
	s_branch .LBB73_38
.LBB73_36:
                                        ; implicit-def: $vgpr74_vgpr75
.LBB73_37:
	ds_read_b64 v[74:75], v77
.LBB73_38:
	s_and_saveexec_b64 s[6:7], s[0:1]
	s_cbranch_execz .LBB73_48
; %bb.39:
	v_add_u32_e32 v76, -7, v0
	v_add_u32_e32 v79, -6, v0
	v_cmp_lt_u32_e32 vcc, 6, v76
	v_mov_b32_e32 v78, 6
	s_and_saveexec_b64 s[0:1], vcc
	s_cbranch_execz .LBB73_43
; %bb.40:
	v_and_b32_e32 v76, -8, v79
	v_sub_u32_e32 v76, 0, v76
	s_mov_b64 s[4:5], 13
	s_movk_i32 s10, 0x80
	s_mov_b64 s[8:9], 0
.LBB73_41:                              ; =>This Inner Loop Header: Depth=1
	s_lshl_b32 s11, s4, 1
	s_add_i32 s12, s11, -13
	s_add_i32 s13, s11, -14
	s_set_gpr_idx_on s12, gpr_idx(SRC0)
	v_mov_b32_e32 v97, v22
	s_set_gpr_idx_off
	v_mov_b32_e32 v78, s10
	s_add_i32 s14, s11, -11
	s_set_gpr_idx_on s13, gpr_idx(SRC0)
	v_mov_b32_e32 v96, v22
	s_set_gpr_idx_off
	s_add_i32 s15, s11, -12
	ds_read_b128 v[80:83], v78
	ds_read_b128 v[84:87], v78 offset:16
	ds_read_b128 v[88:91], v78 offset:32
	;; [unrolled: 1-line block ×3, first 2 shown]
	s_set_gpr_idx_on s14, gpr_idx(SRC0)
	v_mov_b32_e32 v99, v22
	s_set_gpr_idx_off
	s_add_i32 s16, s11, -9
	s_set_gpr_idx_on s15, gpr_idx(SRC0)
	v_mov_b32_e32 v98, v22
	s_set_gpr_idx_off
	s_add_i32 s17, s11, -10
	;; [unrolled: 4-line block ×4, first 2 shown]
	s_waitcnt lgkmcnt(3)
	v_fmac_f64_e32 v[74:75], v[96:97], v[80:81]
	s_set_gpr_idx_on s18, gpr_idx(SRC0)
	v_mov_b32_e32 v81, v22
	s_set_gpr_idx_off
	s_add_i32 s24, s11, -5
	v_fmac_f64_e32 v[74:75], v[98:99], v[82:83]
	s_set_gpr_idx_on s19, gpr_idx(SRC0)
	v_mov_b32_e32 v80, v22
	s_set_gpr_idx_off
	s_add_i32 s25, s11, -6
	s_waitcnt lgkmcnt(2)
	v_fmac_f64_e32 v[74:75], v[100:101], v[84:85]
	s_set_gpr_idx_on s24, gpr_idx(SRC0)
	v_mov_b32_e32 v83, v22
	s_set_gpr_idx_off
	s_add_i32 s26, s11, -3
	v_fmac_f64_e32 v[74:75], v[80:81], v[86:87]
	s_set_gpr_idx_on s25, gpr_idx(SRC0)
	v_mov_b32_e32 v82, v22
	s_set_gpr_idx_off
	s_add_i32 s27, s11, -4
	s_waitcnt lgkmcnt(1)
	v_fmac_f64_e32 v[74:75], v[82:83], v[88:89]
	s_set_gpr_idx_on s26, gpr_idx(SRC0)
	v_mov_b32_e32 v81, v22
	s_set_gpr_idx_off
	s_add_i32 s28, s11, -1
	s_set_gpr_idx_on s27, gpr_idx(SRC0)
	v_mov_b32_e32 v80, v22
	s_set_gpr_idx_off
	s_add_i32 s29, s11, -2
	v_fmac_f64_e32 v[74:75], v[80:81], v[90:91]
	s_set_gpr_idx_on s28, gpr_idx(SRC0)
	v_mov_b32_e32 v81, v22
	s_set_gpr_idx_off
	s_add_u32 s4, s4, 8
	s_set_gpr_idx_on s29, gpr_idx(SRC0)
	v_mov_b32_e32 v80, v22
	s_set_gpr_idx_off
	v_add_u32_e32 v78, s4, v76
	s_waitcnt lgkmcnt(0)
	v_fmac_f64_e32 v[74:75], v[80:81], v[92:93]
	s_set_gpr_idx_on s11, gpr_idx(SRC0)
	v_mov_b32_e32 v81, v23
	s_set_gpr_idx_off
	s_addc_u32 s5, s5, 0
	s_add_i32 s10, s10, 64
	s_add_i32 s12, s4, -7
	v_cmp_eq_u32_e32 vcc, 13, v78
	s_set_gpr_idx_on s11, gpr_idx(SRC0)
	v_mov_b32_e32 v80, v22
	s_set_gpr_idx_off
	v_mov_b32_e32 v78, s12
	s_or_b64 s[8:9], vcc, s[8:9]
	v_fmac_f64_e32 v[74:75], v[80:81], v[94:95]
	s_andn2_b64 exec, exec, s[8:9]
	s_cbranch_execnz .LBB73_41
; %bb.42:
	s_or_b64 exec, exec, s[8:9]
.LBB73_43:
	s_or_b64 exec, exec, s[0:1]
	v_and_b32_e32 v42, 7, v79
	v_cmp_ne_u32_e32 vcc, 0, v42
	s_and_saveexec_b64 s[8:9], vcc
	s_cbranch_execz .LBB73_47
; %bb.44:
	v_mov_b32_e32 v43, 0x50
	v_lshl_add_u32 v44, v78, 3, v43
	v_mov_b32_e32 v43, 0
	s_mov_b64 s[10:11], 0
.LBB73_45:                              ; =>This Inner Loop Header: Depth=1
	v_cmp_eq_u32_e32 vcc, 1, v78
	v_cndmask_b32_e32 v45, v23, v25, vcc
	v_add_u32_e32 v42, -1, v42
	v_cmp_eq_u32_e64 s[0:1], 2, v78
	v_cndmask_b32_e64 v45, v45, v27, s[0:1]
	v_cndmask_b32_e32 v48, v22, v24, vcc
	v_cmp_eq_u32_e32 vcc, 0, v42
	v_cmp_eq_u32_e64 s[4:5], 3, v78
	v_cndmask_b32_e64 v45, v45, v29, s[4:5]
	v_cndmask_b32_e64 v48, v48, v26, s[0:1]
	s_or_b64 s[10:11], vcc, s[10:11]
	v_cmp_eq_u32_e32 vcc, 4, v78
	v_cndmask_b32_e32 v45, v45, v31, vcc
	v_cndmask_b32_e64 v48, v48, v28, s[4:5]
	v_cmp_eq_u32_e64 s[0:1], 5, v78
	v_cndmask_b32_e64 v45, v45, v33, s[0:1]
	v_cndmask_b32_e32 v48, v48, v30, vcc
	v_cmp_eq_u32_e32 vcc, 6, v78
	ds_read_b64 v[46:47], v44
	v_cndmask_b32_e32 v45, v45, v35, vcc
	v_cndmask_b32_e64 v48, v48, v32, s[0:1]
	v_cmp_eq_u32_e64 s[0:1], 7, v78
	v_cndmask_b32_e64 v45, v45, v37, s[0:1]
	v_cndmask_b32_e32 v48, v48, v34, vcc
	v_cmp_eq_u32_e32 vcc, 8, v78
	v_cndmask_b32_e32 v45, v45, v39, vcc
	v_cmp_eq_u32_e64 s[4:5], 9, v78
	v_cndmask_b32_e64 v48, v48, v36, s[0:1]
	v_cndmask_b32_e64 v49, v45, v41, s[4:5]
	v_cndmask_b32_e32 v45, v48, v38, vcc
	v_add_co_u32_e64 v78, s[0:1], 1, v78
	v_cndmask_b32_e64 v48, v45, v40, s[4:5]
	v_add_u32_e32 v44, 8, v44
	v_addc_co_u32_e64 v43, s[0:1], 0, v43, s[0:1]
	s_waitcnt lgkmcnt(0)
	v_fmac_f64_e32 v[74:75], v[48:49], v[46:47]
	s_andn2_b64 exec, exec, s[10:11]
	s_cbranch_execnz .LBB73_45
; %bb.46:
	s_or_b64 exec, exec, s[10:11]
.LBB73_47:
	s_or_b64 exec, exec, s[8:9]
.LBB73_48:
	s_or_b64 exec, exec, s[6:7]
	v_mov_b32_e32 v32, 0
	ds_read_b64 v[32:33], v32 offset:40
	s_waitcnt lgkmcnt(0)
	v_mul_f64 v[32:33], v[74:75], v[32:33]
.LBB73_49:
	s_or_b64 exec, exec, s[20:21]
	v_cmp_lt_u32_e64 s[0:1], 4, v0
	ds_write_b64 v77, v[30:31]
	s_waitcnt lgkmcnt(0)
	; wave barrier
	s_waitcnt lgkmcnt(0)
	s_and_saveexec_b64 s[20:21], s[0:1]
	s_cbranch_execz .LBB73_65
; %bb.50:
	s_andn2_b64 vcc, exec, s[22:23]
	s_cbranch_vccnz .LBB73_52
; %bb.51:
	v_cmp_eq_u32_e32 vcc, 1, v0
	v_cndmask_b32_e32 v74, v23, v25, vcc
	v_cmp_eq_u32_e64 s[4:5], 2, v0
	v_cndmask_b32_e64 v74, v74, v27, s[4:5]
	v_cmp_eq_u32_e64 s[6:7], 3, v0
	v_cndmask_b32_e64 v74, v74, v29, s[6:7]
	;; [unrolled: 2-line block ×8, first 2 shown]
	v_cndmask_b32_e32 v74, v22, v24, vcc
	v_cndmask_b32_e64 v74, v74, v26, s[4:5]
	v_cndmask_b32_e64 v74, v74, v28, s[6:7]
	v_cndmask_b32_e64 v74, v74, v30, s[8:9]
	v_cndmask_b32_e64 v74, v74, v32, s[10:11]
	ds_read_b64 v[78:79], v77
	v_cndmask_b32_e64 v74, v74, v34, s[12:13]
	v_cndmask_b32_e64 v74, v74, v36, s[14:15]
	;; [unrolled: 1-line block ×4, first 2 shown]
	s_waitcnt lgkmcnt(0)
	v_mul_f64 v[74:75], v[74:75], v[78:79]
	s_cbranch_execz .LBB73_53
	s_branch .LBB73_54
.LBB73_52:
                                        ; implicit-def: $vgpr74_vgpr75
.LBB73_53:
	ds_read_b64 v[74:75], v77
.LBB73_54:
	s_and_saveexec_b64 s[6:7], s[2:3]
	s_cbranch_execz .LBB73_64
; %bb.55:
	v_add_u32_e32 v76, -6, v0
	v_add_u32_e32 v79, -5, v0
	v_cmp_lt_u32_e32 vcc, 6, v76
	v_mov_b32_e32 v78, 5
	s_and_saveexec_b64 s[2:3], vcc
	s_cbranch_execz .LBB73_59
; %bb.56:
	v_and_b32_e32 v76, -8, v79
	v_sub_u32_e32 v76, 0, v76
	s_mov_b64 s[4:5], 12
	s_movk_i32 s10, 0x78
	s_mov_b64 s[8:9], 0
.LBB73_57:                              ; =>This Inner Loop Header: Depth=1
	s_lshl_b32 s11, s4, 1
	s_add_i32 s12, s11, -13
	v_mov_b32_e32 v94, s10
	s_add_i32 s13, s11, -14
	s_set_gpr_idx_on s12, gpr_idx(SRC0)
	v_mov_b32_e32 v89, v22
	s_set_gpr_idx_off
	s_add_i32 s14, s11, -11
	s_set_gpr_idx_on s13, gpr_idx(SRC0)
	v_mov_b32_e32 v88, v22
	s_set_gpr_idx_off
	ds_read2_b64 v[80:83], v94 offset1:1
	s_add_i32 s15, s11, -12
	s_set_gpr_idx_on s14, gpr_idx(SRC0)
	v_mov_b32_e32 v91, v22
	s_set_gpr_idx_off
	s_add_i32 s16, s11, -9
	s_set_gpr_idx_on s15, gpr_idx(SRC0)
	v_mov_b32_e32 v90, v22
	s_set_gpr_idx_off
	;; [unrolled: 4-line block ×4, first 2 shown]
	ds_read2_b64 v[84:87], v94 offset0:2 offset1:3
	s_add_i32 s19, s11, -8
	s_waitcnt lgkmcnt(1)
	v_fmac_f64_e32 v[74:75], v[88:89], v[80:81]
	s_set_gpr_idx_on s18, gpr_idx(SRC0)
	v_mov_b32_e32 v89, v22
	s_set_gpr_idx_off
	s_add_i32 s24, s11, -5
	v_fmac_f64_e32 v[74:75], v[90:91], v[82:83]
	s_set_gpr_idx_on s19, gpr_idx(SRC0)
	v_mov_b32_e32 v88, v22
	s_set_gpr_idx_off
	s_add_i32 s25, s11, -6
	s_set_gpr_idx_on s24, gpr_idx(SRC0)
	v_mov_b32_e32 v91, v22
	s_set_gpr_idx_off
	s_add_i32 s26, s11, -3
	;; [unrolled: 4-line block ×3, first 2 shown]
	ds_read2_b64 v[80:83], v94 offset0:4 offset1:5
	s_waitcnt lgkmcnt(1)
	v_fmac_f64_e32 v[74:75], v[92:93], v[84:85]
	s_set_gpr_idx_on s26, gpr_idx(SRC0)
	v_mov_b32_e32 v93, v22
	s_set_gpr_idx_off
	s_add_i32 s28, s11, -1
	v_fmac_f64_e32 v[74:75], v[88:89], v[86:87]
	s_set_gpr_idx_on s27, gpr_idx(SRC0)
	v_mov_b32_e32 v92, v22
	s_set_gpr_idx_off
	s_add_i32 s29, s11, -2
	s_set_gpr_idx_on s28, gpr_idx(SRC0)
	v_mov_b32_e32 v89, v22
	s_set_gpr_idx_off
	s_set_gpr_idx_on s29, gpr_idx(SRC0)
	v_mov_b32_e32 v88, v22
	s_set_gpr_idx_off
	ds_read2_b64 v[84:87], v94 offset0:6 offset1:7
	s_add_u32 s4, s4, 8
	s_waitcnt lgkmcnt(1)
	v_fmac_f64_e32 v[74:75], v[90:91], v[80:81]
	s_set_gpr_idx_on s11, gpr_idx(SRC0)
	v_mov_b32_e32 v81, v23
	s_set_gpr_idx_off
	v_add_u32_e32 v78, s4, v76
	v_fmac_f64_e32 v[74:75], v[92:93], v[82:83]
	s_set_gpr_idx_on s11, gpr_idx(SRC0)
	v_mov_b32_e32 v80, v22
	s_set_gpr_idx_off
	s_addc_u32 s5, s5, 0
	s_add_i32 s10, s10, 64
	s_add_i32 s12, s4, -7
	v_cmp_eq_u32_e32 vcc, 12, v78
	s_waitcnt lgkmcnt(0)
	v_fmac_f64_e32 v[74:75], v[88:89], v[84:85]
	v_mov_b32_e32 v78, s12
	s_or_b64 s[8:9], vcc, s[8:9]
	v_fmac_f64_e32 v[74:75], v[80:81], v[86:87]
	s_andn2_b64 exec, exec, s[8:9]
	s_cbranch_execnz .LBB73_57
; %bb.58:
	s_or_b64 exec, exec, s[8:9]
.LBB73_59:
	s_or_b64 exec, exec, s[2:3]
	v_and_b32_e32 v42, 7, v79
	v_cmp_ne_u32_e32 vcc, 0, v42
	s_and_saveexec_b64 s[8:9], vcc
	s_cbranch_execz .LBB73_63
; %bb.60:
	v_mov_b32_e32 v43, 0x50
	v_lshl_add_u32 v44, v78, 3, v43
	v_mov_b32_e32 v43, 0
	s_mov_b64 s[10:11], 0
.LBB73_61:                              ; =>This Inner Loop Header: Depth=1
	v_cmp_eq_u32_e32 vcc, 1, v78
	v_cndmask_b32_e32 v45, v23, v25, vcc
	v_add_u32_e32 v42, -1, v42
	v_cmp_eq_u32_e64 s[2:3], 2, v78
	v_cndmask_b32_e64 v45, v45, v27, s[2:3]
	v_cndmask_b32_e32 v48, v22, v24, vcc
	v_cmp_eq_u32_e32 vcc, 0, v42
	v_cmp_eq_u32_e64 s[4:5], 3, v78
	v_cndmask_b32_e64 v45, v45, v29, s[4:5]
	v_cndmask_b32_e64 v48, v48, v26, s[2:3]
	s_or_b64 s[10:11], vcc, s[10:11]
	v_cmp_eq_u32_e32 vcc, 4, v78
	v_cndmask_b32_e32 v45, v45, v31, vcc
	v_cndmask_b32_e64 v48, v48, v28, s[4:5]
	v_cmp_eq_u32_e64 s[2:3], 5, v78
	v_cndmask_b32_e64 v45, v45, v33, s[2:3]
	v_cndmask_b32_e32 v48, v48, v30, vcc
	v_cmp_eq_u32_e32 vcc, 6, v78
	ds_read_b64 v[46:47], v44
	v_cndmask_b32_e32 v45, v45, v35, vcc
	v_cndmask_b32_e64 v48, v48, v32, s[2:3]
	v_cmp_eq_u32_e64 s[2:3], 7, v78
	v_cndmask_b32_e64 v45, v45, v37, s[2:3]
	v_cndmask_b32_e32 v48, v48, v34, vcc
	v_cmp_eq_u32_e32 vcc, 8, v78
	v_cndmask_b32_e32 v45, v45, v39, vcc
	v_cmp_eq_u32_e64 s[4:5], 9, v78
	v_cndmask_b32_e64 v48, v48, v36, s[2:3]
	v_cndmask_b32_e64 v49, v45, v41, s[4:5]
	v_cndmask_b32_e32 v45, v48, v38, vcc
	v_add_co_u32_e64 v78, s[2:3], 1, v78
	v_cndmask_b32_e64 v48, v45, v40, s[4:5]
	v_add_u32_e32 v44, 8, v44
	v_addc_co_u32_e64 v43, s[2:3], 0, v43, s[2:3]
	s_waitcnt lgkmcnt(0)
	v_fmac_f64_e32 v[74:75], v[48:49], v[46:47]
	s_andn2_b64 exec, exec, s[10:11]
	s_cbranch_execnz .LBB73_61
; %bb.62:
	s_or_b64 exec, exec, s[10:11]
.LBB73_63:
	s_or_b64 exec, exec, s[8:9]
.LBB73_64:
	s_or_b64 exec, exec, s[6:7]
	v_mov_b32_e32 v30, 0
	ds_read_b64 v[30:31], v30 offset:32
	s_waitcnt lgkmcnt(0)
	v_mul_f64 v[30:31], v[74:75], v[30:31]
.LBB73_65:
	s_or_b64 exec, exec, s[20:21]
	v_cmp_lt_u32_e64 s[2:3], 3, v0
	ds_write_b64 v77, v[28:29]
	s_waitcnt lgkmcnt(0)
	; wave barrier
	s_waitcnt lgkmcnt(0)
	s_and_saveexec_b64 s[20:21], s[2:3]
	s_cbranch_execz .LBB73_81
; %bb.66:
	s_andn2_b64 vcc, exec, s[22:23]
	s_cbranch_vccnz .LBB73_68
; %bb.67:
	v_cmp_eq_u32_e32 vcc, 1, v0
	v_cndmask_b32_e32 v74, v23, v25, vcc
	v_cmp_eq_u32_e64 s[4:5], 2, v0
	v_cndmask_b32_e64 v74, v74, v27, s[4:5]
	v_cmp_eq_u32_e64 s[6:7], 3, v0
	v_cndmask_b32_e64 v74, v74, v29, s[6:7]
	;; [unrolled: 2-line block ×8, first 2 shown]
	v_cndmask_b32_e32 v74, v22, v24, vcc
	v_cndmask_b32_e64 v74, v74, v26, s[4:5]
	v_cndmask_b32_e64 v74, v74, v28, s[6:7]
	;; [unrolled: 1-line block ×4, first 2 shown]
	ds_read_b64 v[78:79], v77
	v_cndmask_b32_e64 v74, v74, v34, s[12:13]
	v_cndmask_b32_e64 v74, v74, v36, s[14:15]
	;; [unrolled: 1-line block ×4, first 2 shown]
	s_waitcnt lgkmcnt(0)
	v_mul_f64 v[74:75], v[74:75], v[78:79]
	s_cbranch_execz .LBB73_69
	s_branch .LBB73_70
.LBB73_68:
                                        ; implicit-def: $vgpr74_vgpr75
.LBB73_69:
	ds_read_b64 v[74:75], v77
.LBB73_70:
	s_and_saveexec_b64 s[6:7], s[0:1]
	s_cbranch_execz .LBB73_80
; %bb.71:
	v_add_u32_e32 v76, -5, v0
	v_add_u32_e32 v79, -4, v0
	v_cmp_lt_u32_e32 vcc, 6, v76
	v_mov_b32_e32 v78, 4
	s_and_saveexec_b64 s[0:1], vcc
	s_cbranch_execz .LBB73_75
; %bb.72:
	v_and_b32_e32 v76, -8, v79
	v_sub_u32_e32 v76, 0, v76
	s_mov_b64 s[4:5], 5
	s_movk_i32 s10, 0x70
	s_mov_b64 s[8:9], 0
.LBB73_73:                              ; =>This Inner Loop Header: Depth=1
	s_lshl_b32 s11, s4, 1
	s_add_i32 s12, s11, -1
	s_add_i32 s13, s11, -2
	s_set_gpr_idx_on s12, gpr_idx(SRC0)
	v_mov_b32_e32 v97, v22
	s_set_gpr_idx_off
	v_mov_b32_e32 v78, s10
	s_set_gpr_idx_on s13, gpr_idx(SRC0)
	v_mov_b32_e32 v96, v22
	s_set_gpr_idx_off
	ds_read_b128 v[80:83], v78
	ds_read_b128 v[84:87], v78 offset:16
	ds_read_b128 v[88:91], v78 offset:32
	;; [unrolled: 1-line block ×3, first 2 shown]
	s_set_gpr_idx_on s11, gpr_idx(SRC0)
	v_mov_b32_e32 v99, v23
	s_add_i32 s14, s11, 3
	v_mov_b32_e32 v98, v22
	s_set_gpr_idx_off
	s_add_i32 s15, s11, 2
	s_set_gpr_idx_on s14, gpr_idx(SRC0)
	v_mov_b32_e32 v101, v22
	s_set_gpr_idx_off
	s_add_i32 s16, s11, 5
	s_set_gpr_idx_on s15, gpr_idx(SRC0)
	v_mov_b32_e32 v100, v22
	s_set_gpr_idx_off
	s_add_i32 s17, s11, 4
	s_waitcnt lgkmcnt(3)
	v_fmac_f64_e32 v[74:75], v[96:97], v[80:81]
	s_set_gpr_idx_on s16, gpr_idx(SRC0)
	v_mov_b32_e32 v81, v22
	s_set_gpr_idx_off
	s_add_i32 s18, s11, 7
	v_fmac_f64_e32 v[74:75], v[98:99], v[82:83]
	s_set_gpr_idx_on s17, gpr_idx(SRC0)
	v_mov_b32_e32 v80, v22
	s_set_gpr_idx_off
	s_add_i32 s19, s11, 6
	s_waitcnt lgkmcnt(2)
	v_fmac_f64_e32 v[74:75], v[100:101], v[84:85]
	s_set_gpr_idx_on s18, gpr_idx(SRC0)
	v_mov_b32_e32 v83, v22
	s_set_gpr_idx_off
	s_add_i32 s24, s11, 9
	v_fmac_f64_e32 v[74:75], v[80:81], v[86:87]
	s_set_gpr_idx_on s19, gpr_idx(SRC0)
	v_mov_b32_e32 v82, v22
	s_set_gpr_idx_off
	s_add_i32 s25, s11, 8
	s_waitcnt lgkmcnt(1)
	v_fmac_f64_e32 v[74:75], v[82:83], v[88:89]
	s_set_gpr_idx_on s24, gpr_idx(SRC0)
	v_mov_b32_e32 v81, v22
	s_set_gpr_idx_off
	s_add_i32 s26, s11, 11
	s_set_gpr_idx_on s25, gpr_idx(SRC0)
	v_mov_b32_e32 v80, v22
	s_set_gpr_idx_off
	s_add_i32 s27, s11, 10
	s_add_i32 s28, s11, 13
	;; [unrolled: 1-line block ×3, first 2 shown]
	v_fmac_f64_e32 v[74:75], v[80:81], v[90:91]
	s_set_gpr_idx_on s26, gpr_idx(SRC0)
	v_mov_b32_e32 v81, v22
	s_set_gpr_idx_off
	s_add_u32 s4, s4, 8
	s_set_gpr_idx_on s27, gpr_idx(SRC0)
	v_mov_b32_e32 v80, v22
	s_set_gpr_idx_off
	v_add_u32_e32 v78, s4, v76
	s_waitcnt lgkmcnt(0)
	v_fmac_f64_e32 v[74:75], v[80:81], v[92:93]
	s_set_gpr_idx_on s28, gpr_idx(SRC0)
	v_mov_b32_e32 v81, v22
	s_set_gpr_idx_off
	s_addc_u32 s5, s5, 0
	s_add_i32 s10, s10, 64
	s_add_i32 s12, s4, -1
	v_cmp_eq_u32_e32 vcc, 5, v78
	s_set_gpr_idx_on s29, gpr_idx(SRC0)
	v_mov_b32_e32 v80, v22
	s_set_gpr_idx_off
	v_mov_b32_e32 v78, s12
	s_or_b64 s[8:9], vcc, s[8:9]
	v_fmac_f64_e32 v[74:75], v[80:81], v[94:95]
	s_andn2_b64 exec, exec, s[8:9]
	s_cbranch_execnz .LBB73_73
; %bb.74:
	s_or_b64 exec, exec, s[8:9]
.LBB73_75:
	s_or_b64 exec, exec, s[0:1]
	v_and_b32_e32 v42, 7, v79
	v_cmp_ne_u32_e32 vcc, 0, v42
	s_and_saveexec_b64 s[8:9], vcc
	s_cbranch_execz .LBB73_79
; %bb.76:
	v_mov_b32_e32 v43, 0x50
	v_lshl_add_u32 v44, v78, 3, v43
	v_mov_b32_e32 v43, 0
	s_mov_b64 s[10:11], 0
.LBB73_77:                              ; =>This Inner Loop Header: Depth=1
	v_cmp_eq_u32_e32 vcc, 1, v78
	v_cndmask_b32_e32 v45, v23, v25, vcc
	v_add_u32_e32 v42, -1, v42
	v_cmp_eq_u32_e64 s[0:1], 2, v78
	v_cndmask_b32_e64 v45, v45, v27, s[0:1]
	v_cndmask_b32_e32 v48, v22, v24, vcc
	v_cmp_eq_u32_e32 vcc, 0, v42
	v_cmp_eq_u32_e64 s[4:5], 3, v78
	v_cndmask_b32_e64 v45, v45, v29, s[4:5]
	v_cndmask_b32_e64 v48, v48, v26, s[0:1]
	s_or_b64 s[10:11], vcc, s[10:11]
	v_cmp_eq_u32_e32 vcc, 4, v78
	v_cndmask_b32_e32 v45, v45, v31, vcc
	v_cndmask_b32_e64 v48, v48, v28, s[4:5]
	v_cmp_eq_u32_e64 s[0:1], 5, v78
	v_cndmask_b32_e64 v45, v45, v33, s[0:1]
	v_cndmask_b32_e32 v48, v48, v30, vcc
	v_cmp_eq_u32_e32 vcc, 6, v78
	ds_read_b64 v[46:47], v44
	v_cndmask_b32_e32 v45, v45, v35, vcc
	v_cndmask_b32_e64 v48, v48, v32, s[0:1]
	v_cmp_eq_u32_e64 s[0:1], 7, v78
	v_cndmask_b32_e64 v45, v45, v37, s[0:1]
	v_cndmask_b32_e32 v48, v48, v34, vcc
	v_cmp_eq_u32_e32 vcc, 8, v78
	v_cndmask_b32_e32 v45, v45, v39, vcc
	v_cmp_eq_u32_e64 s[4:5], 9, v78
	v_cndmask_b32_e64 v48, v48, v36, s[0:1]
	v_cndmask_b32_e64 v49, v45, v41, s[4:5]
	v_cndmask_b32_e32 v45, v48, v38, vcc
	v_add_co_u32_e64 v78, s[0:1], 1, v78
	v_cndmask_b32_e64 v48, v45, v40, s[4:5]
	v_add_u32_e32 v44, 8, v44
	v_addc_co_u32_e64 v43, s[0:1], 0, v43, s[0:1]
	s_waitcnt lgkmcnt(0)
	v_fmac_f64_e32 v[74:75], v[48:49], v[46:47]
	s_andn2_b64 exec, exec, s[10:11]
	s_cbranch_execnz .LBB73_77
; %bb.78:
	s_or_b64 exec, exec, s[10:11]
.LBB73_79:
	s_or_b64 exec, exec, s[8:9]
.LBB73_80:
	s_or_b64 exec, exec, s[6:7]
	v_mov_b32_e32 v28, 0
	ds_read_b64 v[28:29], v28 offset:24
	s_waitcnt lgkmcnt(0)
	v_mul_f64 v[28:29], v[74:75], v[28:29]
.LBB73_81:
	s_or_b64 exec, exec, s[20:21]
	v_cmp_lt_u32_e64 s[0:1], 2, v0
	ds_write_b64 v77, v[26:27]
	s_waitcnt lgkmcnt(0)
	; wave barrier
	s_waitcnt lgkmcnt(0)
	s_and_saveexec_b64 s[20:21], s[0:1]
	s_cbranch_execz .LBB73_97
; %bb.82:
	s_andn2_b64 vcc, exec, s[22:23]
	s_cbranch_vccnz .LBB73_84
; %bb.83:
	v_cmp_eq_u32_e32 vcc, 1, v0
	v_cndmask_b32_e32 v74, v23, v25, vcc
	v_cmp_eq_u32_e64 s[4:5], 2, v0
	v_cndmask_b32_e64 v74, v74, v27, s[4:5]
	v_cmp_eq_u32_e64 s[6:7], 3, v0
	v_cndmask_b32_e64 v74, v74, v29, s[6:7]
	;; [unrolled: 2-line block ×8, first 2 shown]
	v_cndmask_b32_e32 v74, v22, v24, vcc
	v_cndmask_b32_e64 v74, v74, v26, s[4:5]
	v_cndmask_b32_e64 v74, v74, v28, s[6:7]
	;; [unrolled: 1-line block ×4, first 2 shown]
	ds_read_b64 v[78:79], v77
	v_cndmask_b32_e64 v74, v74, v34, s[12:13]
	v_cndmask_b32_e64 v74, v74, v36, s[14:15]
	;; [unrolled: 1-line block ×4, first 2 shown]
	s_waitcnt lgkmcnt(0)
	v_mul_f64 v[74:75], v[74:75], v[78:79]
	s_cbranch_execz .LBB73_85
	s_branch .LBB73_86
.LBB73_84:
                                        ; implicit-def: $vgpr74_vgpr75
.LBB73_85:
	ds_read_b64 v[74:75], v77
.LBB73_86:
	s_and_saveexec_b64 s[6:7], s[2:3]
	s_cbranch_execz .LBB73_96
; %bb.87:
	v_add_u32_e32 v76, -4, v0
	v_add_u32_e32 v79, -3, v0
	v_cmp_lt_u32_e32 vcc, 6, v76
	v_mov_b32_e32 v78, 3
	s_and_saveexec_b64 s[2:3], vcc
	s_cbranch_execz .LBB73_91
; %bb.88:
	v_and_b32_e32 v76, -8, v79
	v_sub_u32_e32 v76, 0, v76
	s_mov_b64 s[4:5], 10
	s_movk_i32 s10, 0x68
	s_mov_b64 s[8:9], 0
.LBB73_89:                              ; =>This Inner Loop Header: Depth=1
	s_lshl_b32 s11, s4, 1
	s_add_i32 s12, s11, -13
	v_mov_b32_e32 v94, s10
	s_add_i32 s13, s11, -14
	s_set_gpr_idx_on s12, gpr_idx(SRC0)
	v_mov_b32_e32 v89, v22
	s_set_gpr_idx_off
	s_add_i32 s14, s11, -11
	s_set_gpr_idx_on s13, gpr_idx(SRC0)
	v_mov_b32_e32 v88, v22
	s_set_gpr_idx_off
	ds_read2_b64 v[80:83], v94 offset1:1
	s_add_i32 s15, s11, -12
	s_set_gpr_idx_on s14, gpr_idx(SRC0)
	v_mov_b32_e32 v91, v22
	s_set_gpr_idx_off
	s_add_i32 s16, s11, -9
	s_set_gpr_idx_on s15, gpr_idx(SRC0)
	v_mov_b32_e32 v90, v22
	s_set_gpr_idx_off
	;; [unrolled: 4-line block ×4, first 2 shown]
	ds_read2_b64 v[84:87], v94 offset0:2 offset1:3
	s_add_i32 s19, s11, -8
	s_waitcnt lgkmcnt(1)
	v_fmac_f64_e32 v[74:75], v[88:89], v[80:81]
	s_set_gpr_idx_on s18, gpr_idx(SRC0)
	v_mov_b32_e32 v89, v22
	s_set_gpr_idx_off
	s_add_i32 s24, s11, -5
	v_fmac_f64_e32 v[74:75], v[90:91], v[82:83]
	s_set_gpr_idx_on s19, gpr_idx(SRC0)
	v_mov_b32_e32 v88, v22
	s_set_gpr_idx_off
	s_add_i32 s25, s11, -6
	s_set_gpr_idx_on s24, gpr_idx(SRC0)
	v_mov_b32_e32 v91, v22
	s_set_gpr_idx_off
	s_add_i32 s26, s11, -3
	;; [unrolled: 4-line block ×3, first 2 shown]
	ds_read2_b64 v[80:83], v94 offset0:4 offset1:5
	s_waitcnt lgkmcnt(1)
	v_fmac_f64_e32 v[74:75], v[92:93], v[84:85]
	s_set_gpr_idx_on s26, gpr_idx(SRC0)
	v_mov_b32_e32 v93, v22
	s_set_gpr_idx_off
	s_add_i32 s28, s11, -1
	v_fmac_f64_e32 v[74:75], v[88:89], v[86:87]
	s_set_gpr_idx_on s27, gpr_idx(SRC0)
	v_mov_b32_e32 v92, v22
	s_set_gpr_idx_off
	s_add_i32 s29, s11, -2
	s_set_gpr_idx_on s28, gpr_idx(SRC0)
	v_mov_b32_e32 v89, v22
	s_set_gpr_idx_off
	s_set_gpr_idx_on s29, gpr_idx(SRC0)
	v_mov_b32_e32 v88, v22
	s_set_gpr_idx_off
	ds_read2_b64 v[84:87], v94 offset0:6 offset1:7
	s_add_u32 s4, s4, 8
	s_waitcnt lgkmcnt(1)
	v_fmac_f64_e32 v[74:75], v[90:91], v[80:81]
	s_set_gpr_idx_on s11, gpr_idx(SRC0)
	v_mov_b32_e32 v81, v23
	s_set_gpr_idx_off
	v_add_u32_e32 v78, s4, v76
	v_fmac_f64_e32 v[74:75], v[92:93], v[82:83]
	s_set_gpr_idx_on s11, gpr_idx(SRC0)
	v_mov_b32_e32 v80, v22
	s_set_gpr_idx_off
	s_addc_u32 s5, s5, 0
	s_add_i32 s10, s10, 64
	s_add_i32 s12, s4, -7
	v_cmp_eq_u32_e32 vcc, 10, v78
	s_waitcnt lgkmcnt(0)
	v_fmac_f64_e32 v[74:75], v[88:89], v[84:85]
	v_mov_b32_e32 v78, s12
	s_or_b64 s[8:9], vcc, s[8:9]
	v_fmac_f64_e32 v[74:75], v[80:81], v[86:87]
	s_andn2_b64 exec, exec, s[8:9]
	s_cbranch_execnz .LBB73_89
; %bb.90:
	s_or_b64 exec, exec, s[8:9]
.LBB73_91:
	s_or_b64 exec, exec, s[2:3]
	v_and_b32_e32 v42, 7, v79
	v_cmp_ne_u32_e32 vcc, 0, v42
	s_and_saveexec_b64 s[8:9], vcc
	s_cbranch_execz .LBB73_95
; %bb.92:
	v_mov_b32_e32 v43, 0x50
	v_lshl_add_u32 v44, v78, 3, v43
	v_mov_b32_e32 v43, 0
	s_mov_b64 s[10:11], 0
.LBB73_93:                              ; =>This Inner Loop Header: Depth=1
	v_cmp_eq_u32_e32 vcc, 1, v78
	v_cndmask_b32_e32 v45, v23, v25, vcc
	v_add_u32_e32 v42, -1, v42
	v_cmp_eq_u32_e64 s[2:3], 2, v78
	v_cndmask_b32_e64 v45, v45, v27, s[2:3]
	v_cndmask_b32_e32 v48, v22, v24, vcc
	v_cmp_eq_u32_e32 vcc, 0, v42
	v_cmp_eq_u32_e64 s[4:5], 3, v78
	v_cndmask_b32_e64 v45, v45, v29, s[4:5]
	v_cndmask_b32_e64 v48, v48, v26, s[2:3]
	s_or_b64 s[10:11], vcc, s[10:11]
	v_cmp_eq_u32_e32 vcc, 4, v78
	v_cndmask_b32_e32 v45, v45, v31, vcc
	v_cndmask_b32_e64 v48, v48, v28, s[4:5]
	v_cmp_eq_u32_e64 s[2:3], 5, v78
	v_cndmask_b32_e64 v45, v45, v33, s[2:3]
	v_cndmask_b32_e32 v48, v48, v30, vcc
	v_cmp_eq_u32_e32 vcc, 6, v78
	ds_read_b64 v[46:47], v44
	v_cndmask_b32_e32 v45, v45, v35, vcc
	v_cndmask_b32_e64 v48, v48, v32, s[2:3]
	v_cmp_eq_u32_e64 s[2:3], 7, v78
	v_cndmask_b32_e64 v45, v45, v37, s[2:3]
	v_cndmask_b32_e32 v48, v48, v34, vcc
	v_cmp_eq_u32_e32 vcc, 8, v78
	v_cndmask_b32_e32 v45, v45, v39, vcc
	v_cmp_eq_u32_e64 s[4:5], 9, v78
	v_cndmask_b32_e64 v48, v48, v36, s[2:3]
	v_cndmask_b32_e64 v49, v45, v41, s[4:5]
	v_cndmask_b32_e32 v45, v48, v38, vcc
	v_add_co_u32_e64 v78, s[2:3], 1, v78
	v_cndmask_b32_e64 v48, v45, v40, s[4:5]
	v_add_u32_e32 v44, 8, v44
	v_addc_co_u32_e64 v43, s[2:3], 0, v43, s[2:3]
	s_waitcnt lgkmcnt(0)
	v_fmac_f64_e32 v[74:75], v[48:49], v[46:47]
	s_andn2_b64 exec, exec, s[10:11]
	s_cbranch_execnz .LBB73_93
; %bb.94:
	s_or_b64 exec, exec, s[10:11]
.LBB73_95:
	s_or_b64 exec, exec, s[8:9]
.LBB73_96:
	s_or_b64 exec, exec, s[6:7]
	v_mov_b32_e32 v26, 0
	ds_read_b64 v[26:27], v26 offset:16
	s_waitcnt lgkmcnt(0)
	v_mul_f64 v[26:27], v[74:75], v[26:27]
.LBB73_97:
	s_or_b64 exec, exec, s[20:21]
	v_cmp_lt_u32_e64 s[2:3], 1, v0
	ds_write_b64 v77, v[24:25]
	s_waitcnt lgkmcnt(0)
	; wave barrier
	s_waitcnt lgkmcnt(0)
	s_and_saveexec_b64 s[20:21], s[2:3]
	s_cbranch_execz .LBB73_113
; %bb.98:
	s_andn2_b64 vcc, exec, s[22:23]
	s_cbranch_vccnz .LBB73_100
; %bb.99:
	v_cmp_eq_u32_e32 vcc, 1, v0
	v_cndmask_b32_e32 v74, v23, v25, vcc
	v_cmp_eq_u32_e64 s[4:5], 2, v0
	v_cndmask_b32_e64 v74, v74, v27, s[4:5]
	v_cmp_eq_u32_e64 s[6:7], 3, v0
	v_cndmask_b32_e64 v74, v74, v29, s[6:7]
	;; [unrolled: 2-line block ×8, first 2 shown]
	v_cndmask_b32_e32 v74, v22, v24, vcc
	v_cndmask_b32_e64 v74, v74, v26, s[4:5]
	v_cndmask_b32_e64 v74, v74, v28, s[6:7]
	;; [unrolled: 1-line block ×4, first 2 shown]
	ds_read_b64 v[78:79], v77
	v_cndmask_b32_e64 v74, v74, v34, s[12:13]
	v_cndmask_b32_e64 v74, v74, v36, s[14:15]
	;; [unrolled: 1-line block ×4, first 2 shown]
	s_waitcnt lgkmcnt(0)
	v_mul_f64 v[74:75], v[74:75], v[78:79]
	s_cbranch_execz .LBB73_101
	s_branch .LBB73_102
.LBB73_100:
                                        ; implicit-def: $vgpr74_vgpr75
.LBB73_101:
	ds_read_b64 v[74:75], v77
.LBB73_102:
	s_and_saveexec_b64 s[6:7], s[0:1]
	s_cbranch_execz .LBB73_112
; %bb.103:
	v_add_u32_e32 v76, -3, v0
	v_add_u32_e32 v79, -2, v0
	v_cmp_lt_u32_e32 vcc, 6, v76
	v_mov_b32_e32 v78, 2
	s_and_saveexec_b64 s[0:1], vcc
	s_cbranch_execz .LBB73_107
; %bb.104:
	v_and_b32_e32 v76, -8, v79
	v_sub_u32_e32 v76, 0, v76
	s_mov_b64 s[4:5], 9
	s_movk_i32 s10, 0x60
	s_mov_b64 s[8:9], 0
.LBB73_105:                             ; =>This Inner Loop Header: Depth=1
	s_lshl_b32 s11, s4, 1
	s_add_i32 s12, s11, -13
	s_add_i32 s13, s11, -14
	s_set_gpr_idx_on s12, gpr_idx(SRC0)
	v_mov_b32_e32 v97, v22
	s_set_gpr_idx_off
	v_mov_b32_e32 v78, s10
	s_add_i32 s14, s11, -11
	s_set_gpr_idx_on s13, gpr_idx(SRC0)
	v_mov_b32_e32 v96, v22
	s_set_gpr_idx_off
	s_add_i32 s15, s11, -12
	ds_read_b128 v[80:83], v78
	ds_read_b128 v[84:87], v78 offset:16
	ds_read_b128 v[88:91], v78 offset:32
	;; [unrolled: 1-line block ×3, first 2 shown]
	s_set_gpr_idx_on s14, gpr_idx(SRC0)
	v_mov_b32_e32 v99, v22
	s_set_gpr_idx_off
	s_add_i32 s16, s11, -9
	s_set_gpr_idx_on s15, gpr_idx(SRC0)
	v_mov_b32_e32 v98, v22
	s_set_gpr_idx_off
	s_add_i32 s17, s11, -10
	;; [unrolled: 4-line block ×4, first 2 shown]
	s_waitcnt lgkmcnt(3)
	v_fmac_f64_e32 v[74:75], v[96:97], v[80:81]
	s_set_gpr_idx_on s18, gpr_idx(SRC0)
	v_mov_b32_e32 v81, v22
	s_set_gpr_idx_off
	s_add_i32 s24, s11, -5
	v_fmac_f64_e32 v[74:75], v[98:99], v[82:83]
	s_set_gpr_idx_on s19, gpr_idx(SRC0)
	v_mov_b32_e32 v80, v22
	s_set_gpr_idx_off
	s_add_i32 s25, s11, -6
	s_waitcnt lgkmcnt(2)
	v_fmac_f64_e32 v[74:75], v[100:101], v[84:85]
	s_set_gpr_idx_on s24, gpr_idx(SRC0)
	v_mov_b32_e32 v83, v22
	s_set_gpr_idx_off
	s_add_i32 s26, s11, -3
	v_fmac_f64_e32 v[74:75], v[80:81], v[86:87]
	s_set_gpr_idx_on s25, gpr_idx(SRC0)
	v_mov_b32_e32 v82, v22
	s_set_gpr_idx_off
	s_add_i32 s27, s11, -4
	s_waitcnt lgkmcnt(1)
	v_fmac_f64_e32 v[74:75], v[82:83], v[88:89]
	s_set_gpr_idx_on s26, gpr_idx(SRC0)
	v_mov_b32_e32 v81, v22
	s_set_gpr_idx_off
	s_add_i32 s28, s11, -1
	s_set_gpr_idx_on s27, gpr_idx(SRC0)
	v_mov_b32_e32 v80, v22
	s_set_gpr_idx_off
	s_add_i32 s29, s11, -2
	v_fmac_f64_e32 v[74:75], v[80:81], v[90:91]
	s_set_gpr_idx_on s28, gpr_idx(SRC0)
	v_mov_b32_e32 v81, v22
	s_set_gpr_idx_off
	s_add_u32 s4, s4, 8
	s_set_gpr_idx_on s29, gpr_idx(SRC0)
	v_mov_b32_e32 v80, v22
	s_set_gpr_idx_off
	v_add_u32_e32 v78, s4, v76
	s_waitcnt lgkmcnt(0)
	v_fmac_f64_e32 v[74:75], v[80:81], v[92:93]
	s_set_gpr_idx_on s11, gpr_idx(SRC0)
	v_mov_b32_e32 v81, v23
	s_set_gpr_idx_off
	s_addc_u32 s5, s5, 0
	s_add_i32 s10, s10, 64
	s_add_i32 s12, s4, -7
	v_cmp_eq_u32_e32 vcc, 9, v78
	s_set_gpr_idx_on s11, gpr_idx(SRC0)
	v_mov_b32_e32 v80, v22
	s_set_gpr_idx_off
	v_mov_b32_e32 v78, s12
	s_or_b64 s[8:9], vcc, s[8:9]
	v_fmac_f64_e32 v[74:75], v[80:81], v[94:95]
	s_andn2_b64 exec, exec, s[8:9]
	s_cbranch_execnz .LBB73_105
; %bb.106:
	s_or_b64 exec, exec, s[8:9]
.LBB73_107:
	s_or_b64 exec, exec, s[0:1]
	v_and_b32_e32 v42, 7, v79
	v_cmp_ne_u32_e32 vcc, 0, v42
	s_and_saveexec_b64 s[8:9], vcc
	s_cbranch_execz .LBB73_111
; %bb.108:
	v_mov_b32_e32 v43, 0x50
	v_lshl_add_u32 v44, v78, 3, v43
	v_mov_b32_e32 v43, 0
	s_mov_b64 s[10:11], 0
.LBB73_109:                             ; =>This Inner Loop Header: Depth=1
	v_cmp_eq_u32_e32 vcc, 1, v78
	v_cndmask_b32_e32 v45, v23, v25, vcc
	v_add_u32_e32 v42, -1, v42
	v_cmp_eq_u32_e64 s[0:1], 2, v78
	v_cndmask_b32_e64 v45, v45, v27, s[0:1]
	v_cndmask_b32_e32 v48, v22, v24, vcc
	v_cmp_eq_u32_e32 vcc, 0, v42
	v_cmp_eq_u32_e64 s[4:5], 3, v78
	v_cndmask_b32_e64 v45, v45, v29, s[4:5]
	v_cndmask_b32_e64 v48, v48, v26, s[0:1]
	s_or_b64 s[10:11], vcc, s[10:11]
	v_cmp_eq_u32_e32 vcc, 4, v78
	v_cndmask_b32_e32 v45, v45, v31, vcc
	v_cndmask_b32_e64 v48, v48, v28, s[4:5]
	v_cmp_eq_u32_e64 s[0:1], 5, v78
	v_cndmask_b32_e64 v45, v45, v33, s[0:1]
	v_cndmask_b32_e32 v48, v48, v30, vcc
	v_cmp_eq_u32_e32 vcc, 6, v78
	ds_read_b64 v[46:47], v44
	v_cndmask_b32_e32 v45, v45, v35, vcc
	v_cndmask_b32_e64 v48, v48, v32, s[0:1]
	v_cmp_eq_u32_e64 s[0:1], 7, v78
	v_cndmask_b32_e64 v45, v45, v37, s[0:1]
	v_cndmask_b32_e32 v48, v48, v34, vcc
	v_cmp_eq_u32_e32 vcc, 8, v78
	v_cndmask_b32_e32 v45, v45, v39, vcc
	v_cmp_eq_u32_e64 s[4:5], 9, v78
	v_cndmask_b32_e64 v48, v48, v36, s[0:1]
	v_cndmask_b32_e64 v49, v45, v41, s[4:5]
	v_cndmask_b32_e32 v45, v48, v38, vcc
	v_add_co_u32_e64 v78, s[0:1], 1, v78
	v_cndmask_b32_e64 v48, v45, v40, s[4:5]
	v_add_u32_e32 v44, 8, v44
	v_addc_co_u32_e64 v43, s[0:1], 0, v43, s[0:1]
	s_waitcnt lgkmcnt(0)
	v_fmac_f64_e32 v[74:75], v[48:49], v[46:47]
	s_andn2_b64 exec, exec, s[10:11]
	s_cbranch_execnz .LBB73_109
; %bb.110:
	s_or_b64 exec, exec, s[10:11]
.LBB73_111:
	s_or_b64 exec, exec, s[8:9]
.LBB73_112:
	s_or_b64 exec, exec, s[6:7]
	v_mov_b32_e32 v24, 0
	ds_read_b64 v[24:25], v24 offset:8
	s_waitcnt lgkmcnt(0)
	v_mul_f64 v[24:25], v[74:75], v[24:25]
.LBB73_113:
	s_or_b64 exec, exec, s[20:21]
	v_cmp_ne_u32_e32 vcc, 0, v0
	ds_write_b64 v77, v[22:23]
	s_waitcnt lgkmcnt(0)
	; wave barrier
	s_waitcnt lgkmcnt(0)
	s_and_saveexec_b64 s[18:19], vcc
	s_cbranch_execz .LBB73_129
; %bb.114:
	s_andn2_b64 vcc, exec, s[22:23]
	s_cbranch_vccnz .LBB73_116
; %bb.115:
	v_cmp_eq_u32_e32 vcc, 1, v0
	v_cndmask_b32_e32 v74, v23, v25, vcc
	v_cmp_eq_u32_e64 s[0:1], 2, v0
	v_cndmask_b32_e64 v74, v74, v27, s[0:1]
	v_cmp_eq_u32_e64 s[4:5], 3, v0
	v_cndmask_b32_e64 v74, v74, v29, s[4:5]
	;; [unrolled: 2-line block ×8, first 2 shown]
	v_cndmask_b32_e32 v74, v22, v24, vcc
	v_cndmask_b32_e64 v74, v74, v26, s[0:1]
	v_cndmask_b32_e64 v74, v74, v28, s[4:5]
	;; [unrolled: 1-line block ×4, first 2 shown]
	ds_read_b64 v[78:79], v77
	v_cndmask_b32_e64 v74, v74, v34, s[10:11]
	v_cndmask_b32_e64 v74, v74, v36, s[12:13]
	v_cndmask_b32_e64 v74, v74, v38, s[14:15]
	v_cndmask_b32_e64 v74, v74, v40, s[16:17]
	s_waitcnt lgkmcnt(0)
	v_mul_f64 v[74:75], v[74:75], v[78:79]
	s_cbranch_execz .LBB73_117
	s_branch .LBB73_118
.LBB73_116:
                                        ; implicit-def: $vgpr74_vgpr75
.LBB73_117:
	ds_read_b64 v[74:75], v77
.LBB73_118:
	s_and_saveexec_b64 s[4:5], s[2:3]
	s_cbranch_execz .LBB73_128
; %bb.119:
	v_add_u32_e32 v76, -2, v0
	v_add_u32_e32 v79, -1, v0
	v_cmp_lt_u32_e32 vcc, 6, v76
	v_mov_b32_e32 v78, 1
	s_and_saveexec_b64 s[0:1], vcc
	s_cbranch_execz .LBB73_123
; %bb.120:
	v_and_b32_e32 v76, -8, v79
	v_sub_u32_e32 v76, 0, v76
	s_mov_b64 s[2:3], 8
	s_movk_i32 s8, 0x58
	s_mov_b64 s[6:7], 0
.LBB73_121:                             ; =>This Inner Loop Header: Depth=1
	s_lshl_b32 s9, s2, 1
	s_add_i32 s10, s9, -13
	v_mov_b32_e32 v94, s8
	s_add_i32 s11, s9, -14
	s_set_gpr_idx_on s10, gpr_idx(SRC0)
	v_mov_b32_e32 v89, v22
	s_set_gpr_idx_off
	s_add_i32 s12, s9, -11
	s_set_gpr_idx_on s11, gpr_idx(SRC0)
	v_mov_b32_e32 v88, v22
	s_set_gpr_idx_off
	ds_read2_b64 v[80:83], v94 offset1:1
	s_add_i32 s13, s9, -12
	s_set_gpr_idx_on s12, gpr_idx(SRC0)
	v_mov_b32_e32 v91, v22
	s_set_gpr_idx_off
	s_add_i32 s14, s9, -9
	s_set_gpr_idx_on s13, gpr_idx(SRC0)
	v_mov_b32_e32 v90, v22
	s_set_gpr_idx_off
	;; [unrolled: 4-line block ×4, first 2 shown]
	ds_read2_b64 v[84:87], v94 offset0:2 offset1:3
	s_add_i32 s17, s9, -8
	s_waitcnt lgkmcnt(1)
	v_fmac_f64_e32 v[74:75], v[88:89], v[80:81]
	s_set_gpr_idx_on s16, gpr_idx(SRC0)
	v_mov_b32_e32 v89, v22
	s_set_gpr_idx_off
	s_add_i32 s20, s9, -5
	v_fmac_f64_e32 v[74:75], v[90:91], v[82:83]
	s_set_gpr_idx_on s17, gpr_idx(SRC0)
	v_mov_b32_e32 v88, v22
	s_set_gpr_idx_off
	s_add_i32 s21, s9, -6
	s_set_gpr_idx_on s20, gpr_idx(SRC0)
	v_mov_b32_e32 v91, v22
	s_set_gpr_idx_off
	s_add_i32 s24, s9, -3
	;; [unrolled: 4-line block ×3, first 2 shown]
	ds_read2_b64 v[80:83], v94 offset0:4 offset1:5
	s_waitcnt lgkmcnt(1)
	v_fmac_f64_e32 v[74:75], v[92:93], v[84:85]
	s_set_gpr_idx_on s24, gpr_idx(SRC0)
	v_mov_b32_e32 v93, v22
	s_set_gpr_idx_off
	s_add_i32 s26, s9, -1
	v_fmac_f64_e32 v[74:75], v[88:89], v[86:87]
	s_set_gpr_idx_on s25, gpr_idx(SRC0)
	v_mov_b32_e32 v92, v22
	s_set_gpr_idx_off
	s_add_i32 s27, s9, -2
	s_set_gpr_idx_on s26, gpr_idx(SRC0)
	v_mov_b32_e32 v89, v22
	s_set_gpr_idx_off
	s_set_gpr_idx_on s27, gpr_idx(SRC0)
	v_mov_b32_e32 v88, v22
	s_set_gpr_idx_off
	ds_read2_b64 v[84:87], v94 offset0:6 offset1:7
	s_add_u32 s2, s2, 8
	s_waitcnt lgkmcnt(1)
	v_fmac_f64_e32 v[74:75], v[90:91], v[80:81]
	s_set_gpr_idx_on s9, gpr_idx(SRC0)
	v_mov_b32_e32 v81, v23
	s_set_gpr_idx_off
	v_add_u32_e32 v78, s2, v76
	v_fmac_f64_e32 v[74:75], v[92:93], v[82:83]
	s_set_gpr_idx_on s9, gpr_idx(SRC0)
	v_mov_b32_e32 v80, v22
	s_set_gpr_idx_off
	s_addc_u32 s3, s3, 0
	s_add_i32 s8, s8, 64
	s_add_i32 s10, s2, -7
	v_cmp_eq_u32_e32 vcc, 8, v78
	s_waitcnt lgkmcnt(0)
	v_fmac_f64_e32 v[74:75], v[88:89], v[84:85]
	v_mov_b32_e32 v78, s10
	s_or_b64 s[6:7], vcc, s[6:7]
	v_fmac_f64_e32 v[74:75], v[80:81], v[86:87]
	s_andn2_b64 exec, exec, s[6:7]
	s_cbranch_execnz .LBB73_121
; %bb.122:
	s_or_b64 exec, exec, s[6:7]
.LBB73_123:
	s_or_b64 exec, exec, s[0:1]
	v_and_b32_e32 v42, 7, v79
	v_cmp_ne_u32_e32 vcc, 0, v42
	s_and_saveexec_b64 s[6:7], vcc
	s_cbranch_execz .LBB73_127
; %bb.124:
	v_mov_b32_e32 v43, 0x50
	v_lshl_add_u32 v44, v78, 3, v43
	v_mov_b32_e32 v43, 0
	s_mov_b64 s[8:9], 0
.LBB73_125:                             ; =>This Inner Loop Header: Depth=1
	v_cmp_eq_u32_e32 vcc, 1, v78
	v_cndmask_b32_e32 v45, v23, v25, vcc
	v_add_u32_e32 v42, -1, v42
	v_cmp_eq_u32_e64 s[0:1], 2, v78
	v_cndmask_b32_e64 v45, v45, v27, s[0:1]
	v_cndmask_b32_e32 v48, v22, v24, vcc
	v_cmp_eq_u32_e32 vcc, 0, v42
	v_cmp_eq_u32_e64 s[2:3], 3, v78
	v_cndmask_b32_e64 v45, v45, v29, s[2:3]
	v_cndmask_b32_e64 v48, v48, v26, s[0:1]
	s_or_b64 s[8:9], vcc, s[8:9]
	v_cmp_eq_u32_e32 vcc, 4, v78
	v_cndmask_b32_e32 v45, v45, v31, vcc
	v_cndmask_b32_e64 v48, v48, v28, s[2:3]
	v_cmp_eq_u32_e64 s[0:1], 5, v78
	v_cndmask_b32_e64 v45, v45, v33, s[0:1]
	v_cndmask_b32_e32 v48, v48, v30, vcc
	v_cmp_eq_u32_e32 vcc, 6, v78
	ds_read_b64 v[46:47], v44
	v_cndmask_b32_e32 v45, v45, v35, vcc
	v_cndmask_b32_e64 v48, v48, v32, s[0:1]
	v_cmp_eq_u32_e64 s[0:1], 7, v78
	v_cndmask_b32_e64 v45, v45, v37, s[0:1]
	v_cndmask_b32_e32 v48, v48, v34, vcc
	v_cmp_eq_u32_e32 vcc, 8, v78
	v_cndmask_b32_e32 v45, v45, v39, vcc
	v_cmp_eq_u32_e64 s[2:3], 9, v78
	v_cndmask_b32_e64 v48, v48, v36, s[0:1]
	v_cndmask_b32_e64 v49, v45, v41, s[2:3]
	v_cndmask_b32_e32 v45, v48, v38, vcc
	v_add_co_u32_e64 v78, s[0:1], 1, v78
	v_cndmask_b32_e64 v48, v45, v40, s[2:3]
	v_add_u32_e32 v44, 8, v44
	v_addc_co_u32_e64 v43, s[0:1], 0, v43, s[0:1]
	s_waitcnt lgkmcnt(0)
	v_fmac_f64_e32 v[74:75], v[48:49], v[46:47]
	s_andn2_b64 exec, exec, s[8:9]
	s_cbranch_execnz .LBB73_125
; %bb.126:
	s_or_b64 exec, exec, s[8:9]
.LBB73_127:
	s_or_b64 exec, exec, s[6:7]
.LBB73_128:
	s_or_b64 exec, exec, s[4:5]
	v_mov_b32_e32 v22, 0
	ds_read_b64 v[22:23], v22
	s_waitcnt lgkmcnt(0)
	v_mul_f64 v[22:23], v[74:75], v[22:23]
.LBB73_129:
	s_or_b64 exec, exec, s[18:19]
	s_branch .LBB73_225
.LBB73_130:
	v_cmp_eq_u32_e64 s[0:1], 0, v0
	s_waitcnt vmcnt(9)
	ds_write_b64 v77, v[4:5]
	s_waitcnt lgkmcnt(0)
	; wave barrier
	s_waitcnt lgkmcnt(0)
	s_and_saveexec_b64 s[18:19], s[0:1]
	s_cbranch_execz .LBB73_136
; %bb.131:
	s_and_b64 vcc, exec, s[22:23]
	s_cbranch_vccz .LBB73_133
; %bb.132:
	v_cmp_eq_u32_e32 vcc, 1, v0
	s_waitcnt vmcnt(1)
	v_cndmask_b32_e32 v5, v3, v5, vcc
	v_cmp_eq_u32_e64 s[2:3], 2, v0
	v_cndmask_b32_e32 v4, v2, v4, vcc
	v_cndmask_b32_e64 v5, v5, v7, s[2:3]
	v_cmp_eq_u32_e64 s[4:5], 3, v0
	v_cndmask_b32_e64 v4, v4, v6, s[2:3]
	v_cndmask_b32_e64 v5, v5, v9, s[4:5]
	v_cmp_eq_u32_e64 s[6:7], 4, v0
	v_cndmask_b32_e64 v4, v4, v8, s[4:5]
	v_cndmask_b32_e64 v5, v5, v11, s[6:7]
	v_cmp_eq_u32_e64 s[8:9], 5, v0
	v_cndmask_b32_e64 v4, v4, v10, s[6:7]
	v_cndmask_b32_e64 v5, v5, v13, s[8:9]
	v_cmp_eq_u32_e64 s[10:11], 6, v0
	v_cndmask_b32_e64 v4, v4, v12, s[8:9]
	ds_read_b64 v[22:23], v77
	v_cndmask_b32_e64 v5, v5, v15, s[10:11]
	v_cmp_eq_u32_e64 s[12:13], 7, v0
	v_cndmask_b32_e64 v4, v4, v14, s[10:11]
	v_cndmask_b32_e64 v5, v5, v17, s[12:13]
	v_cmp_eq_u32_e64 s[14:15], 8, v0
	v_cndmask_b32_e64 v4, v4, v16, s[12:13]
	;; [unrolled: 3-line block ×3, first 2 shown]
	s_waitcnt vmcnt(0)
	v_cndmask_b32_e64 v5, v5, v21, s[16:17]
	v_cndmask_b32_e64 v4, v4, v20, s[16:17]
	s_waitcnt lgkmcnt(0)
	v_mul_f64 v[4:5], v[4:5], v[22:23]
	s_cbranch_execz .LBB73_134
	s_branch .LBB73_135
.LBB73_133:
                                        ; implicit-def: $vgpr4_vgpr5
.LBB73_134:
	ds_read_b64 v[4:5], v77
.LBB73_135:
	v_mov_b32_e32 v22, 0
	ds_read_b64 v[22:23], v22 offset:8
	s_waitcnt lgkmcnt(0)
	v_mul_f64 v[4:5], v[4:5], v[22:23]
.LBB73_136:
	s_or_b64 exec, exec, s[18:19]
	v_cndmask_b32_e64 v22, 0, 1, s[22:23]
	v_add_u32_e32 v26, 1, v0
	v_cmp_gt_u32_e64 s[2:3], 2, v0
	v_cmp_ne_u32_e64 s[4:5], 1, v22
	s_waitcnt vmcnt(8)
	ds_write_b64 v77, v[6:7]
	s_waitcnt lgkmcnt(0)
	; wave barrier
	s_waitcnt lgkmcnt(0)
	s_and_saveexec_b64 s[22:23], s[2:3]
	s_cbranch_execz .LBB73_144
; %bb.137:
	s_and_b64 vcc, exec, s[4:5]
	s_cbranch_vccnz .LBB73_139
; %bb.138:
	v_cmp_eq_u32_e32 vcc, 1, v0
	s_waitcnt vmcnt(1)
	v_cndmask_b32_e32 v22, v3, v5, vcc
	v_cmp_eq_u32_e64 s[6:7], 2, v0
	v_cndmask_b32_e64 v22, v22, v7, s[6:7]
	v_cmp_eq_u32_e64 s[8:9], 3, v0
	v_cndmask_b32_e64 v22, v22, v9, s[8:9]
	;; [unrolled: 2-line block ×7, first 2 shown]
	v_cmp_eq_u32_e64 s[20:21], 9, v0
	s_waitcnt vmcnt(0)
	v_cndmask_b32_e64 v23, v22, v21, s[20:21]
	v_cndmask_b32_e32 v22, v2, v4, vcc
	v_cndmask_b32_e64 v22, v22, v6, s[6:7]
	v_cndmask_b32_e64 v22, v22, v8, s[8:9]
	;; [unrolled: 1-line block ×4, first 2 shown]
	ds_read_b64 v[24:25], v77
	v_cndmask_b32_e64 v22, v22, v14, s[14:15]
	v_cndmask_b32_e64 v22, v22, v16, s[16:17]
	;; [unrolled: 1-line block ×4, first 2 shown]
	s_waitcnt lgkmcnt(0)
	v_mul_f64 v[22:23], v[22:23], v[24:25]
	s_cbranch_execz .LBB73_140
	s_branch .LBB73_141
.LBB73_139:
                                        ; implicit-def: $vgpr22_vgpr23
.LBB73_140:
	ds_read_b64 v[22:23], v77
.LBB73_141:
	s_and_saveexec_b64 s[24:25], s[0:1]
	s_cbranch_execz .LBB73_143
; %bb.142:
	v_cmp_eq_u32_e32 vcc, 1, v26
	s_waitcnt vmcnt(1)
	v_cndmask_b32_e32 v24, v3, v5, vcc
	v_cmp_eq_u32_e64 s[6:7], 2, v26
	v_cndmask_b32_e64 v7, v24, v7, s[6:7]
	v_cndmask_b32_e32 v24, v2, v4, vcc
	v_cmp_eq_u32_e64 s[8:9], 3, v26
	v_cndmask_b32_e64 v6, v24, v6, s[6:7]
	v_cndmask_b32_e64 v7, v7, v9, s[8:9]
	v_cmp_eq_u32_e64 s[10:11], 4, v26
	v_cndmask_b32_e64 v6, v6, v8, s[8:9]
	v_cndmask_b32_e64 v7, v7, v11, s[10:11]
	;; [unrolled: 3-line block ×3, first 2 shown]
	v_cmp_eq_u32_e64 s[14:15], 6, v26
	v_cndmask_b32_e64 v6, v6, v12, s[12:13]
	ds_read_b64 v[24:25], v77 offset:8
	v_cndmask_b32_e64 v7, v7, v15, s[14:15]
	v_cmp_eq_u32_e64 s[16:17], 7, v26
	v_cndmask_b32_e64 v6, v6, v14, s[14:15]
	v_cndmask_b32_e64 v7, v7, v17, s[16:17]
	v_cmp_eq_u32_e64 s[18:19], 8, v26
	v_cndmask_b32_e64 v6, v6, v16, s[16:17]
	;; [unrolled: 3-line block ×3, first 2 shown]
	s_waitcnt vmcnt(0)
	v_cndmask_b32_e64 v7, v7, v21, s[20:21]
	v_cndmask_b32_e64 v6, v6, v20, s[20:21]
	s_waitcnt lgkmcnt(0)
	v_fmac_f64_e32 v[22:23], v[6:7], v[24:25]
.LBB73_143:
	s_or_b64 exec, exec, s[24:25]
	v_mov_b32_e32 v6, 0
	ds_read_b64 v[6:7], v6 offset:16
	s_waitcnt lgkmcnt(0)
	v_mul_f64 v[6:7], v[22:23], v[6:7]
.LBB73_144:
	s_or_b64 exec, exec, s[22:23]
	v_cmp_gt_u32_e32 vcc, 3, v0
	s_waitcnt vmcnt(7)
	ds_write_b64 v77, v[8:9]
	s_waitcnt lgkmcnt(0)
	; wave barrier
	s_waitcnt lgkmcnt(0)
	s_and_saveexec_b64 s[22:23], vcc
	s_cbranch_execz .LBB73_152
; %bb.145:
	s_and_b64 vcc, exec, s[4:5]
	s_cbranch_vccnz .LBB73_147
; %bb.146:
	v_cmp_eq_u32_e32 vcc, 1, v0
	s_waitcnt vmcnt(1)
	v_cndmask_b32_e32 v22, v3, v5, vcc
	v_cmp_eq_u32_e64 s[6:7], 2, v0
	v_cndmask_b32_e64 v22, v22, v7, s[6:7]
	v_cmp_eq_u32_e64 s[8:9], 3, v0
	v_cndmask_b32_e64 v22, v22, v9, s[8:9]
	;; [unrolled: 2-line block ×7, first 2 shown]
	v_cmp_eq_u32_e64 s[20:21], 9, v0
	s_waitcnt vmcnt(0)
	v_cndmask_b32_e64 v23, v22, v21, s[20:21]
	v_cndmask_b32_e32 v22, v2, v4, vcc
	v_cndmask_b32_e64 v22, v22, v6, s[6:7]
	v_cndmask_b32_e64 v22, v22, v8, s[8:9]
	;; [unrolled: 1-line block ×4, first 2 shown]
	ds_read_b64 v[24:25], v77
	v_cndmask_b32_e64 v22, v22, v14, s[14:15]
	v_cndmask_b32_e64 v22, v22, v16, s[16:17]
	v_cndmask_b32_e64 v22, v22, v18, s[18:19]
	v_cndmask_b32_e64 v22, v22, v20, s[20:21]
	s_waitcnt lgkmcnt(0)
	v_mul_f64 v[22:23], v[22:23], v[24:25]
	s_cbranch_execz .LBB73_148
	s_branch .LBB73_149
.LBB73_147:
                                        ; implicit-def: $vgpr22_vgpr23
.LBB73_148:
	ds_read_b64 v[22:23], v77
.LBB73_149:
	v_cmp_ne_u32_e32 vcc, 2, v0
	s_and_saveexec_b64 s[24:25], vcc
	s_cbranch_execz .LBB73_151
; %bb.150:
	v_cmp_eq_u32_e32 vcc, 1, v26
	s_waitcnt vmcnt(1)
	v_cndmask_b32_e32 v24, v3, v5, vcc
	v_cmp_eq_u32_e64 s[6:7], 2, v26
	v_cndmask_b32_e64 v24, v24, v7, s[6:7]
	v_cmp_eq_u32_e64 s[8:9], 3, v26
	v_cndmask_b32_e64 v9, v24, v9, s[8:9]
	v_cndmask_b32_e32 v24, v2, v4, vcc
	v_cndmask_b32_e64 v24, v24, v6, s[6:7]
	v_cmp_eq_u32_e64 s[10:11], 4, v26
	v_cndmask_b32_e64 v8, v24, v8, s[8:9]
	v_cndmask_b32_e64 v9, v9, v11, s[10:11]
	v_cmp_eq_u32_e64 s[12:13], 5, v26
	v_cndmask_b32_e64 v8, v8, v10, s[10:11]
	;; [unrolled: 3-line block ×4, first 2 shown]
	v_mov_b32_e32 v27, 0
	ds_read_b64 v[24:25], v77 offset:8
	ds_read_b64 v[28:29], v27 offset:96
	v_cndmask_b32_e64 v9, v9, v17, s[16:17]
	v_cmp_eq_u32_e64 s[18:19], 8, v26
	v_cndmask_b32_e64 v8, v8, v16, s[16:17]
	v_cndmask_b32_e64 v9, v9, v19, s[18:19]
	v_cmp_eq_u32_e64 s[20:21], 9, v26
	v_cndmask_b32_e64 v8, v8, v18, s[18:19]
	s_waitcnt vmcnt(0)
	v_cndmask_b32_e64 v9, v9, v21, s[20:21]
	v_cndmask_b32_e64 v8, v8, v20, s[20:21]
	s_waitcnt lgkmcnt(1)
	v_fmac_f64_e32 v[22:23], v[8:9], v[24:25]
	s_waitcnt lgkmcnt(0)
	v_fma_f64 v[8:9], v[6:7], v[28:29], v[22:23]
	v_cndmask_b32_e64 v23, v23, v9, s[0:1]
	v_cndmask_b32_e64 v22, v22, v8, s[0:1]
.LBB73_151:
	s_or_b64 exec, exec, s[24:25]
	v_mov_b32_e32 v8, 0
	ds_read_b64 v[8:9], v8 offset:24
	s_waitcnt lgkmcnt(0)
	v_mul_f64 v[8:9], v[22:23], v[8:9]
.LBB73_152:
	s_or_b64 exec, exec, s[22:23]
	v_cmp_gt_u32_e64 s[6:7], 4, v0
	s_waitcnt vmcnt(6)
	ds_write_b64 v77, v[10:11]
	s_waitcnt lgkmcnt(0)
	; wave barrier
	s_waitcnt lgkmcnt(0)
	s_and_saveexec_b64 s[24:25], s[6:7]
	s_cbranch_execz .LBB73_162
; %bb.153:
	s_and_b64 vcc, exec, s[4:5]
	s_cbranch_vccnz .LBB73_155
; %bb.154:
	v_cmp_eq_u32_e32 vcc, 1, v0
	s_waitcnt vmcnt(1)
	v_cndmask_b32_e32 v22, v3, v5, vcc
	v_cmp_eq_u32_e64 s[8:9], 2, v0
	v_cndmask_b32_e64 v22, v22, v7, s[8:9]
	v_cmp_eq_u32_e64 s[10:11], 3, v0
	v_cndmask_b32_e64 v22, v22, v9, s[10:11]
	;; [unrolled: 2-line block ×7, first 2 shown]
	v_cmp_eq_u32_e64 s[22:23], 9, v0
	s_waitcnt vmcnt(0)
	v_cndmask_b32_e64 v23, v22, v21, s[22:23]
	v_cndmask_b32_e32 v22, v2, v4, vcc
	v_cndmask_b32_e64 v22, v22, v6, s[8:9]
	v_cndmask_b32_e64 v22, v22, v8, s[10:11]
	;; [unrolled: 1-line block ×4, first 2 shown]
	ds_read_b64 v[24:25], v77
	v_cndmask_b32_e64 v22, v22, v14, s[16:17]
	v_cndmask_b32_e64 v22, v22, v16, s[18:19]
	;; [unrolled: 1-line block ×4, first 2 shown]
	s_waitcnt lgkmcnt(0)
	v_mul_f64 v[22:23], v[22:23], v[24:25]
	s_cbranch_execz .LBB73_156
	s_branch .LBB73_157
.LBB73_155:
                                        ; implicit-def: $vgpr22_vgpr23
.LBB73_156:
	ds_read_b64 v[22:23], v77
.LBB73_157:
	v_cmp_ne_u32_e32 vcc, 3, v0
	s_and_saveexec_b64 s[12:13], vcc
	s_cbranch_execz .LBB73_161
; %bb.158:
	v_mov_b32_e32 v24, 0x58
	v_lshl_add_u32 v27, v0, 3, v24
	s_mov_b64 s[14:15], 0
	v_pk_mov_b32 v[24:25], v[0:1], v[0:1] op_sel:[0,1]
.LBB73_159:                             ; =>This Inner Loop Header: Depth=1
	v_add_co_u32_e32 v24, vcc, 1, v24
	v_addc_co_u32_e32 v25, vcc, 0, v25, vcc
	v_cmp_eq_u32_e32 vcc, 1, v24
	s_waitcnt vmcnt(1)
	v_cndmask_b32_e32 v30, v3, v5, vcc
	v_cmp_eq_u32_e64 s[10:11], 2, v24
	v_cmp_lt_u32_e64 s[8:9], 2, v24
	v_cndmask_b32_e64 v30, v30, v7, s[10:11]
	v_cndmask_b32_e32 v31, v2, v4, vcc
	v_cmp_eq_u32_e32 vcc, 3, v24
	s_or_b64 s[14:15], s[8:9], s[14:15]
	v_cndmask_b32_e32 v30, v30, v9, vcc
	v_cndmask_b32_e64 v31, v31, v6, s[10:11]
	v_cmp_eq_u32_e64 s[8:9], 4, v24
	v_cndmask_b32_e64 v30, v30, v11, s[8:9]
	v_cndmask_b32_e32 v31, v31, v8, vcc
	v_cmp_eq_u32_e32 vcc, 5, v24
	v_cndmask_b32_e32 v30, v30, v13, vcc
	v_cndmask_b32_e64 v31, v31, v10, s[8:9]
	v_cmp_eq_u32_e64 s[8:9], 6, v24
	ds_read_b64 v[28:29], v27
	v_cndmask_b32_e64 v30, v30, v15, s[8:9]
	v_cndmask_b32_e32 v31, v31, v12, vcc
	v_cmp_eq_u32_e32 vcc, 7, v24
	v_cndmask_b32_e32 v30, v30, v17, vcc
	v_cndmask_b32_e64 v31, v31, v14, s[8:9]
	v_cmp_eq_u32_e64 s[8:9], 8, v24
	v_cndmask_b32_e64 v30, v30, v19, s[8:9]
	v_cndmask_b32_e32 v32, v31, v16, vcc
	v_cmp_eq_u32_e32 vcc, 9, v24
	s_waitcnt vmcnt(0)
	v_cndmask_b32_e32 v31, v30, v21, vcc
	v_cndmask_b32_e64 v30, v32, v18, s[8:9]
	v_cndmask_b32_e32 v30, v30, v20, vcc
	v_add_u32_e32 v27, 8, v27
	s_waitcnt lgkmcnt(0)
	v_fmac_f64_e32 v[22:23], v[30:31], v[28:29]
	s_andn2_b64 exec, exec, s[14:15]
	s_cbranch_execnz .LBB73_159
; %bb.160:
	s_or_b64 exec, exec, s[14:15]
.LBB73_161:
	s_or_b64 exec, exec, s[12:13]
	v_mov_b32_e32 v10, 0
	ds_read_b64 v[10:11], v10 offset:32
	s_waitcnt lgkmcnt(0)
	v_mul_f64 v[10:11], v[22:23], v[10:11]
.LBB73_162:
	s_or_b64 exec, exec, s[24:25]
	v_cmp_gt_u32_e32 vcc, 5, v0
	s_waitcnt vmcnt(5)
	ds_write_b64 v77, v[12:13]
	s_waitcnt lgkmcnt(0)
	; wave barrier
	s_waitcnt lgkmcnt(0)
	s_and_saveexec_b64 s[24:25], vcc
	s_cbranch_execz .LBB73_172
; %bb.163:
	s_and_b64 vcc, exec, s[4:5]
	s_cbranch_vccnz .LBB73_165
; %bb.164:
	v_cmp_eq_u32_e32 vcc, 1, v0
	s_waitcnt vmcnt(1)
	v_cndmask_b32_e32 v22, v3, v5, vcc
	v_cmp_eq_u32_e64 s[8:9], 2, v0
	v_cndmask_b32_e64 v22, v22, v7, s[8:9]
	v_cmp_eq_u32_e64 s[10:11], 3, v0
	v_cndmask_b32_e64 v22, v22, v9, s[10:11]
	;; [unrolled: 2-line block ×7, first 2 shown]
	v_cmp_eq_u32_e64 s[22:23], 9, v0
	s_waitcnt vmcnt(0)
	v_cndmask_b32_e64 v23, v22, v21, s[22:23]
	v_cndmask_b32_e32 v22, v2, v4, vcc
	v_cndmask_b32_e64 v22, v22, v6, s[8:9]
	v_cndmask_b32_e64 v22, v22, v8, s[10:11]
	;; [unrolled: 1-line block ×4, first 2 shown]
	ds_read_b64 v[24:25], v77
	v_cndmask_b32_e64 v22, v22, v14, s[16:17]
	v_cndmask_b32_e64 v22, v22, v16, s[18:19]
	;; [unrolled: 1-line block ×4, first 2 shown]
	s_waitcnt lgkmcnt(0)
	v_mul_f64 v[22:23], v[22:23], v[24:25]
	s_cbranch_execz .LBB73_166
	s_branch .LBB73_167
.LBB73_165:
                                        ; implicit-def: $vgpr22_vgpr23
.LBB73_166:
	ds_read_b64 v[22:23], v77
.LBB73_167:
	v_cmp_ne_u32_e32 vcc, 4, v0
	s_and_saveexec_b64 s[12:13], vcc
	s_cbranch_execz .LBB73_171
; %bb.168:
	v_mov_b32_e32 v24, 0x58
	v_lshl_add_u32 v27, v0, 3, v24
	s_mov_b64 s[14:15], 0
	v_pk_mov_b32 v[24:25], v[0:1], v[0:1] op_sel:[0,1]
.LBB73_169:                             ; =>This Inner Loop Header: Depth=1
	v_add_co_u32_e32 v24, vcc, 1, v24
	v_addc_co_u32_e32 v25, vcc, 0, v25, vcc
	v_cmp_eq_u32_e32 vcc, 1, v24
	s_waitcnt vmcnt(1)
	v_cndmask_b32_e32 v30, v3, v5, vcc
	v_cmp_eq_u32_e64 s[10:11], 2, v24
	v_cmp_lt_u32_e64 s[8:9], 3, v24
	v_cndmask_b32_e64 v30, v30, v7, s[10:11]
	v_cndmask_b32_e32 v31, v2, v4, vcc
	v_cmp_eq_u32_e32 vcc, 3, v24
	s_or_b64 s[14:15], s[8:9], s[14:15]
	v_cndmask_b32_e32 v30, v30, v9, vcc
	v_cndmask_b32_e64 v31, v31, v6, s[10:11]
	v_cmp_eq_u32_e64 s[8:9], 4, v24
	v_cndmask_b32_e64 v30, v30, v11, s[8:9]
	v_cndmask_b32_e32 v31, v31, v8, vcc
	v_cmp_eq_u32_e32 vcc, 5, v24
	v_cndmask_b32_e32 v30, v30, v13, vcc
	v_cndmask_b32_e64 v31, v31, v10, s[8:9]
	v_cmp_eq_u32_e64 s[8:9], 6, v24
	ds_read_b64 v[28:29], v27
	v_cndmask_b32_e64 v30, v30, v15, s[8:9]
	v_cndmask_b32_e32 v31, v31, v12, vcc
	v_cmp_eq_u32_e32 vcc, 7, v24
	v_cndmask_b32_e32 v30, v30, v17, vcc
	v_cndmask_b32_e64 v31, v31, v14, s[8:9]
	v_cmp_eq_u32_e64 s[8:9], 8, v24
	v_cndmask_b32_e64 v30, v30, v19, s[8:9]
	v_cndmask_b32_e32 v32, v31, v16, vcc
	v_cmp_eq_u32_e32 vcc, 9, v24
	s_waitcnt vmcnt(0)
	v_cndmask_b32_e32 v31, v30, v21, vcc
	v_cndmask_b32_e64 v30, v32, v18, s[8:9]
	v_cndmask_b32_e32 v30, v30, v20, vcc
	v_add_u32_e32 v27, 8, v27
	s_waitcnt lgkmcnt(0)
	v_fmac_f64_e32 v[22:23], v[30:31], v[28:29]
	s_andn2_b64 exec, exec, s[14:15]
	s_cbranch_execnz .LBB73_169
; %bb.170:
	s_or_b64 exec, exec, s[14:15]
.LBB73_171:
	s_or_b64 exec, exec, s[12:13]
	v_mov_b32_e32 v12, 0
	ds_read_b64 v[12:13], v12 offset:40
	s_waitcnt lgkmcnt(0)
	v_mul_f64 v[12:13], v[22:23], v[12:13]
.LBB73_172:
	s_or_b64 exec, exec, s[24:25]
	v_cmp_gt_u32_e64 s[8:9], 6, v0
	s_waitcnt vmcnt(4)
	ds_write_b64 v77, v[14:15]
	s_waitcnt lgkmcnt(0)
	; wave barrier
	s_waitcnt lgkmcnt(0)
	s_and_saveexec_b64 s[26:27], s[8:9]
	s_cbranch_execz .LBB73_182
; %bb.173:
	s_and_b64 vcc, exec, s[4:5]
	s_cbranch_vccnz .LBB73_175
; %bb.174:
	v_cmp_eq_u32_e32 vcc, 1, v0
	s_waitcnt vmcnt(1)
	v_cndmask_b32_e32 v22, v3, v5, vcc
	v_cmp_eq_u32_e64 s[10:11], 2, v0
	v_cndmask_b32_e64 v22, v22, v7, s[10:11]
	v_cmp_eq_u32_e64 s[12:13], 3, v0
	v_cndmask_b32_e64 v22, v22, v9, s[12:13]
	;; [unrolled: 2-line block ×7, first 2 shown]
	v_cmp_eq_u32_e64 s[24:25], 9, v0
	s_waitcnt vmcnt(0)
	v_cndmask_b32_e64 v23, v22, v21, s[24:25]
	v_cndmask_b32_e32 v22, v2, v4, vcc
	v_cndmask_b32_e64 v22, v22, v6, s[10:11]
	v_cndmask_b32_e64 v22, v22, v8, s[12:13]
	;; [unrolled: 1-line block ×4, first 2 shown]
	ds_read_b64 v[24:25], v77
	v_cndmask_b32_e64 v22, v22, v14, s[18:19]
	v_cndmask_b32_e64 v22, v22, v16, s[20:21]
	;; [unrolled: 1-line block ×4, first 2 shown]
	s_waitcnt lgkmcnt(0)
	v_mul_f64 v[22:23], v[22:23], v[24:25]
	s_cbranch_execz .LBB73_176
	s_branch .LBB73_177
.LBB73_175:
                                        ; implicit-def: $vgpr22_vgpr23
.LBB73_176:
	ds_read_b64 v[22:23], v77
.LBB73_177:
	v_cmp_ne_u32_e32 vcc, 5, v0
	s_and_saveexec_b64 s[14:15], vcc
	s_cbranch_execz .LBB73_181
; %bb.178:
	v_mov_b32_e32 v24, 0x58
	v_lshl_add_u32 v27, v0, 3, v24
	s_mov_b64 s[16:17], 0
	v_pk_mov_b32 v[24:25], v[0:1], v[0:1] op_sel:[0,1]
.LBB73_179:                             ; =>This Inner Loop Header: Depth=1
	v_add_co_u32_e32 v24, vcc, 1, v24
	v_addc_co_u32_e32 v25, vcc, 0, v25, vcc
	v_cmp_eq_u32_e32 vcc, 1, v24
	s_waitcnt vmcnt(1)
	v_cndmask_b32_e32 v30, v3, v5, vcc
	v_cmp_eq_u32_e64 s[12:13], 2, v24
	v_cmp_lt_u32_e64 s[10:11], 4, v24
	v_cndmask_b32_e64 v30, v30, v7, s[12:13]
	v_cndmask_b32_e32 v31, v2, v4, vcc
	v_cmp_eq_u32_e32 vcc, 3, v24
	s_or_b64 s[16:17], s[10:11], s[16:17]
	v_cndmask_b32_e32 v30, v30, v9, vcc
	v_cndmask_b32_e64 v31, v31, v6, s[12:13]
	v_cmp_eq_u32_e64 s[10:11], 4, v24
	v_cndmask_b32_e64 v30, v30, v11, s[10:11]
	v_cndmask_b32_e32 v31, v31, v8, vcc
	v_cmp_eq_u32_e32 vcc, 5, v24
	v_cndmask_b32_e32 v30, v30, v13, vcc
	v_cndmask_b32_e64 v31, v31, v10, s[10:11]
	v_cmp_eq_u32_e64 s[10:11], 6, v24
	ds_read_b64 v[28:29], v27
	v_cndmask_b32_e64 v30, v30, v15, s[10:11]
	v_cndmask_b32_e32 v31, v31, v12, vcc
	v_cmp_eq_u32_e32 vcc, 7, v24
	v_cndmask_b32_e32 v30, v30, v17, vcc
	v_cndmask_b32_e64 v31, v31, v14, s[10:11]
	v_cmp_eq_u32_e64 s[10:11], 8, v24
	v_cndmask_b32_e64 v30, v30, v19, s[10:11]
	v_cndmask_b32_e32 v32, v31, v16, vcc
	v_cmp_eq_u32_e32 vcc, 9, v24
	s_waitcnt vmcnt(0)
	v_cndmask_b32_e32 v31, v30, v21, vcc
	v_cndmask_b32_e64 v30, v32, v18, s[10:11]
	v_cndmask_b32_e32 v30, v30, v20, vcc
	v_add_u32_e32 v27, 8, v27
	s_waitcnt lgkmcnt(0)
	v_fmac_f64_e32 v[22:23], v[30:31], v[28:29]
	s_andn2_b64 exec, exec, s[16:17]
	s_cbranch_execnz .LBB73_179
; %bb.180:
	s_or_b64 exec, exec, s[16:17]
.LBB73_181:
	s_or_b64 exec, exec, s[14:15]
	v_mov_b32_e32 v14, 0
	ds_read_b64 v[14:15], v14 offset:48
	s_waitcnt lgkmcnt(0)
	v_mul_f64 v[14:15], v[22:23], v[14:15]
.LBB73_182:
	s_or_b64 exec, exec, s[26:27]
	v_cmp_gt_u32_e32 vcc, 7, v0
	s_waitcnt vmcnt(3)
	ds_write_b64 v77, v[16:17]
	s_waitcnt lgkmcnt(0)
	; wave barrier
	s_waitcnt lgkmcnt(0)
	s_and_saveexec_b64 s[26:27], vcc
	s_cbranch_execz .LBB73_192
; %bb.183:
	s_and_b64 vcc, exec, s[4:5]
	s_cbranch_vccnz .LBB73_185
; %bb.184:
	v_cmp_eq_u32_e32 vcc, 1, v0
	s_waitcnt vmcnt(1)
	v_cndmask_b32_e32 v22, v3, v5, vcc
	v_cmp_eq_u32_e64 s[10:11], 2, v0
	v_cndmask_b32_e64 v22, v22, v7, s[10:11]
	v_cmp_eq_u32_e64 s[12:13], 3, v0
	v_cndmask_b32_e64 v22, v22, v9, s[12:13]
	;; [unrolled: 2-line block ×7, first 2 shown]
	v_cmp_eq_u32_e64 s[24:25], 9, v0
	s_waitcnt vmcnt(0)
	v_cndmask_b32_e64 v23, v22, v21, s[24:25]
	v_cndmask_b32_e32 v22, v2, v4, vcc
	v_cndmask_b32_e64 v22, v22, v6, s[10:11]
	v_cndmask_b32_e64 v22, v22, v8, s[12:13]
	;; [unrolled: 1-line block ×4, first 2 shown]
	ds_read_b64 v[24:25], v77
	v_cndmask_b32_e64 v22, v22, v14, s[18:19]
	v_cndmask_b32_e64 v22, v22, v16, s[20:21]
	;; [unrolled: 1-line block ×4, first 2 shown]
	s_waitcnt lgkmcnt(0)
	v_mul_f64 v[22:23], v[22:23], v[24:25]
	s_cbranch_execz .LBB73_186
	s_branch .LBB73_187
.LBB73_185:
                                        ; implicit-def: $vgpr22_vgpr23
.LBB73_186:
	ds_read_b64 v[22:23], v77
.LBB73_187:
	v_cmp_ne_u32_e32 vcc, 6, v0
	s_and_saveexec_b64 s[14:15], vcc
	s_cbranch_execz .LBB73_191
; %bb.188:
	v_mov_b32_e32 v24, 0x58
	v_lshl_add_u32 v27, v0, 3, v24
	s_mov_b64 s[16:17], 0
	v_pk_mov_b32 v[24:25], v[0:1], v[0:1] op_sel:[0,1]
.LBB73_189:                             ; =>This Inner Loop Header: Depth=1
	v_add_co_u32_e32 v24, vcc, 1, v24
	v_addc_co_u32_e32 v25, vcc, 0, v25, vcc
	v_cmp_eq_u32_e32 vcc, 1, v24
	s_waitcnt vmcnt(1)
	v_cndmask_b32_e32 v30, v3, v5, vcc
	v_cmp_eq_u32_e64 s[12:13], 2, v24
	v_cmp_lt_u32_e64 s[10:11], 5, v24
	v_cndmask_b32_e64 v30, v30, v7, s[12:13]
	v_cndmask_b32_e32 v31, v2, v4, vcc
	v_cmp_eq_u32_e32 vcc, 3, v24
	s_or_b64 s[16:17], s[10:11], s[16:17]
	v_cndmask_b32_e32 v30, v30, v9, vcc
	v_cndmask_b32_e64 v31, v31, v6, s[12:13]
	v_cmp_eq_u32_e64 s[10:11], 4, v24
	v_cndmask_b32_e64 v30, v30, v11, s[10:11]
	v_cndmask_b32_e32 v31, v31, v8, vcc
	v_cmp_eq_u32_e32 vcc, 5, v24
	v_cndmask_b32_e32 v30, v30, v13, vcc
	v_cndmask_b32_e64 v31, v31, v10, s[10:11]
	v_cmp_eq_u32_e64 s[10:11], 6, v24
	ds_read_b64 v[28:29], v27
	v_cndmask_b32_e64 v30, v30, v15, s[10:11]
	v_cndmask_b32_e32 v31, v31, v12, vcc
	v_cmp_eq_u32_e32 vcc, 7, v24
	v_cndmask_b32_e32 v30, v30, v17, vcc
	v_cndmask_b32_e64 v31, v31, v14, s[10:11]
	v_cmp_eq_u32_e64 s[10:11], 8, v24
	v_cndmask_b32_e64 v30, v30, v19, s[10:11]
	v_cndmask_b32_e32 v32, v31, v16, vcc
	v_cmp_eq_u32_e32 vcc, 9, v24
	s_waitcnt vmcnt(0)
	v_cndmask_b32_e32 v31, v30, v21, vcc
	v_cndmask_b32_e64 v30, v32, v18, s[10:11]
	v_cndmask_b32_e32 v30, v30, v20, vcc
	v_add_u32_e32 v27, 8, v27
	s_waitcnt lgkmcnt(0)
	v_fmac_f64_e32 v[22:23], v[30:31], v[28:29]
	s_andn2_b64 exec, exec, s[16:17]
	s_cbranch_execnz .LBB73_189
; %bb.190:
	s_or_b64 exec, exec, s[16:17]
.LBB73_191:
	s_or_b64 exec, exec, s[14:15]
	v_mov_b32_e32 v16, 0
	ds_read_b64 v[16:17], v16 offset:56
	s_waitcnt lgkmcnt(0)
	v_mul_f64 v[16:17], v[22:23], v[16:17]
.LBB73_192:
	s_or_b64 exec, exec, s[26:27]
	v_cmp_gt_u32_e64 s[10:11], 8, v0
	s_waitcnt vmcnt(2)
	ds_write_b64 v77, v[18:19]
	s_waitcnt lgkmcnt(0)
	; wave barrier
	s_waitcnt lgkmcnt(0)
	s_and_saveexec_b64 s[28:29], s[10:11]
	s_cbranch_execz .LBB73_202
; %bb.193:
	s_and_b64 vcc, exec, s[4:5]
	s_cbranch_vccnz .LBB73_195
; %bb.194:
	v_cmp_eq_u32_e32 vcc, 1, v0
	s_waitcnt vmcnt(1)
	v_cndmask_b32_e32 v22, v3, v5, vcc
	v_cmp_eq_u32_e64 s[12:13], 2, v0
	v_cndmask_b32_e64 v22, v22, v7, s[12:13]
	v_cmp_eq_u32_e64 s[14:15], 3, v0
	v_cndmask_b32_e64 v22, v22, v9, s[14:15]
	;; [unrolled: 2-line block ×7, first 2 shown]
	v_cmp_eq_u32_e64 s[26:27], 9, v0
	s_waitcnt vmcnt(0)
	v_cndmask_b32_e64 v23, v22, v21, s[26:27]
	v_cndmask_b32_e32 v22, v2, v4, vcc
	v_cndmask_b32_e64 v22, v22, v6, s[12:13]
	v_cndmask_b32_e64 v22, v22, v8, s[14:15]
	;; [unrolled: 1-line block ×4, first 2 shown]
	ds_read_b64 v[24:25], v77
	v_cndmask_b32_e64 v22, v22, v14, s[20:21]
	v_cndmask_b32_e64 v22, v22, v16, s[22:23]
	;; [unrolled: 1-line block ×4, first 2 shown]
	s_waitcnt lgkmcnt(0)
	v_mul_f64 v[22:23], v[22:23], v[24:25]
	s_cbranch_execz .LBB73_196
	s_branch .LBB73_197
.LBB73_195:
                                        ; implicit-def: $vgpr22_vgpr23
.LBB73_196:
	ds_read_b64 v[22:23], v77
.LBB73_197:
	v_cmp_ne_u32_e32 vcc, 7, v0
	s_and_saveexec_b64 s[16:17], vcc
	s_cbranch_execz .LBB73_201
; %bb.198:
	v_mov_b32_e32 v24, 0x58
	v_lshl_add_u32 v27, v0, 3, v24
	s_mov_b64 s[18:19], 0
	v_pk_mov_b32 v[24:25], v[0:1], v[0:1] op_sel:[0,1]
.LBB73_199:                             ; =>This Inner Loop Header: Depth=1
	v_add_co_u32_e32 v24, vcc, 1, v24
	v_addc_co_u32_e32 v25, vcc, 0, v25, vcc
	v_cmp_eq_u32_e32 vcc, 1, v24
	s_waitcnt vmcnt(1)
	v_cndmask_b32_e32 v1, v3, v5, vcc
	v_cmp_eq_u32_e64 s[14:15], 2, v24
	v_cmp_lt_u32_e64 s[12:13], 6, v24
	v_cndmask_b32_e64 v1, v1, v7, s[14:15]
	v_cndmask_b32_e32 v30, v2, v4, vcc
	v_cmp_eq_u32_e32 vcc, 3, v24
	s_or_b64 s[18:19], s[12:13], s[18:19]
	v_cndmask_b32_e32 v1, v1, v9, vcc
	v_cndmask_b32_e64 v30, v30, v6, s[14:15]
	v_cmp_eq_u32_e64 s[12:13], 4, v24
	v_cndmask_b32_e64 v1, v1, v11, s[12:13]
	v_cndmask_b32_e32 v30, v30, v8, vcc
	v_cmp_eq_u32_e32 vcc, 5, v24
	v_cndmask_b32_e32 v1, v1, v13, vcc
	v_cndmask_b32_e64 v30, v30, v10, s[12:13]
	v_cmp_eq_u32_e64 s[12:13], 6, v24
	ds_read_b64 v[28:29], v27
	v_cndmask_b32_e64 v1, v1, v15, s[12:13]
	v_cndmask_b32_e32 v30, v30, v12, vcc
	v_cmp_eq_u32_e32 vcc, 7, v24
	v_cndmask_b32_e32 v1, v1, v17, vcc
	v_cndmask_b32_e64 v30, v30, v14, s[12:13]
	v_cmp_eq_u32_e64 s[12:13], 8, v24
	v_cndmask_b32_e64 v1, v1, v19, s[12:13]
	v_cndmask_b32_e32 v30, v30, v16, vcc
	v_cmp_eq_u32_e32 vcc, 9, v24
	s_waitcnt vmcnt(0)
	v_cndmask_b32_e32 v31, v1, v21, vcc
	v_cndmask_b32_e64 v1, v30, v18, s[12:13]
	v_cndmask_b32_e32 v30, v1, v20, vcc
	v_add_u32_e32 v27, 8, v27
	s_waitcnt lgkmcnt(0)
	v_fmac_f64_e32 v[22:23], v[30:31], v[28:29]
	s_andn2_b64 exec, exec, s[18:19]
	s_cbranch_execnz .LBB73_199
; %bb.200:
	s_or_b64 exec, exec, s[18:19]
.LBB73_201:
	s_or_b64 exec, exec, s[16:17]
	v_mov_b32_e32 v1, 0
	ds_read_b64 v[18:19], v1 offset:64
	s_waitcnt lgkmcnt(0)
	v_mul_f64 v[18:19], v[22:23], v[18:19]
.LBB73_202:
	s_or_b64 exec, exec, s[28:29]
	v_cmp_ne_u32_e32 vcc, 9, v0
	s_waitcnt vmcnt(0)
	ds_write_b64 v77, v[20:21]
	s_waitcnt lgkmcnt(0)
	; wave barrier
	s_waitcnt lgkmcnt(0)
	s_and_saveexec_b64 s[26:27], vcc
	s_cbranch_execz .LBB73_224
; %bb.203:
	s_and_b64 vcc, exec, s[4:5]
	s_cbranch_vccnz .LBB73_205
; %bb.204:
	v_cmp_eq_u32_e32 vcc, 1, v0
	v_cndmask_b32_e32 v1, v3, v5, vcc
	v_cmp_eq_u32_e64 s[4:5], 2, v0
	v_cndmask_b32_e64 v1, v1, v7, s[4:5]
	v_cmp_eq_u32_e64 s[12:13], 3, v0
	v_cndmask_b32_e64 v1, v1, v9, s[12:13]
	;; [unrolled: 2-line block ×8, first 2 shown]
	v_cndmask_b32_e32 v1, v2, v4, vcc
	v_cndmask_b32_e64 v1, v1, v6, s[4:5]
	v_cndmask_b32_e64 v1, v1, v8, s[12:13]
	;; [unrolled: 1-line block ×4, first 2 shown]
	ds_read_b64 v[24:25], v77
	v_cndmask_b32_e64 v1, v1, v14, s[18:19]
	v_cndmask_b32_e64 v1, v1, v16, s[20:21]
	;; [unrolled: 1-line block ×4, first 2 shown]
	s_waitcnt lgkmcnt(0)
	v_mul_f64 v[22:23], v[22:23], v[24:25]
	s_cbranch_execz .LBB73_206
	s_branch .LBB73_207
.LBB73_205:
                                        ; implicit-def: $vgpr22_vgpr23
.LBB73_206:
	ds_read_b64 v[22:23], v77
.LBB73_207:
	s_and_saveexec_b64 s[24:25], s[10:11]
	s_cbranch_execz .LBB73_223
; %bb.208:
	v_cmp_eq_u32_e32 vcc, 1, v26
	v_cndmask_b32_e32 v1, v3, v5, vcc
	v_cmp_eq_u32_e64 s[4:5], 2, v26
	v_cndmask_b32_e64 v1, v1, v7, s[4:5]
	v_cmp_eq_u32_e64 s[10:11], 3, v26
	v_cndmask_b32_e64 v1, v1, v9, s[10:11]
	;; [unrolled: 2-line block ×8, first 2 shown]
	v_cndmask_b32_e32 v1, v2, v4, vcc
	v_cndmask_b32_e64 v1, v1, v6, s[4:5]
	v_cndmask_b32_e64 v1, v1, v8, s[10:11]
	;; [unrolled: 1-line block ×4, first 2 shown]
	ds_read_b64 v[26:27], v77 offset:8
	v_cndmask_b32_e64 v1, v1, v14, s[16:17]
	v_cndmask_b32_e64 v1, v1, v16, s[18:19]
	;; [unrolled: 1-line block ×4, first 2 shown]
	s_waitcnt lgkmcnt(0)
	v_fmac_f64_e32 v[22:23], v[24:25], v[26:27]
	v_cmp_ne_u32_e32 vcc, 7, v0
	s_and_saveexec_b64 s[28:29], vcc
	s_cbranch_execz .LBB73_222
; %bb.209:
	v_add_u32_e32 v1, 2, v0
	v_cmp_eq_u32_e32 vcc, 1, v1
	v_cndmask_b32_e32 v24, v3, v5, vcc
	v_cmp_eq_u32_e64 s[4:5], 2, v1
	v_cmp_eq_u32_e64 s[10:11], 3, v1
	;; [unrolled: 1-line block ×8, first 2 shown]
	v_cndmask_b32_e32 v1, v2, v4, vcc
	v_cndmask_b32_e64 v24, v24, v7, s[4:5]
	v_cndmask_b32_e64 v1, v1, v6, s[4:5]
	;; [unrolled: 1-line block ×8, first 2 shown]
	ds_read_b64 v[26:27], v77 offset:16
	v_cndmask_b32_e64 v24, v24, v15, s[16:17]
	v_cndmask_b32_e64 v1, v1, v14, s[16:17]
	v_cndmask_b32_e64 v24, v24, v17, s[18:19]
	v_cndmask_b32_e64 v1, v1, v16, s[18:19]
	v_cndmask_b32_e64 v24, v24, v19, s[20:21]
	v_cndmask_b32_e64 v1, v1, v18, s[20:21]
	v_cndmask_b32_e64 v25, v24, v21, s[22:23]
	v_cndmask_b32_e64 v24, v1, v20, s[22:23]
	s_waitcnt lgkmcnt(0)
	v_fmac_f64_e32 v[22:23], v[24:25], v[26:27]
	s_and_saveexec_b64 s[22:23], s[8:9]
	s_cbranch_execz .LBB73_221
; %bb.210:
	v_add_u32_e32 v1, 3, v0
	v_cmp_eq_u32_e32 vcc, 1, v1
	v_cndmask_b32_e32 v24, v3, v5, vcc
	v_cmp_eq_u32_e64 s[4:5], 2, v1
	v_cmp_eq_u32_e64 s[8:9], 3, v1
	;; [unrolled: 1-line block ×8, first 2 shown]
	v_cndmask_b32_e32 v1, v2, v4, vcc
	v_cndmask_b32_e64 v24, v24, v7, s[4:5]
	v_cndmask_b32_e64 v1, v1, v6, s[4:5]
	;; [unrolled: 1-line block ×8, first 2 shown]
	ds_read_b64 v[26:27], v77 offset:24
	v_cndmask_b32_e64 v24, v24, v15, s[14:15]
	v_cndmask_b32_e64 v1, v1, v14, s[14:15]
	;; [unrolled: 1-line block ×8, first 2 shown]
	s_waitcnt lgkmcnt(0)
	v_fmac_f64_e32 v[22:23], v[24:25], v[26:27]
	v_cmp_ne_u32_e32 vcc, 5, v0
	s_and_saveexec_b64 s[30:31], vcc
	s_cbranch_execz .LBB73_220
; %bb.211:
	v_add_u32_e32 v1, 4, v0
	v_cmp_eq_u32_e32 vcc, 1, v1
	v_cndmask_b32_e32 v24, v3, v5, vcc
	v_cmp_eq_u32_e64 s[4:5], 2, v1
	v_cmp_eq_u32_e64 s[8:9], 3, v1
	;; [unrolled: 1-line block ×8, first 2 shown]
	v_cndmask_b32_e32 v1, v2, v4, vcc
	v_cndmask_b32_e64 v24, v24, v7, s[4:5]
	v_cndmask_b32_e64 v1, v1, v6, s[4:5]
	;; [unrolled: 1-line block ×8, first 2 shown]
	ds_read_b64 v[26:27], v77 offset:32
	v_cndmask_b32_e64 v24, v24, v15, s[14:15]
	v_cndmask_b32_e64 v1, v1, v14, s[14:15]
	;; [unrolled: 1-line block ×8, first 2 shown]
	s_waitcnt lgkmcnt(0)
	v_fmac_f64_e32 v[22:23], v[24:25], v[26:27]
	s_and_saveexec_b64 s[20:21], s[6:7]
	s_cbranch_execz .LBB73_219
; %bb.212:
	v_add_u32_e32 v1, 5, v0
	v_cmp_eq_u32_e32 vcc, 1, v1
	v_cndmask_b32_e32 v24, v3, v5, vcc
	v_cmp_eq_u32_e64 s[4:5], 2, v1
	v_cmp_eq_u32_e64 s[6:7], 3, v1
	;; [unrolled: 1-line block ×8, first 2 shown]
	v_cndmask_b32_e32 v1, v2, v4, vcc
	v_cndmask_b32_e64 v24, v24, v7, s[4:5]
	v_cndmask_b32_e64 v1, v1, v6, s[4:5]
	;; [unrolled: 1-line block ×8, first 2 shown]
	ds_read_b64 v[26:27], v77 offset:40
	v_cndmask_b32_e64 v24, v24, v15, s[12:13]
	v_cndmask_b32_e64 v1, v1, v14, s[12:13]
	;; [unrolled: 1-line block ×8, first 2 shown]
	s_waitcnt lgkmcnt(0)
	v_fmac_f64_e32 v[22:23], v[24:25], v[26:27]
	v_cmp_ne_u32_e32 vcc, 3, v0
	s_and_saveexec_b64 s[34:35], vcc
	s_cbranch_execz .LBB73_218
; %bb.213:
	v_add_u32_e32 v1, 6, v0
	v_cmp_eq_u32_e32 vcc, 1, v1
	v_cndmask_b32_e32 v24, v3, v5, vcc
	v_cmp_eq_u32_e64 s[4:5], 2, v1
	v_cmp_eq_u32_e64 s[6:7], 3, v1
	v_cmp_eq_u32_e64 s[8:9], 4, v1
	v_cmp_eq_u32_e64 s[10:11], 5, v1
	v_cmp_eq_u32_e64 s[12:13], 6, v1
	v_cmp_eq_u32_e64 s[14:15], 7, v1
	v_cmp_eq_u32_e64 s[16:17], 8, v1
	v_cmp_eq_u32_e64 s[18:19], 9, v1
	v_cndmask_b32_e32 v1, v2, v4, vcc
	v_cndmask_b32_e64 v24, v24, v7, s[4:5]
	v_cndmask_b32_e64 v1, v1, v6, s[4:5]
	v_cndmask_b32_e64 v24, v24, v9, s[6:7]
	v_cndmask_b32_e64 v1, v1, v8, s[6:7]
	v_cndmask_b32_e64 v24, v24, v11, s[8:9]
	v_cndmask_b32_e64 v1, v1, v10, s[8:9]
	v_cndmask_b32_e64 v24, v24, v13, s[10:11]
	v_cndmask_b32_e64 v1, v1, v12, s[10:11]
	ds_read_b64 v[26:27], v77 offset:48
	v_cndmask_b32_e64 v24, v24, v15, s[12:13]
	v_cndmask_b32_e64 v1, v1, v14, s[12:13]
	;; [unrolled: 1-line block ×8, first 2 shown]
	s_waitcnt lgkmcnt(0)
	v_fmac_f64_e32 v[22:23], v[24:25], v[26:27]
	s_and_saveexec_b64 s[18:19], s[2:3]
	s_cbranch_execz .LBB73_217
; %bb.214:
	v_add_u32_e32 v0, 7, v0
	v_cmp_eq_u32_e32 vcc, 1, v0
	v_cndmask_b32_e32 v1, v3, v5, vcc
	v_cmp_eq_u32_e64 s[2:3], 2, v0
	v_cmp_eq_u32_e64 s[4:5], 3, v0
	;; [unrolled: 1-line block ×8, first 2 shown]
	v_cndmask_b32_e32 v0, v2, v4, vcc
	v_cndmask_b32_e64 v1, v1, v7, s[2:3]
	v_cndmask_b32_e64 v0, v0, v6, s[2:3]
	;; [unrolled: 1-line block ×8, first 2 shown]
	ds_read_b64 v[24:25], v77 offset:56
	v_cndmask_b32_e64 v1, v1, v15, s[10:11]
	v_cndmask_b32_e64 v0, v0, v14, s[10:11]
	;; [unrolled: 1-line block ×8, first 2 shown]
	s_waitcnt lgkmcnt(0)
	v_fmac_f64_e32 v[22:23], v[0:1], v[24:25]
	s_and_saveexec_b64 s[2:3], s[0:1]
	s_cbranch_execz .LBB73_216
; %bb.215:
	ds_read_b64 v[0:1], v77 offset:64
	s_waitcnt lgkmcnt(0)
	v_fmac_f64_e32 v[22:23], v[18:19], v[0:1]
.LBB73_216:
	s_or_b64 exec, exec, s[2:3]
.LBB73_217:
	s_or_b64 exec, exec, s[18:19]
.LBB73_218:
	s_or_b64 exec, exec, s[34:35]
.LBB73_219:
	s_or_b64 exec, exec, s[20:21]
.LBB73_220:
	s_or_b64 exec, exec, s[30:31]
.LBB73_221:
	s_or_b64 exec, exec, s[22:23]
.LBB73_222:
	s_or_b64 exec, exec, s[28:29]
.LBB73_223:
	s_or_b64 exec, exec, s[24:25]
	v_mov_b32_e32 v0, 0
	ds_read_b64 v[0:1], v0 offset:72
	s_waitcnt lgkmcnt(0)
	v_mul_f64 v[20:21], v[22:23], v[0:1]
.LBB73_224:
	s_or_b64 exec, exec, s[26:27]
	v_pk_mov_b32 v[52:53], v[32:33], v[32:33] op_sel:[0,1]
	v_pk_mov_b32 v[50:51], v[30:31], v[30:31] op_sel:[0,1]
	;; [unrolled: 1-line block ×16, first 2 shown]
.LBB73_225:
	global_store_dwordx2 v[54:55], v[22:23], off
	global_store_dwordx2 v[56:57], v[24:25], off
	global_store_dwordx2 v[58:59], v[26:27], off
	global_store_dwordx2 v[60:61], v[28:29], off
	global_store_dwordx2 v[62:63], v[30:31], off
	global_store_dwordx2 v[64:65], v[32:33], off
	global_store_dwordx2 v[66:67], v[34:35], off
	global_store_dwordx2 v[68:69], v[36:37], off
	global_store_dwordx2 v[70:71], v[38:39], off
	global_store_dwordx2 v[72:73], v[40:41], off
.LBB73_226:
	s_endpgm
	.section	.rodata,"a",@progbits
	.p2align	6, 0x0
	.amdhsa_kernel _ZN9rocsolver6v33100L18trti2_kernel_smallILi10EdPKPdEEv13rocblas_fill_17rocblas_diagonal_T1_iil
		.amdhsa_group_segment_fixed_size 160
		.amdhsa_private_segment_fixed_size 0
		.amdhsa_kernarg_size 32
		.amdhsa_user_sgpr_count 6
		.amdhsa_user_sgpr_private_segment_buffer 1
		.amdhsa_user_sgpr_dispatch_ptr 0
		.amdhsa_user_sgpr_queue_ptr 0
		.amdhsa_user_sgpr_kernarg_segment_ptr 1
		.amdhsa_user_sgpr_dispatch_id 0
		.amdhsa_user_sgpr_flat_scratch_init 0
		.amdhsa_user_sgpr_kernarg_preload_length 0
		.amdhsa_user_sgpr_kernarg_preload_offset 0
		.amdhsa_user_sgpr_private_segment_size 0
		.amdhsa_uses_dynamic_stack 0
		.amdhsa_system_sgpr_private_segment_wavefront_offset 0
		.amdhsa_system_sgpr_workgroup_id_x 1
		.amdhsa_system_sgpr_workgroup_id_y 0
		.amdhsa_system_sgpr_workgroup_id_z 0
		.amdhsa_system_sgpr_workgroup_info 0
		.amdhsa_system_vgpr_workitem_id 0
		.amdhsa_next_free_vgpr 102
		.amdhsa_next_free_sgpr 36
		.amdhsa_accum_offset 104
		.amdhsa_reserve_vcc 1
		.amdhsa_reserve_flat_scratch 0
		.amdhsa_float_round_mode_32 0
		.amdhsa_float_round_mode_16_64 0
		.amdhsa_float_denorm_mode_32 3
		.amdhsa_float_denorm_mode_16_64 3
		.amdhsa_dx10_clamp 1
		.amdhsa_ieee_mode 1
		.amdhsa_fp16_overflow 0
		.amdhsa_tg_split 0
		.amdhsa_exception_fp_ieee_invalid_op 0
		.amdhsa_exception_fp_denorm_src 0
		.amdhsa_exception_fp_ieee_div_zero 0
		.amdhsa_exception_fp_ieee_overflow 0
		.amdhsa_exception_fp_ieee_underflow 0
		.amdhsa_exception_fp_ieee_inexact 0
		.amdhsa_exception_int_div_zero 0
	.end_amdhsa_kernel
	.section	.text._ZN9rocsolver6v33100L18trti2_kernel_smallILi10EdPKPdEEv13rocblas_fill_17rocblas_diagonal_T1_iil,"axG",@progbits,_ZN9rocsolver6v33100L18trti2_kernel_smallILi10EdPKPdEEv13rocblas_fill_17rocblas_diagonal_T1_iil,comdat
.Lfunc_end73:
	.size	_ZN9rocsolver6v33100L18trti2_kernel_smallILi10EdPKPdEEv13rocblas_fill_17rocblas_diagonal_T1_iil, .Lfunc_end73-_ZN9rocsolver6v33100L18trti2_kernel_smallILi10EdPKPdEEv13rocblas_fill_17rocblas_diagonal_T1_iil
                                        ; -- End function
	.section	.AMDGPU.csdata,"",@progbits
; Kernel info:
; codeLenInByte = 15520
; NumSgprs: 40
; NumVgprs: 102
; NumAgprs: 0
; TotalNumVgprs: 102
; ScratchSize: 0
; MemoryBound: 0
; FloatMode: 240
; IeeeMode: 1
; LDSByteSize: 160 bytes/workgroup (compile time only)
; SGPRBlocks: 4
; VGPRBlocks: 12
; NumSGPRsForWavesPerEU: 40
; NumVGPRsForWavesPerEU: 102
; AccumOffset: 104
; Occupancy: 4
; WaveLimiterHint : 1
; COMPUTE_PGM_RSRC2:SCRATCH_EN: 0
; COMPUTE_PGM_RSRC2:USER_SGPR: 6
; COMPUTE_PGM_RSRC2:TRAP_HANDLER: 0
; COMPUTE_PGM_RSRC2:TGID_X_EN: 1
; COMPUTE_PGM_RSRC2:TGID_Y_EN: 0
; COMPUTE_PGM_RSRC2:TGID_Z_EN: 0
; COMPUTE_PGM_RSRC2:TIDIG_COMP_CNT: 0
; COMPUTE_PGM_RSRC3_GFX90A:ACCUM_OFFSET: 25
; COMPUTE_PGM_RSRC3_GFX90A:TG_SPLIT: 0
	.section	.text._ZN9rocsolver6v33100L18trti2_kernel_smallILi11EdPKPdEEv13rocblas_fill_17rocblas_diagonal_T1_iil,"axG",@progbits,_ZN9rocsolver6v33100L18trti2_kernel_smallILi11EdPKPdEEv13rocblas_fill_17rocblas_diagonal_T1_iil,comdat
	.globl	_ZN9rocsolver6v33100L18trti2_kernel_smallILi11EdPKPdEEv13rocblas_fill_17rocblas_diagonal_T1_iil ; -- Begin function _ZN9rocsolver6v33100L18trti2_kernel_smallILi11EdPKPdEEv13rocblas_fill_17rocblas_diagonal_T1_iil
	.p2align	8
	.type	_ZN9rocsolver6v33100L18trti2_kernel_smallILi11EdPKPdEEv13rocblas_fill_17rocblas_diagonal_T1_iil,@function
_ZN9rocsolver6v33100L18trti2_kernel_smallILi11EdPKPdEEv13rocblas_fill_17rocblas_diagonal_T1_iil: ; @_ZN9rocsolver6v33100L18trti2_kernel_smallILi11EdPKPdEEv13rocblas_fill_17rocblas_diagonal_T1_iil
; %bb.0:
	v_cmp_gt_u32_e32 vcc, 11, v0
	s_and_saveexec_b64 s[0:1], vcc
	s_cbranch_execz .LBB74_252
; %bb.1:
	s_load_dwordx2 s[0:1], s[4:5], 0x10
	s_load_dwordx4 s[24:27], s[4:5], 0x0
	s_ashr_i32 s7, s6, 31
	s_lshl_b64 s[2:3], s[6:7], 3
	v_lshlrev_b32_e32 v26, 3, v0
	s_waitcnt lgkmcnt(0)
	s_ashr_i32 s5, s0, 31
	s_add_u32 s2, s26, s2
	s_addc_u32 s3, s27, s3
	s_load_dwordx2 s[2:3], s[2:3], 0x0
	s_mov_b32 s4, s0
	s_lshl_b64 s[4:5], s[4:5], 3
	v_mov_b32_e32 v24, 0
	v_mov_b32_e32 v25, 0xbff00000
	s_waitcnt lgkmcnt(0)
	s_add_u32 s2, s2, s4
	s_addc_u32 s3, s3, s5
	v_mov_b32_e32 v1, s3
	v_add_co_u32_e32 v56, vcc, s2, v26
	s_ashr_i32 s5, s1, 31
	s_mov_b32 s4, s1
	s_add_i32 s0, s1, s1
	v_addc_co_u32_e32 v57, vcc, 0, v1, vcc
	s_lshl_b64 s[4:5], s[4:5], 3
	v_add_u32_e32 v2, s0, v0
	v_mov_b32_e32 v1, s5
	v_add_co_u32_e32 v58, vcc, s4, v56
	v_ashrrev_i32_e32 v3, 31, v2
	v_addc_co_u32_e32 v59, vcc, v57, v1, vcc
	v_lshlrev_b64 v[4:5], 3, v[2:3]
	v_add_u32_e32 v2, s1, v2
	v_mov_b32_e32 v1, s3
	v_add_co_u32_e32 v60, vcc, s2, v4
	v_ashrrev_i32_e32 v3, 31, v2
	v_addc_co_u32_e32 v61, vcc, v1, v5, vcc
	v_lshlrev_b64 v[4:5], 3, v[2:3]
	v_add_u32_e32 v2, s1, v2
	v_add_co_u32_e32 v62, vcc, s2, v4
	v_ashrrev_i32_e32 v3, 31, v2
	v_addc_co_u32_e32 v63, vcc, v1, v5, vcc
	v_lshlrev_b64 v[4:5], 3, v[2:3]
	v_add_u32_e32 v2, s1, v2
	;; [unrolled: 5-line block ×7, first 2 shown]
	v_add_co_u32_e32 v74, vcc, s2, v20
	v_ashrrev_i32_e32 v3, 31, v2
	global_load_dwordx2 v[4:5], v[58:59], off
	global_load_dwordx2 v[6:7], v[60:61], off
	;; [unrolled: 1-line block ×8, first 2 shown]
	v_addc_co_u32_e32 v75, vcc, v1, v21, vcc
	v_lshlrev_b64 v[2:3], 3, v[2:3]
	v_add_co_u32_e32 v76, vcc, s2, v2
	global_load_dwordx2 v[20:21], v[74:75], off
	v_addc_co_u32_e32 v77, vcc, v1, v3, vcc
	global_load_dwordx2 v[2:3], v26, s[2:3]
	global_load_dwordx2 v[22:23], v[76:77], off
	s_cmpk_lg_i32 s25, 0x84
	v_mov_b32_e32 v1, 0
	s_cselect_b64 s[22:23], -1, 0
	s_cmpk_eq_i32 s25, 0x84
	v_cmp_eq_u32_e64 s[0:1], 0, v0
	s_cbranch_scc1 .LBB74_3
; %bb.2:
	v_cmp_eq_u32_e64 s[2:3], 1, v0
	s_waitcnt vmcnt(1)
	v_cndmask_b32_e64 v24, v3, v5, s[2:3]
	v_cmp_eq_u32_e64 s[4:5], 2, v0
	v_cndmask_b32_e64 v24, v24, v7, s[4:5]
	v_cmp_eq_u32_e64 s[6:7], 3, v0
	;; [unrolled: 2-line block ×9, first 2 shown]
	s_waitcnt vmcnt(0)
	v_cndmask_b32_e64 v25, v24, v23, s[20:21]
	v_cndmask_b32_e64 v24, v2, v4, s[2:3]
	;; [unrolled: 1-line block ×11, first 2 shown]
	v_div_scale_f64 v[28:29], s[26:27], v[24:25], v[24:25], 1.0
	v_rcp_f64_e32 v[30:31], v[28:29]
	v_fma_f64 v[32:33], -v[28:29], v[30:31], 1.0
	v_fmac_f64_e32 v[30:31], v[30:31], v[32:33]
	v_fma_f64 v[32:33], -v[28:29], v[30:31], 1.0
	v_fmac_f64_e32 v[30:31], v[30:31], v[32:33]
	v_div_scale_f64 v[32:33], vcc, 1.0, v[24:25], 1.0
	v_mul_f64 v[34:35], v[32:33], v[30:31]
	v_fma_f64 v[28:29], -v[28:29], v[34:35], v[32:33]
	s_nop 1
	v_div_fmas_f64 v[28:29], v[28:29], v[30:31], v[34:35]
	v_div_fixup_f64 v[24:25], v[28:29], v[24:25], 1.0
	v_cndmask_b32_e64 v23, v23, v25, s[20:21]
	v_cndmask_b32_e64 v22, v22, v24, s[20:21]
	;; [unrolled: 1-line block ×22, first 2 shown]
	v_xor_b32_e32 v25, 0x80000000, v25
.LBB74_3:
	s_cmpk_eq_i32 s24, 0x79
	v_add_u32_e32 v81, 0x60, v26
	ds_write_b64 v26, v[24:25]
	s_cbranch_scc1 .LBB74_7
; %bb.4:
	s_waitcnt vmcnt(0)
	v_pk_mov_b32 v[54:55], v[32:33], v[32:33] op_sel:[0,1]
	v_cmp_eq_u32_e64 s[2:3], 10, v0
	v_pk_mov_b32 v[52:53], v[30:31], v[30:31] op_sel:[0,1]
	v_pk_mov_b32 v[50:51], v[28:29], v[28:29] op_sel:[0,1]
	;; [unrolled: 1-line block ×15, first 2 shown]
	ds_write_b64 v81, v[20:21]
	s_waitcnt lgkmcnt(0)
	; wave barrier
	s_waitcnt lgkmcnt(0)
	s_and_saveexec_b64 s[20:21], s[2:3]
	s_cbranch_execz .LBB74_11
; %bb.5:
	s_and_b64 vcc, exec, s[22:23]
	s_cbranch_vccz .LBB74_8
; %bb.6:
	v_cmp_eq_u32_e32 vcc, 1, v0
	v_cndmask_b32_e32 v24, v3, v5, vcc
	v_cmp_eq_u32_e64 s[0:1], 2, v0
	v_cndmask_b32_e64 v24, v24, v7, s[0:1]
	v_cmp_eq_u32_e64 s[4:5], 3, v0
	v_cndmask_b32_e64 v24, v24, v9, s[4:5]
	;; [unrolled: 2-line block ×9, first 2 shown]
	v_cndmask_b32_e32 v24, v2, v4, vcc
	v_cndmask_b32_e64 v24, v24, v6, s[0:1]
	v_cndmask_b32_e64 v24, v24, v8, s[4:5]
	;; [unrolled: 1-line block ×5, first 2 shown]
	ds_read_b64 v[26:27], v81
	v_cndmask_b32_e64 v24, v24, v16, s[12:13]
	v_cndmask_b32_e64 v24, v24, v18, s[14:15]
	;; [unrolled: 1-line block ×4, first 2 shown]
	s_waitcnt lgkmcnt(0)
	v_mul_f64 v[28:29], v[24:25], v[26:27]
	s_cbranch_execz .LBB74_9
	s_branch .LBB74_10
.LBB74_7:
                                        ; implicit-def: $vgpr24_vgpr25_vgpr26_vgpr27_vgpr28_vgpr29_vgpr30_vgpr31_vgpr32_vgpr33_vgpr34_vgpr35_vgpr36_vgpr37_vgpr38_vgpr39_vgpr40_vgpr41_vgpr42_vgpr43_vgpr44_vgpr45_vgpr46_vgpr47_vgpr48_vgpr49_vgpr50_vgpr51_vgpr52_vgpr53_vgpr54_vgpr55
	s_cbranch_execnz .LBB74_146
	s_branch .LBB74_251
.LBB74_8:
                                        ; implicit-def: $vgpr28_vgpr29
.LBB74_9:
	ds_read_b64 v[28:29], v81
.LBB74_10:
	v_mov_b32_e32 v24, 0
	ds_read_b64 v[30:31], v24 offset:72
	v_mov_b32_e32 v24, v2
	v_mov_b32_e32 v25, v3
	;; [unrolled: 1-line block ×4, first 2 shown]
	s_waitcnt lgkmcnt(0)
	v_mul_f64 v[42:43], v[28:29], v[30:31]
	v_mov_b32_e32 v28, v6
	v_mov_b32_e32 v29, v7
	;; [unrolled: 1-line block ×16, first 2 shown]
.LBB74_11:
	s_or_b64 exec, exec, s[20:21]
	v_cmp_lt_u32_e64 s[0:1], 8, v0
	ds_write_b64 v81, v[40:41]
	s_waitcnt lgkmcnt(0)
	; wave barrier
	s_waitcnt lgkmcnt(0)
	s_and_saveexec_b64 s[24:25], s[0:1]
	s_cbranch_execz .LBB74_17
; %bb.12:
	s_andn2_b64 vcc, exec, s[22:23]
	s_cbranch_vccnz .LBB74_14
; %bb.13:
	v_cmp_eq_u32_e32 vcc, 1, v0
	v_cndmask_b32_e32 v46, v25, v27, vcc
	v_cmp_eq_u32_e64 s[4:5], 2, v0
	v_cndmask_b32_e64 v46, v46, v29, s[4:5]
	v_cmp_eq_u32_e64 s[6:7], 3, v0
	v_cndmask_b32_e64 v46, v46, v31, s[6:7]
	;; [unrolled: 2-line block ×7, first 2 shown]
	v_cndmask_b32_e32 v46, v24, v26, vcc
	v_cndmask_b32_e64 v46, v46, v28, s[4:5]
	v_cndmask_b32_e64 v46, v46, v30, s[6:7]
	;; [unrolled: 1-line block ×5, first 2 shown]
	ds_read_b64 v[46:47], v81
	v_cndmask_b32_e64 v48, v48, v38, s[14:15]
	v_cmp_eq_u32_e64 s[18:19], 9, v0
	v_cndmask_b32_e64 v40, v48, v40, s[16:17]
	v_cndmask_b32_e64 v41, v41, v43, s[18:19]
	v_cmp_eq_u32_e64 s[20:21], 10, v0
	v_cndmask_b32_e64 v40, v40, v42, s[18:19]
	v_cndmask_b32_e64 v41, v41, v45, s[20:21]
	;; [unrolled: 1-line block ×3, first 2 shown]
	s_waitcnt lgkmcnt(0)
	v_mul_f64 v[40:41], v[40:41], v[46:47]
	s_cbranch_execz .LBB74_15
	s_branch .LBB74_16
.LBB74_14:
                                        ; implicit-def: $vgpr40_vgpr41
.LBB74_15:
	ds_read_b64 v[40:41], v81
.LBB74_16:
	v_mov_b32_e32 v46, 0
	ds_read2_b64 v[46:49], v46 offset0:8 offset1:21
	s_waitcnt lgkmcnt(0)
	v_fma_f64 v[48:49], v[42:43], v[48:49], v[40:41]
	v_cndmask_b32_e64 v41, v41, v49, s[2:3]
	v_cndmask_b32_e64 v40, v40, v48, s[2:3]
	v_mul_f64 v[40:41], v[40:41], v[46:47]
.LBB74_17:
	s_or_b64 exec, exec, s[24:25]
	v_cmp_lt_u32_e64 s[2:3], 7, v0
	ds_write_b64 v81, v[38:39]
	s_waitcnt lgkmcnt(0)
	; wave barrier
	s_waitcnt lgkmcnt(0)
	s_and_saveexec_b64 s[24:25], s[2:3]
	s_cbranch_execz .LBB74_33
; %bb.18:
	s_andn2_b64 vcc, exec, s[22:23]
	s_cbranch_vccnz .LBB74_20
; %bb.19:
	v_cmp_eq_u32_e32 vcc, 1, v0
	v_cndmask_b32_e32 v78, v25, v27, vcc
	v_cmp_eq_u32_e64 s[4:5], 2, v0
	v_cndmask_b32_e64 v78, v78, v29, s[4:5]
	v_cmp_eq_u32_e64 s[6:7], 3, v0
	v_cndmask_b32_e64 v78, v78, v31, s[6:7]
	;; [unrolled: 2-line block ×9, first 2 shown]
	v_cndmask_b32_e32 v78, v24, v26, vcc
	v_cndmask_b32_e64 v78, v78, v28, s[4:5]
	v_cndmask_b32_e64 v78, v78, v30, s[6:7]
	;; [unrolled: 1-line block ×5, first 2 shown]
	ds_read_b64 v[82:83], v81
	v_cndmask_b32_e64 v78, v78, v38, s[14:15]
	v_cndmask_b32_e64 v78, v78, v40, s[16:17]
	;; [unrolled: 1-line block ×4, first 2 shown]
	s_waitcnt lgkmcnt(0)
	v_mul_f64 v[78:79], v[78:79], v[82:83]
	s_cbranch_execz .LBB74_21
	s_branch .LBB74_22
.LBB74_20:
                                        ; implicit-def: $vgpr78_vgpr79
.LBB74_21:
	ds_read_b64 v[78:79], v81
.LBB74_22:
	s_and_saveexec_b64 s[6:7], s[0:1]
	s_cbranch_execz .LBB74_32
; %bb.23:
	v_add_u32_e32 v80, -9, v0
	v_cmp_lt_u32_e32 vcc, 6, v80
	v_mov_b32_e32 v82, 8
	s_and_saveexec_b64 s[0:1], vcc
	s_cbranch_execz .LBB74_27
; %bb.24:
	v_and_b32_e32 v80, 8, v0
	v_sub_u32_e32 v80, 0, v80
	s_mov_b64 s[4:5], 15
	s_movk_i32 s10, 0xa0
	s_mov_b64 s[8:9], 0
.LBB74_25:                              ; =>This Inner Loop Header: Depth=1
	s_lshl_b32 s11, s4, 1
	s_add_i32 s12, s11, -13
	s_add_i32 s13, s11, -14
	s_set_gpr_idx_on s12, gpr_idx(SRC0)
	v_mov_b32_e32 v101, v24
	s_set_gpr_idx_off
	v_mov_b32_e32 v82, s10
	s_add_i32 s14, s11, -11
	s_set_gpr_idx_on s13, gpr_idx(SRC0)
	v_mov_b32_e32 v100, v24
	s_set_gpr_idx_off
	s_add_i32 s15, s11, -12
	ds_read_b128 v[84:87], v82
	ds_read_b128 v[88:91], v82 offset:16
	ds_read_b128 v[92:95], v82 offset:32
	;; [unrolled: 1-line block ×3, first 2 shown]
	s_set_gpr_idx_on s14, gpr_idx(SRC0)
	v_mov_b32_e32 v103, v24
	s_set_gpr_idx_off
	s_add_i32 s16, s11, -9
	s_set_gpr_idx_on s15, gpr_idx(SRC0)
	v_mov_b32_e32 v102, v24
	s_set_gpr_idx_off
	s_add_i32 s17, s11, -10
	;; [unrolled: 4-line block ×4, first 2 shown]
	s_waitcnt lgkmcnt(3)
	v_fmac_f64_e32 v[78:79], v[100:101], v[84:85]
	s_set_gpr_idx_on s18, gpr_idx(SRC0)
	v_mov_b32_e32 v85, v24
	s_set_gpr_idx_off
	s_add_i32 s20, s11, -5
	v_fmac_f64_e32 v[78:79], v[102:103], v[86:87]
	s_set_gpr_idx_on s19, gpr_idx(SRC0)
	v_mov_b32_e32 v84, v24
	s_set_gpr_idx_off
	s_add_i32 s21, s11, -6
	s_waitcnt lgkmcnt(2)
	v_fmac_f64_e32 v[78:79], v[104:105], v[88:89]
	s_set_gpr_idx_on s20, gpr_idx(SRC0)
	v_mov_b32_e32 v87, v24
	s_set_gpr_idx_off
	s_add_i32 s26, s11, -3
	v_fmac_f64_e32 v[78:79], v[84:85], v[90:91]
	s_set_gpr_idx_on s21, gpr_idx(SRC0)
	v_mov_b32_e32 v86, v24
	s_set_gpr_idx_off
	s_add_i32 s27, s11, -4
	s_waitcnt lgkmcnt(1)
	v_fmac_f64_e32 v[78:79], v[86:87], v[92:93]
	s_set_gpr_idx_on s26, gpr_idx(SRC0)
	v_mov_b32_e32 v85, v24
	s_set_gpr_idx_off
	s_add_i32 s28, s11, -1
	s_set_gpr_idx_on s27, gpr_idx(SRC0)
	v_mov_b32_e32 v84, v24
	s_set_gpr_idx_off
	s_add_i32 s29, s11, -2
	v_fmac_f64_e32 v[78:79], v[84:85], v[94:95]
	s_set_gpr_idx_on s28, gpr_idx(SRC0)
	v_mov_b32_e32 v85, v24
	s_set_gpr_idx_off
	s_add_u32 s4, s4, 8
	s_set_gpr_idx_on s29, gpr_idx(SRC0)
	v_mov_b32_e32 v84, v24
	s_set_gpr_idx_off
	v_add_u32_e32 v82, s4, v80
	s_waitcnt lgkmcnt(0)
	v_fmac_f64_e32 v[78:79], v[84:85], v[96:97]
	s_set_gpr_idx_on s11, gpr_idx(SRC0)
	v_mov_b32_e32 v85, v25
	s_set_gpr_idx_off
	s_addc_u32 s5, s5, 0
	s_add_i32 s10, s10, 64
	s_add_i32 s12, s4, -7
	v_cmp_eq_u32_e32 vcc, 7, v82
	s_set_gpr_idx_on s11, gpr_idx(SRC0)
	v_mov_b32_e32 v84, v24
	s_set_gpr_idx_off
	v_mov_b32_e32 v82, s12
	s_or_b64 s[8:9], vcc, s[8:9]
	v_fmac_f64_e32 v[78:79], v[84:85], v[98:99]
	s_andn2_b64 exec, exec, s[8:9]
	s_cbranch_execnz .LBB74_25
; %bb.26:
	s_or_b64 exec, exec, s[8:9]
.LBB74_27:
	s_or_b64 exec, exec, s[0:1]
	v_and_b32_e32 v46, 7, v0
	v_cmp_ne_u32_e32 vcc, 0, v46
	s_and_saveexec_b64 s[8:9], vcc
	s_cbranch_execz .LBB74_31
; %bb.28:
	v_mov_b32_e32 v47, 0x60
	v_lshl_add_u32 v48, v82, 3, v47
	v_mov_b32_e32 v47, 0
	s_mov_b64 s[10:11], 0
.LBB74_29:                              ; =>This Inner Loop Header: Depth=1
	v_cmp_eq_u32_e32 vcc, 1, v82
	v_cndmask_b32_e32 v49, v25, v27, vcc
	v_add_u32_e32 v46, -1, v46
	v_cmp_eq_u32_e64 s[0:1], 2, v82
	v_cndmask_b32_e64 v49, v49, v29, s[0:1]
	v_cndmask_b32_e32 v52, v24, v26, vcc
	v_cmp_eq_u32_e32 vcc, 0, v46
	v_cmp_eq_u32_e64 s[4:5], 3, v82
	v_cndmask_b32_e64 v49, v49, v31, s[4:5]
	v_cndmask_b32_e64 v52, v52, v28, s[0:1]
	s_or_b64 s[10:11], vcc, s[10:11]
	v_cmp_eq_u32_e32 vcc, 4, v82
	v_cndmask_b32_e32 v49, v49, v33, vcc
	v_cndmask_b32_e64 v52, v52, v30, s[4:5]
	v_cmp_eq_u32_e64 s[0:1], 5, v82
	v_cndmask_b32_e64 v49, v49, v35, s[0:1]
	v_cndmask_b32_e32 v52, v52, v32, vcc
	v_cmp_eq_u32_e32 vcc, 6, v82
	v_cndmask_b32_e32 v49, v49, v37, vcc
	v_cndmask_b32_e64 v52, v52, v34, s[0:1]
	v_cmp_eq_u32_e64 s[0:1], 7, v82
	ds_read_b64 v[50:51], v48
	v_cndmask_b32_e64 v49, v49, v39, s[0:1]
	v_cndmask_b32_e32 v52, v52, v36, vcc
	v_cmp_eq_u32_e32 vcc, 8, v82
	v_cndmask_b32_e32 v49, v49, v41, vcc
	v_cndmask_b32_e64 v52, v52, v38, s[0:1]
	v_cmp_eq_u32_e64 s[0:1], 9, v82
	v_cndmask_b32_e64 v49, v49, v43, s[0:1]
	v_cmp_eq_u32_e64 s[4:5], 10, v82
	v_cndmask_b32_e32 v52, v52, v40, vcc
	v_cndmask_b32_e64 v53, v49, v45, s[4:5]
	v_cndmask_b32_e64 v49, v52, v42, s[0:1]
	v_add_co_u32_e32 v82, vcc, 1, v82
	v_cndmask_b32_e64 v52, v49, v44, s[4:5]
	v_add_u32_e32 v48, 8, v48
	v_addc_co_u32_e32 v47, vcc, 0, v47, vcc
	s_waitcnt lgkmcnt(0)
	v_fmac_f64_e32 v[78:79], v[52:53], v[50:51]
	s_andn2_b64 exec, exec, s[10:11]
	s_cbranch_execnz .LBB74_29
; %bb.30:
	s_or_b64 exec, exec, s[10:11]
.LBB74_31:
	s_or_b64 exec, exec, s[8:9]
.LBB74_32:
	s_or_b64 exec, exec, s[6:7]
	v_mov_b32_e32 v38, 0
	ds_read_b64 v[38:39], v38 offset:56
	s_waitcnt lgkmcnt(0)
	v_mul_f64 v[38:39], v[78:79], v[38:39]
.LBB74_33:
	s_or_b64 exec, exec, s[24:25]
	v_cmp_lt_u32_e64 s[0:1], 6, v0
	ds_write_b64 v81, v[36:37]
	s_waitcnt lgkmcnt(0)
	; wave barrier
	s_waitcnt lgkmcnt(0)
	s_and_saveexec_b64 s[24:25], s[0:1]
	s_cbranch_execz .LBB74_49
; %bb.34:
	s_andn2_b64 vcc, exec, s[22:23]
	s_cbranch_vccnz .LBB74_36
; %bb.35:
	v_cmp_eq_u32_e32 vcc, 1, v0
	v_cndmask_b32_e32 v78, v25, v27, vcc
	v_cmp_eq_u32_e64 s[4:5], 2, v0
	v_cndmask_b32_e64 v78, v78, v29, s[4:5]
	v_cmp_eq_u32_e64 s[6:7], 3, v0
	v_cndmask_b32_e64 v78, v78, v31, s[6:7]
	;; [unrolled: 2-line block ×9, first 2 shown]
	v_cndmask_b32_e32 v78, v24, v26, vcc
	v_cndmask_b32_e64 v78, v78, v28, s[4:5]
	v_cndmask_b32_e64 v78, v78, v30, s[6:7]
	;; [unrolled: 1-line block ×5, first 2 shown]
	ds_read_b64 v[82:83], v81
	v_cndmask_b32_e64 v78, v78, v38, s[14:15]
	v_cndmask_b32_e64 v78, v78, v40, s[16:17]
	;; [unrolled: 1-line block ×4, first 2 shown]
	s_waitcnt lgkmcnt(0)
	v_mul_f64 v[78:79], v[78:79], v[82:83]
	s_cbranch_execz .LBB74_37
	s_branch .LBB74_38
.LBB74_36:
                                        ; implicit-def: $vgpr78_vgpr79
.LBB74_37:
	ds_read_b64 v[78:79], v81
.LBB74_38:
	s_and_saveexec_b64 s[6:7], s[2:3]
	s_cbranch_execz .LBB74_48
; %bb.39:
	v_add_u32_e32 v80, -8, v0
	v_add_u32_e32 v83, -7, v0
	v_cmp_lt_u32_e32 vcc, 6, v80
	v_mov_b32_e32 v80, 7
	s_and_saveexec_b64 s[2:3], vcc
	s_cbranch_execz .LBB74_43
; %bb.40:
	v_and_b32_e32 v80, -8, v83
	v_sub_u32_e32 v82, 0, v80
	s_mov_b64 s[4:5], 14
	s_movk_i32 s10, 0x98
	s_mov_b64 s[8:9], 0
.LBB74_41:                              ; =>This Inner Loop Header: Depth=1
	s_lshl_b32 s11, s4, 1
	s_add_i32 s12, s11, -13
	v_mov_b32_e32 v98, s10
	s_add_i32 s13, s11, -14
	s_set_gpr_idx_on s12, gpr_idx(SRC0)
	v_mov_b32_e32 v93, v24
	s_set_gpr_idx_off
	s_add_i32 s14, s11, -11
	s_set_gpr_idx_on s13, gpr_idx(SRC0)
	v_mov_b32_e32 v92, v24
	s_set_gpr_idx_off
	ds_read2_b64 v[84:87], v98 offset1:1
	s_add_i32 s15, s11, -12
	s_set_gpr_idx_on s14, gpr_idx(SRC0)
	v_mov_b32_e32 v95, v24
	s_set_gpr_idx_off
	s_add_i32 s16, s11, -9
	s_set_gpr_idx_on s15, gpr_idx(SRC0)
	v_mov_b32_e32 v94, v24
	s_set_gpr_idx_off
	;; [unrolled: 4-line block ×4, first 2 shown]
	ds_read2_b64 v[88:91], v98 offset0:2 offset1:3
	s_add_i32 s19, s11, -8
	s_waitcnt lgkmcnt(1)
	v_fmac_f64_e32 v[78:79], v[92:93], v[84:85]
	s_set_gpr_idx_on s18, gpr_idx(SRC0)
	v_mov_b32_e32 v93, v24
	s_set_gpr_idx_off
	s_add_i32 s20, s11, -5
	v_fmac_f64_e32 v[78:79], v[94:95], v[86:87]
	s_set_gpr_idx_on s19, gpr_idx(SRC0)
	v_mov_b32_e32 v92, v24
	s_set_gpr_idx_off
	s_add_i32 s21, s11, -6
	s_set_gpr_idx_on s20, gpr_idx(SRC0)
	v_mov_b32_e32 v95, v24
	s_set_gpr_idx_off
	s_add_i32 s26, s11, -3
	;; [unrolled: 4-line block ×3, first 2 shown]
	ds_read2_b64 v[84:87], v98 offset0:4 offset1:5
	s_waitcnt lgkmcnt(1)
	v_fmac_f64_e32 v[78:79], v[96:97], v[88:89]
	s_set_gpr_idx_on s26, gpr_idx(SRC0)
	v_mov_b32_e32 v97, v24
	s_set_gpr_idx_off
	s_add_i32 s28, s11, -1
	v_fmac_f64_e32 v[78:79], v[92:93], v[90:91]
	s_set_gpr_idx_on s27, gpr_idx(SRC0)
	v_mov_b32_e32 v96, v24
	s_set_gpr_idx_off
	s_add_i32 s29, s11, -2
	s_set_gpr_idx_on s28, gpr_idx(SRC0)
	v_mov_b32_e32 v93, v24
	s_set_gpr_idx_off
	s_set_gpr_idx_on s29, gpr_idx(SRC0)
	v_mov_b32_e32 v92, v24
	s_set_gpr_idx_off
	ds_read2_b64 v[88:91], v98 offset0:6 offset1:7
	s_add_u32 s4, s4, 8
	s_waitcnt lgkmcnt(1)
	v_fmac_f64_e32 v[78:79], v[94:95], v[84:85]
	s_set_gpr_idx_on s11, gpr_idx(SRC0)
	v_mov_b32_e32 v85, v25
	s_set_gpr_idx_off
	v_add_u32_e32 v80, s4, v82
	v_fmac_f64_e32 v[78:79], v[96:97], v[86:87]
	s_set_gpr_idx_on s11, gpr_idx(SRC0)
	v_mov_b32_e32 v84, v24
	s_set_gpr_idx_off
	s_addc_u32 s5, s5, 0
	s_add_i32 s10, s10, 64
	s_add_i32 s12, s4, -7
	v_cmp_eq_u32_e32 vcc, 14, v80
	s_waitcnt lgkmcnt(0)
	v_fmac_f64_e32 v[78:79], v[92:93], v[88:89]
	v_mov_b32_e32 v80, s12
	s_or_b64 s[8:9], vcc, s[8:9]
	v_fmac_f64_e32 v[78:79], v[84:85], v[90:91]
	s_andn2_b64 exec, exec, s[8:9]
	s_cbranch_execnz .LBB74_41
; %bb.42:
	s_or_b64 exec, exec, s[8:9]
.LBB74_43:
	s_or_b64 exec, exec, s[2:3]
	v_and_b32_e32 v46, 7, v83
	v_cmp_ne_u32_e32 vcc, 0, v46
	s_and_saveexec_b64 s[8:9], vcc
	s_cbranch_execz .LBB74_47
; %bb.44:
	v_mov_b32_e32 v47, 0x60
	v_lshl_add_u32 v48, v80, 3, v47
	v_mov_b32_e32 v47, 0
	s_mov_b64 s[10:11], 0
.LBB74_45:                              ; =>This Inner Loop Header: Depth=1
	v_cmp_eq_u32_e32 vcc, 1, v80
	v_cndmask_b32_e32 v49, v25, v27, vcc
	v_add_u32_e32 v46, -1, v46
	v_cmp_eq_u32_e64 s[2:3], 2, v80
	v_cndmask_b32_e64 v49, v49, v29, s[2:3]
	v_cndmask_b32_e32 v52, v24, v26, vcc
	v_cmp_eq_u32_e32 vcc, 0, v46
	v_cmp_eq_u32_e64 s[4:5], 3, v80
	v_cndmask_b32_e64 v49, v49, v31, s[4:5]
	v_cndmask_b32_e64 v52, v52, v28, s[2:3]
	s_or_b64 s[10:11], vcc, s[10:11]
	v_cmp_eq_u32_e32 vcc, 4, v80
	v_cndmask_b32_e32 v49, v49, v33, vcc
	v_cndmask_b32_e64 v52, v52, v30, s[4:5]
	v_cmp_eq_u32_e64 s[2:3], 5, v80
	v_cndmask_b32_e64 v49, v49, v35, s[2:3]
	v_cndmask_b32_e32 v52, v52, v32, vcc
	v_cmp_eq_u32_e32 vcc, 6, v80
	v_cndmask_b32_e32 v49, v49, v37, vcc
	v_cndmask_b32_e64 v52, v52, v34, s[2:3]
	v_cmp_eq_u32_e64 s[2:3], 7, v80
	ds_read_b64 v[50:51], v48
	v_cndmask_b32_e64 v49, v49, v39, s[2:3]
	v_cndmask_b32_e32 v52, v52, v36, vcc
	v_cmp_eq_u32_e32 vcc, 8, v80
	v_cndmask_b32_e32 v49, v49, v41, vcc
	v_cndmask_b32_e64 v52, v52, v38, s[2:3]
	v_cmp_eq_u32_e64 s[2:3], 9, v80
	v_cndmask_b32_e64 v49, v49, v43, s[2:3]
	v_cmp_eq_u32_e64 s[4:5], 10, v80
	v_cndmask_b32_e32 v52, v52, v40, vcc
	v_cndmask_b32_e64 v53, v49, v45, s[4:5]
	v_cndmask_b32_e64 v49, v52, v42, s[2:3]
	v_add_co_u32_e32 v80, vcc, 1, v80
	v_cndmask_b32_e64 v52, v49, v44, s[4:5]
	v_add_u32_e32 v48, 8, v48
	v_addc_co_u32_e32 v47, vcc, 0, v47, vcc
	s_waitcnt lgkmcnt(0)
	v_fmac_f64_e32 v[78:79], v[52:53], v[50:51]
	s_andn2_b64 exec, exec, s[10:11]
	s_cbranch_execnz .LBB74_45
; %bb.46:
	s_or_b64 exec, exec, s[10:11]
.LBB74_47:
	s_or_b64 exec, exec, s[8:9]
.LBB74_48:
	s_or_b64 exec, exec, s[6:7]
	v_mov_b32_e32 v36, 0
	ds_read_b64 v[36:37], v36 offset:48
	s_waitcnt lgkmcnt(0)
	v_mul_f64 v[36:37], v[78:79], v[36:37]
.LBB74_49:
	s_or_b64 exec, exec, s[24:25]
	v_cmp_lt_u32_e64 s[2:3], 5, v0
	ds_write_b64 v81, v[34:35]
	s_waitcnt lgkmcnt(0)
	; wave barrier
	s_waitcnt lgkmcnt(0)
	s_and_saveexec_b64 s[24:25], s[2:3]
	s_cbranch_execz .LBB74_65
; %bb.50:
	s_andn2_b64 vcc, exec, s[22:23]
	s_cbranch_vccnz .LBB74_52
; %bb.51:
	v_cmp_eq_u32_e32 vcc, 1, v0
	v_cndmask_b32_e32 v78, v25, v27, vcc
	v_cmp_eq_u32_e64 s[4:5], 2, v0
	v_cndmask_b32_e64 v78, v78, v29, s[4:5]
	v_cmp_eq_u32_e64 s[6:7], 3, v0
	v_cndmask_b32_e64 v78, v78, v31, s[6:7]
	;; [unrolled: 2-line block ×9, first 2 shown]
	v_cndmask_b32_e32 v78, v24, v26, vcc
	v_cndmask_b32_e64 v78, v78, v28, s[4:5]
	v_cndmask_b32_e64 v78, v78, v30, s[6:7]
	;; [unrolled: 1-line block ×5, first 2 shown]
	ds_read_b64 v[82:83], v81
	v_cndmask_b32_e64 v78, v78, v38, s[14:15]
	v_cndmask_b32_e64 v78, v78, v40, s[16:17]
	;; [unrolled: 1-line block ×4, first 2 shown]
	s_waitcnt lgkmcnt(0)
	v_mul_f64 v[78:79], v[78:79], v[82:83]
	s_cbranch_execz .LBB74_53
	s_branch .LBB74_54
.LBB74_52:
                                        ; implicit-def: $vgpr78_vgpr79
.LBB74_53:
	ds_read_b64 v[78:79], v81
.LBB74_54:
	s_and_saveexec_b64 s[6:7], s[0:1]
	s_cbranch_execz .LBB74_64
; %bb.55:
	v_add_u32_e32 v80, -7, v0
	v_add_u32_e32 v83, -6, v0
	v_cmp_lt_u32_e32 vcc, 6, v80
	v_mov_b32_e32 v82, 6
	s_and_saveexec_b64 s[0:1], vcc
	s_cbranch_execz .LBB74_59
; %bb.56:
	v_and_b32_e32 v80, -8, v83
	v_sub_u32_e32 v80, 0, v80
	s_mov_b64 s[4:5], 13
	s_movk_i32 s10, 0x90
	s_mov_b64 s[8:9], 0
.LBB74_57:                              ; =>This Inner Loop Header: Depth=1
	s_lshl_b32 s11, s4, 1
	s_add_i32 s12, s11, -13
	s_add_i32 s13, s11, -14
	s_set_gpr_idx_on s12, gpr_idx(SRC0)
	v_mov_b32_e32 v101, v24
	s_set_gpr_idx_off
	v_mov_b32_e32 v82, s10
	s_add_i32 s14, s11, -11
	s_set_gpr_idx_on s13, gpr_idx(SRC0)
	v_mov_b32_e32 v100, v24
	s_set_gpr_idx_off
	s_add_i32 s15, s11, -12
	ds_read_b128 v[84:87], v82
	ds_read_b128 v[88:91], v82 offset:16
	ds_read_b128 v[92:95], v82 offset:32
	;; [unrolled: 1-line block ×3, first 2 shown]
	s_set_gpr_idx_on s14, gpr_idx(SRC0)
	v_mov_b32_e32 v103, v24
	s_set_gpr_idx_off
	s_add_i32 s16, s11, -9
	s_set_gpr_idx_on s15, gpr_idx(SRC0)
	v_mov_b32_e32 v102, v24
	s_set_gpr_idx_off
	s_add_i32 s17, s11, -10
	;; [unrolled: 4-line block ×4, first 2 shown]
	s_waitcnt lgkmcnt(3)
	v_fmac_f64_e32 v[78:79], v[100:101], v[84:85]
	s_set_gpr_idx_on s18, gpr_idx(SRC0)
	v_mov_b32_e32 v85, v24
	s_set_gpr_idx_off
	s_add_i32 s20, s11, -5
	v_fmac_f64_e32 v[78:79], v[102:103], v[86:87]
	s_set_gpr_idx_on s19, gpr_idx(SRC0)
	v_mov_b32_e32 v84, v24
	s_set_gpr_idx_off
	s_add_i32 s21, s11, -6
	s_waitcnt lgkmcnt(2)
	v_fmac_f64_e32 v[78:79], v[104:105], v[88:89]
	s_set_gpr_idx_on s20, gpr_idx(SRC0)
	v_mov_b32_e32 v87, v24
	s_set_gpr_idx_off
	s_add_i32 s26, s11, -3
	v_fmac_f64_e32 v[78:79], v[84:85], v[90:91]
	s_set_gpr_idx_on s21, gpr_idx(SRC0)
	v_mov_b32_e32 v86, v24
	s_set_gpr_idx_off
	s_add_i32 s27, s11, -4
	s_waitcnt lgkmcnt(1)
	v_fmac_f64_e32 v[78:79], v[86:87], v[92:93]
	s_set_gpr_idx_on s26, gpr_idx(SRC0)
	v_mov_b32_e32 v85, v24
	s_set_gpr_idx_off
	s_add_i32 s28, s11, -1
	s_set_gpr_idx_on s27, gpr_idx(SRC0)
	v_mov_b32_e32 v84, v24
	s_set_gpr_idx_off
	s_add_i32 s29, s11, -2
	v_fmac_f64_e32 v[78:79], v[84:85], v[94:95]
	s_set_gpr_idx_on s28, gpr_idx(SRC0)
	v_mov_b32_e32 v85, v24
	s_set_gpr_idx_off
	s_add_u32 s4, s4, 8
	s_set_gpr_idx_on s29, gpr_idx(SRC0)
	v_mov_b32_e32 v84, v24
	s_set_gpr_idx_off
	v_add_u32_e32 v82, s4, v80
	s_waitcnt lgkmcnt(0)
	v_fmac_f64_e32 v[78:79], v[84:85], v[96:97]
	s_set_gpr_idx_on s11, gpr_idx(SRC0)
	v_mov_b32_e32 v85, v25
	s_set_gpr_idx_off
	s_addc_u32 s5, s5, 0
	s_add_i32 s10, s10, 64
	s_add_i32 s12, s4, -7
	v_cmp_eq_u32_e32 vcc, 13, v82
	s_set_gpr_idx_on s11, gpr_idx(SRC0)
	v_mov_b32_e32 v84, v24
	s_set_gpr_idx_off
	v_mov_b32_e32 v82, s12
	s_or_b64 s[8:9], vcc, s[8:9]
	v_fmac_f64_e32 v[78:79], v[84:85], v[98:99]
	s_andn2_b64 exec, exec, s[8:9]
	s_cbranch_execnz .LBB74_57
; %bb.58:
	s_or_b64 exec, exec, s[8:9]
.LBB74_59:
	s_or_b64 exec, exec, s[0:1]
	v_and_b32_e32 v46, 7, v83
	v_cmp_ne_u32_e32 vcc, 0, v46
	s_and_saveexec_b64 s[8:9], vcc
	s_cbranch_execz .LBB74_63
; %bb.60:
	v_mov_b32_e32 v47, 0x60
	v_lshl_add_u32 v48, v82, 3, v47
	v_mov_b32_e32 v47, 0
	s_mov_b64 s[10:11], 0
.LBB74_61:                              ; =>This Inner Loop Header: Depth=1
	v_cmp_eq_u32_e32 vcc, 1, v82
	v_cndmask_b32_e32 v49, v25, v27, vcc
	v_add_u32_e32 v46, -1, v46
	v_cmp_eq_u32_e64 s[0:1], 2, v82
	v_cndmask_b32_e64 v49, v49, v29, s[0:1]
	v_cndmask_b32_e32 v52, v24, v26, vcc
	v_cmp_eq_u32_e32 vcc, 0, v46
	v_cmp_eq_u32_e64 s[4:5], 3, v82
	v_cndmask_b32_e64 v49, v49, v31, s[4:5]
	v_cndmask_b32_e64 v52, v52, v28, s[0:1]
	s_or_b64 s[10:11], vcc, s[10:11]
	v_cmp_eq_u32_e32 vcc, 4, v82
	v_cndmask_b32_e32 v49, v49, v33, vcc
	v_cndmask_b32_e64 v52, v52, v30, s[4:5]
	v_cmp_eq_u32_e64 s[0:1], 5, v82
	v_cndmask_b32_e64 v49, v49, v35, s[0:1]
	v_cndmask_b32_e32 v52, v52, v32, vcc
	v_cmp_eq_u32_e32 vcc, 6, v82
	v_cndmask_b32_e32 v49, v49, v37, vcc
	v_cndmask_b32_e64 v52, v52, v34, s[0:1]
	v_cmp_eq_u32_e64 s[0:1], 7, v82
	ds_read_b64 v[50:51], v48
	v_cndmask_b32_e64 v49, v49, v39, s[0:1]
	v_cndmask_b32_e32 v52, v52, v36, vcc
	v_cmp_eq_u32_e32 vcc, 8, v82
	v_cndmask_b32_e32 v49, v49, v41, vcc
	v_cndmask_b32_e64 v52, v52, v38, s[0:1]
	v_cmp_eq_u32_e64 s[0:1], 9, v82
	v_cndmask_b32_e64 v49, v49, v43, s[0:1]
	v_cmp_eq_u32_e64 s[4:5], 10, v82
	v_cndmask_b32_e32 v52, v52, v40, vcc
	v_cndmask_b32_e64 v53, v49, v45, s[4:5]
	v_cndmask_b32_e64 v49, v52, v42, s[0:1]
	v_add_co_u32_e32 v82, vcc, 1, v82
	v_cndmask_b32_e64 v52, v49, v44, s[4:5]
	v_add_u32_e32 v48, 8, v48
	v_addc_co_u32_e32 v47, vcc, 0, v47, vcc
	s_waitcnt lgkmcnt(0)
	v_fmac_f64_e32 v[78:79], v[52:53], v[50:51]
	s_andn2_b64 exec, exec, s[10:11]
	s_cbranch_execnz .LBB74_61
; %bb.62:
	s_or_b64 exec, exec, s[10:11]
.LBB74_63:
	s_or_b64 exec, exec, s[8:9]
.LBB74_64:
	s_or_b64 exec, exec, s[6:7]
	v_mov_b32_e32 v34, 0
	ds_read_b64 v[34:35], v34 offset:40
	s_waitcnt lgkmcnt(0)
	v_mul_f64 v[34:35], v[78:79], v[34:35]
.LBB74_65:
	s_or_b64 exec, exec, s[24:25]
	v_cmp_lt_u32_e64 s[0:1], 4, v0
	ds_write_b64 v81, v[32:33]
	s_waitcnt lgkmcnt(0)
	; wave barrier
	s_waitcnt lgkmcnt(0)
	s_and_saveexec_b64 s[24:25], s[0:1]
	s_cbranch_execz .LBB74_81
; %bb.66:
	s_andn2_b64 vcc, exec, s[22:23]
	s_cbranch_vccnz .LBB74_68
; %bb.67:
	v_cmp_eq_u32_e32 vcc, 1, v0
	v_cndmask_b32_e32 v78, v25, v27, vcc
	v_cmp_eq_u32_e64 s[4:5], 2, v0
	v_cndmask_b32_e64 v78, v78, v29, s[4:5]
	v_cmp_eq_u32_e64 s[6:7], 3, v0
	v_cndmask_b32_e64 v78, v78, v31, s[6:7]
	;; [unrolled: 2-line block ×9, first 2 shown]
	v_cndmask_b32_e32 v78, v24, v26, vcc
	v_cndmask_b32_e64 v78, v78, v28, s[4:5]
	v_cndmask_b32_e64 v78, v78, v30, s[6:7]
	;; [unrolled: 1-line block ×5, first 2 shown]
	ds_read_b64 v[82:83], v81
	v_cndmask_b32_e64 v78, v78, v38, s[14:15]
	v_cndmask_b32_e64 v78, v78, v40, s[16:17]
	;; [unrolled: 1-line block ×4, first 2 shown]
	s_waitcnt lgkmcnt(0)
	v_mul_f64 v[78:79], v[78:79], v[82:83]
	s_cbranch_execz .LBB74_69
	s_branch .LBB74_70
.LBB74_68:
                                        ; implicit-def: $vgpr78_vgpr79
.LBB74_69:
	ds_read_b64 v[78:79], v81
.LBB74_70:
	s_and_saveexec_b64 s[6:7], s[2:3]
	s_cbranch_execz .LBB74_80
; %bb.71:
	v_add_u32_e32 v80, -6, v0
	v_add_u32_e32 v83, -5, v0
	v_cmp_lt_u32_e32 vcc, 6, v80
	v_mov_b32_e32 v80, 5
	s_and_saveexec_b64 s[2:3], vcc
	s_cbranch_execz .LBB74_75
; %bb.72:
	v_and_b32_e32 v80, -8, v83
	v_sub_u32_e32 v82, 0, v80
	s_mov_b64 s[4:5], 12
	s_movk_i32 s10, 0x88
	s_mov_b64 s[8:9], 0
.LBB74_73:                              ; =>This Inner Loop Header: Depth=1
	s_lshl_b32 s11, s4, 1
	s_add_i32 s12, s11, -13
	v_mov_b32_e32 v98, s10
	s_add_i32 s13, s11, -14
	s_set_gpr_idx_on s12, gpr_idx(SRC0)
	v_mov_b32_e32 v93, v24
	s_set_gpr_idx_off
	s_add_i32 s14, s11, -11
	s_set_gpr_idx_on s13, gpr_idx(SRC0)
	v_mov_b32_e32 v92, v24
	s_set_gpr_idx_off
	ds_read2_b64 v[84:87], v98 offset1:1
	s_add_i32 s15, s11, -12
	s_set_gpr_idx_on s14, gpr_idx(SRC0)
	v_mov_b32_e32 v95, v24
	s_set_gpr_idx_off
	s_add_i32 s16, s11, -9
	s_set_gpr_idx_on s15, gpr_idx(SRC0)
	v_mov_b32_e32 v94, v24
	s_set_gpr_idx_off
	;; [unrolled: 4-line block ×4, first 2 shown]
	ds_read2_b64 v[88:91], v98 offset0:2 offset1:3
	s_add_i32 s19, s11, -8
	s_waitcnt lgkmcnt(1)
	v_fmac_f64_e32 v[78:79], v[92:93], v[84:85]
	s_set_gpr_idx_on s18, gpr_idx(SRC0)
	v_mov_b32_e32 v93, v24
	s_set_gpr_idx_off
	s_add_i32 s20, s11, -5
	v_fmac_f64_e32 v[78:79], v[94:95], v[86:87]
	s_set_gpr_idx_on s19, gpr_idx(SRC0)
	v_mov_b32_e32 v92, v24
	s_set_gpr_idx_off
	s_add_i32 s21, s11, -6
	s_set_gpr_idx_on s20, gpr_idx(SRC0)
	v_mov_b32_e32 v95, v24
	s_set_gpr_idx_off
	s_add_i32 s26, s11, -3
	s_set_gpr_idx_on s21, gpr_idx(SRC0)
	v_mov_b32_e32 v94, v24
	s_set_gpr_idx_off
	s_add_i32 s27, s11, -4
	ds_read2_b64 v[84:87], v98 offset0:4 offset1:5
	s_waitcnt lgkmcnt(1)
	v_fmac_f64_e32 v[78:79], v[96:97], v[88:89]
	s_set_gpr_idx_on s26, gpr_idx(SRC0)
	v_mov_b32_e32 v97, v24
	s_set_gpr_idx_off
	s_add_i32 s28, s11, -1
	v_fmac_f64_e32 v[78:79], v[92:93], v[90:91]
	s_set_gpr_idx_on s27, gpr_idx(SRC0)
	v_mov_b32_e32 v96, v24
	s_set_gpr_idx_off
	s_add_i32 s29, s11, -2
	s_set_gpr_idx_on s28, gpr_idx(SRC0)
	v_mov_b32_e32 v93, v24
	s_set_gpr_idx_off
	s_set_gpr_idx_on s29, gpr_idx(SRC0)
	v_mov_b32_e32 v92, v24
	s_set_gpr_idx_off
	ds_read2_b64 v[88:91], v98 offset0:6 offset1:7
	s_add_u32 s4, s4, 8
	s_waitcnt lgkmcnt(1)
	v_fmac_f64_e32 v[78:79], v[94:95], v[84:85]
	s_set_gpr_idx_on s11, gpr_idx(SRC0)
	v_mov_b32_e32 v85, v25
	s_set_gpr_idx_off
	v_add_u32_e32 v80, s4, v82
	v_fmac_f64_e32 v[78:79], v[96:97], v[86:87]
	s_set_gpr_idx_on s11, gpr_idx(SRC0)
	v_mov_b32_e32 v84, v24
	s_set_gpr_idx_off
	s_addc_u32 s5, s5, 0
	s_add_i32 s10, s10, 64
	s_add_i32 s12, s4, -7
	v_cmp_eq_u32_e32 vcc, 12, v80
	s_waitcnt lgkmcnt(0)
	v_fmac_f64_e32 v[78:79], v[92:93], v[88:89]
	v_mov_b32_e32 v80, s12
	s_or_b64 s[8:9], vcc, s[8:9]
	v_fmac_f64_e32 v[78:79], v[84:85], v[90:91]
	s_andn2_b64 exec, exec, s[8:9]
	s_cbranch_execnz .LBB74_73
; %bb.74:
	s_or_b64 exec, exec, s[8:9]
.LBB74_75:
	s_or_b64 exec, exec, s[2:3]
	v_and_b32_e32 v46, 7, v83
	v_cmp_ne_u32_e32 vcc, 0, v46
	s_and_saveexec_b64 s[8:9], vcc
	s_cbranch_execz .LBB74_79
; %bb.76:
	v_mov_b32_e32 v47, 0x60
	v_lshl_add_u32 v48, v80, 3, v47
	v_mov_b32_e32 v47, 0
	s_mov_b64 s[10:11], 0
.LBB74_77:                              ; =>This Inner Loop Header: Depth=1
	v_cmp_eq_u32_e32 vcc, 1, v80
	v_cndmask_b32_e32 v49, v25, v27, vcc
	v_add_u32_e32 v46, -1, v46
	v_cmp_eq_u32_e64 s[2:3], 2, v80
	v_cndmask_b32_e64 v49, v49, v29, s[2:3]
	v_cndmask_b32_e32 v52, v24, v26, vcc
	v_cmp_eq_u32_e32 vcc, 0, v46
	v_cmp_eq_u32_e64 s[4:5], 3, v80
	v_cndmask_b32_e64 v49, v49, v31, s[4:5]
	v_cndmask_b32_e64 v52, v52, v28, s[2:3]
	s_or_b64 s[10:11], vcc, s[10:11]
	v_cmp_eq_u32_e32 vcc, 4, v80
	v_cndmask_b32_e32 v49, v49, v33, vcc
	v_cndmask_b32_e64 v52, v52, v30, s[4:5]
	v_cmp_eq_u32_e64 s[2:3], 5, v80
	v_cndmask_b32_e64 v49, v49, v35, s[2:3]
	v_cndmask_b32_e32 v52, v52, v32, vcc
	v_cmp_eq_u32_e32 vcc, 6, v80
	v_cndmask_b32_e32 v49, v49, v37, vcc
	v_cndmask_b32_e64 v52, v52, v34, s[2:3]
	v_cmp_eq_u32_e64 s[2:3], 7, v80
	ds_read_b64 v[50:51], v48
	v_cndmask_b32_e64 v49, v49, v39, s[2:3]
	v_cndmask_b32_e32 v52, v52, v36, vcc
	v_cmp_eq_u32_e32 vcc, 8, v80
	v_cndmask_b32_e32 v49, v49, v41, vcc
	v_cndmask_b32_e64 v52, v52, v38, s[2:3]
	v_cmp_eq_u32_e64 s[2:3], 9, v80
	v_cndmask_b32_e64 v49, v49, v43, s[2:3]
	v_cmp_eq_u32_e64 s[4:5], 10, v80
	v_cndmask_b32_e32 v52, v52, v40, vcc
	v_cndmask_b32_e64 v53, v49, v45, s[4:5]
	v_cndmask_b32_e64 v49, v52, v42, s[2:3]
	v_add_co_u32_e32 v80, vcc, 1, v80
	v_cndmask_b32_e64 v52, v49, v44, s[4:5]
	v_add_u32_e32 v48, 8, v48
	v_addc_co_u32_e32 v47, vcc, 0, v47, vcc
	s_waitcnt lgkmcnt(0)
	v_fmac_f64_e32 v[78:79], v[52:53], v[50:51]
	s_andn2_b64 exec, exec, s[10:11]
	s_cbranch_execnz .LBB74_77
; %bb.78:
	s_or_b64 exec, exec, s[10:11]
.LBB74_79:
	s_or_b64 exec, exec, s[8:9]
.LBB74_80:
	s_or_b64 exec, exec, s[6:7]
	v_mov_b32_e32 v32, 0
	ds_read_b64 v[32:33], v32 offset:32
	s_waitcnt lgkmcnt(0)
	v_mul_f64 v[32:33], v[78:79], v[32:33]
.LBB74_81:
	s_or_b64 exec, exec, s[24:25]
	v_cmp_lt_u32_e64 s[2:3], 3, v0
	ds_write_b64 v81, v[30:31]
	s_waitcnt lgkmcnt(0)
	; wave barrier
	s_waitcnt lgkmcnt(0)
	s_and_saveexec_b64 s[24:25], s[2:3]
	s_cbranch_execz .LBB74_97
; %bb.82:
	s_andn2_b64 vcc, exec, s[22:23]
	s_cbranch_vccnz .LBB74_84
; %bb.83:
	v_cmp_eq_u32_e32 vcc, 1, v0
	v_cndmask_b32_e32 v78, v25, v27, vcc
	v_cmp_eq_u32_e64 s[4:5], 2, v0
	v_cndmask_b32_e64 v78, v78, v29, s[4:5]
	v_cmp_eq_u32_e64 s[6:7], 3, v0
	v_cndmask_b32_e64 v78, v78, v31, s[6:7]
	;; [unrolled: 2-line block ×9, first 2 shown]
	v_cndmask_b32_e32 v78, v24, v26, vcc
	v_cndmask_b32_e64 v78, v78, v28, s[4:5]
	v_cndmask_b32_e64 v78, v78, v30, s[6:7]
	;; [unrolled: 1-line block ×5, first 2 shown]
	ds_read_b64 v[82:83], v81
	v_cndmask_b32_e64 v78, v78, v38, s[14:15]
	v_cndmask_b32_e64 v78, v78, v40, s[16:17]
	;; [unrolled: 1-line block ×4, first 2 shown]
	s_waitcnt lgkmcnt(0)
	v_mul_f64 v[78:79], v[78:79], v[82:83]
	s_cbranch_execz .LBB74_85
	s_branch .LBB74_86
.LBB74_84:
                                        ; implicit-def: $vgpr78_vgpr79
.LBB74_85:
	ds_read_b64 v[78:79], v81
.LBB74_86:
	s_and_saveexec_b64 s[6:7], s[0:1]
	s_cbranch_execz .LBB74_96
; %bb.87:
	v_add_u32_e32 v80, -5, v0
	v_add_u32_e32 v83, -4, v0
	v_cmp_lt_u32_e32 vcc, 6, v80
	v_mov_b32_e32 v82, 4
	s_and_saveexec_b64 s[0:1], vcc
	s_cbranch_execz .LBB74_91
; %bb.88:
	v_and_b32_e32 v80, -8, v83
	v_sub_u32_e32 v80, 0, v80
	s_mov_b64 s[4:5], 5
	s_movk_i32 s10, 0x80
	s_mov_b64 s[8:9], 0
.LBB74_89:                              ; =>This Inner Loop Header: Depth=1
	s_lshl_b32 s11, s4, 1
	s_add_i32 s12, s11, -1
	s_add_i32 s13, s11, -2
	s_set_gpr_idx_on s12, gpr_idx(SRC0)
	v_mov_b32_e32 v101, v24
	s_set_gpr_idx_off
	v_mov_b32_e32 v82, s10
	s_set_gpr_idx_on s13, gpr_idx(SRC0)
	v_mov_b32_e32 v100, v24
	s_set_gpr_idx_off
	ds_read_b128 v[84:87], v82
	ds_read_b128 v[88:91], v82 offset:16
	ds_read_b128 v[92:95], v82 offset:32
	;; [unrolled: 1-line block ×3, first 2 shown]
	s_set_gpr_idx_on s11, gpr_idx(SRC0)
	v_mov_b32_e32 v103, v25
	s_add_i32 s14, s11, 3
	v_mov_b32_e32 v102, v24
	s_set_gpr_idx_off
	s_add_i32 s15, s11, 2
	s_set_gpr_idx_on s14, gpr_idx(SRC0)
	v_mov_b32_e32 v105, v24
	s_set_gpr_idx_off
	s_add_i32 s16, s11, 5
	s_set_gpr_idx_on s15, gpr_idx(SRC0)
	v_mov_b32_e32 v104, v24
	s_set_gpr_idx_off
	s_add_i32 s17, s11, 4
	s_waitcnt lgkmcnt(3)
	v_fmac_f64_e32 v[78:79], v[100:101], v[84:85]
	s_set_gpr_idx_on s16, gpr_idx(SRC0)
	v_mov_b32_e32 v85, v24
	s_set_gpr_idx_off
	s_add_i32 s18, s11, 7
	v_fmac_f64_e32 v[78:79], v[102:103], v[86:87]
	s_set_gpr_idx_on s17, gpr_idx(SRC0)
	v_mov_b32_e32 v84, v24
	s_set_gpr_idx_off
	s_add_i32 s19, s11, 6
	s_waitcnt lgkmcnt(2)
	v_fmac_f64_e32 v[78:79], v[104:105], v[88:89]
	s_set_gpr_idx_on s18, gpr_idx(SRC0)
	v_mov_b32_e32 v87, v24
	s_set_gpr_idx_off
	s_add_i32 s20, s11, 9
	v_fmac_f64_e32 v[78:79], v[84:85], v[90:91]
	s_set_gpr_idx_on s19, gpr_idx(SRC0)
	v_mov_b32_e32 v86, v24
	s_set_gpr_idx_off
	s_add_i32 s21, s11, 8
	s_waitcnt lgkmcnt(1)
	v_fmac_f64_e32 v[78:79], v[86:87], v[92:93]
	s_set_gpr_idx_on s20, gpr_idx(SRC0)
	v_mov_b32_e32 v85, v24
	s_set_gpr_idx_off
	s_add_i32 s26, s11, 11
	s_set_gpr_idx_on s21, gpr_idx(SRC0)
	v_mov_b32_e32 v84, v24
	s_set_gpr_idx_off
	s_add_i32 s27, s11, 10
	s_add_i32 s28, s11, 13
	;; [unrolled: 1-line block ×3, first 2 shown]
	v_fmac_f64_e32 v[78:79], v[84:85], v[94:95]
	s_set_gpr_idx_on s26, gpr_idx(SRC0)
	v_mov_b32_e32 v85, v24
	s_set_gpr_idx_off
	s_add_u32 s4, s4, 8
	s_set_gpr_idx_on s27, gpr_idx(SRC0)
	v_mov_b32_e32 v84, v24
	s_set_gpr_idx_off
	v_add_u32_e32 v82, s4, v80
	s_waitcnt lgkmcnt(0)
	v_fmac_f64_e32 v[78:79], v[84:85], v[96:97]
	s_set_gpr_idx_on s28, gpr_idx(SRC0)
	v_mov_b32_e32 v85, v24
	s_set_gpr_idx_off
	s_addc_u32 s5, s5, 0
	s_add_i32 s10, s10, 64
	s_add_i32 s12, s4, -1
	v_cmp_eq_u32_e32 vcc, 5, v82
	s_set_gpr_idx_on s29, gpr_idx(SRC0)
	v_mov_b32_e32 v84, v24
	s_set_gpr_idx_off
	v_mov_b32_e32 v82, s12
	s_or_b64 s[8:9], vcc, s[8:9]
	v_fmac_f64_e32 v[78:79], v[84:85], v[98:99]
	s_andn2_b64 exec, exec, s[8:9]
	s_cbranch_execnz .LBB74_89
; %bb.90:
	s_or_b64 exec, exec, s[8:9]
.LBB74_91:
	s_or_b64 exec, exec, s[0:1]
	v_and_b32_e32 v46, 7, v83
	v_cmp_ne_u32_e32 vcc, 0, v46
	s_and_saveexec_b64 s[8:9], vcc
	s_cbranch_execz .LBB74_95
; %bb.92:
	v_mov_b32_e32 v47, 0x60
	v_lshl_add_u32 v48, v82, 3, v47
	v_mov_b32_e32 v47, 0
	s_mov_b64 s[10:11], 0
.LBB74_93:                              ; =>This Inner Loop Header: Depth=1
	v_cmp_eq_u32_e32 vcc, 1, v82
	v_cndmask_b32_e32 v49, v25, v27, vcc
	v_add_u32_e32 v46, -1, v46
	v_cmp_eq_u32_e64 s[0:1], 2, v82
	v_cndmask_b32_e64 v49, v49, v29, s[0:1]
	v_cndmask_b32_e32 v52, v24, v26, vcc
	v_cmp_eq_u32_e32 vcc, 0, v46
	v_cmp_eq_u32_e64 s[4:5], 3, v82
	v_cndmask_b32_e64 v49, v49, v31, s[4:5]
	v_cndmask_b32_e64 v52, v52, v28, s[0:1]
	s_or_b64 s[10:11], vcc, s[10:11]
	v_cmp_eq_u32_e32 vcc, 4, v82
	v_cndmask_b32_e32 v49, v49, v33, vcc
	v_cndmask_b32_e64 v52, v52, v30, s[4:5]
	v_cmp_eq_u32_e64 s[0:1], 5, v82
	v_cndmask_b32_e64 v49, v49, v35, s[0:1]
	v_cndmask_b32_e32 v52, v52, v32, vcc
	v_cmp_eq_u32_e32 vcc, 6, v82
	v_cndmask_b32_e32 v49, v49, v37, vcc
	v_cndmask_b32_e64 v52, v52, v34, s[0:1]
	v_cmp_eq_u32_e64 s[0:1], 7, v82
	ds_read_b64 v[50:51], v48
	v_cndmask_b32_e64 v49, v49, v39, s[0:1]
	v_cndmask_b32_e32 v52, v52, v36, vcc
	v_cmp_eq_u32_e32 vcc, 8, v82
	v_cndmask_b32_e32 v49, v49, v41, vcc
	v_cndmask_b32_e64 v52, v52, v38, s[0:1]
	v_cmp_eq_u32_e64 s[0:1], 9, v82
	v_cndmask_b32_e64 v49, v49, v43, s[0:1]
	v_cmp_eq_u32_e64 s[4:5], 10, v82
	v_cndmask_b32_e32 v52, v52, v40, vcc
	v_cndmask_b32_e64 v53, v49, v45, s[4:5]
	v_cndmask_b32_e64 v49, v52, v42, s[0:1]
	v_add_co_u32_e32 v82, vcc, 1, v82
	v_cndmask_b32_e64 v52, v49, v44, s[4:5]
	v_add_u32_e32 v48, 8, v48
	v_addc_co_u32_e32 v47, vcc, 0, v47, vcc
	s_waitcnt lgkmcnt(0)
	v_fmac_f64_e32 v[78:79], v[52:53], v[50:51]
	s_andn2_b64 exec, exec, s[10:11]
	s_cbranch_execnz .LBB74_93
; %bb.94:
	s_or_b64 exec, exec, s[10:11]
.LBB74_95:
	s_or_b64 exec, exec, s[8:9]
.LBB74_96:
	s_or_b64 exec, exec, s[6:7]
	v_mov_b32_e32 v30, 0
	ds_read_b64 v[30:31], v30 offset:24
	s_waitcnt lgkmcnt(0)
	v_mul_f64 v[30:31], v[78:79], v[30:31]
.LBB74_97:
	s_or_b64 exec, exec, s[24:25]
	v_cmp_lt_u32_e64 s[0:1], 2, v0
	ds_write_b64 v81, v[28:29]
	s_waitcnt lgkmcnt(0)
	; wave barrier
	s_waitcnt lgkmcnt(0)
	s_and_saveexec_b64 s[24:25], s[0:1]
	s_cbranch_execz .LBB74_113
; %bb.98:
	s_andn2_b64 vcc, exec, s[22:23]
	s_cbranch_vccnz .LBB74_100
; %bb.99:
	v_cmp_eq_u32_e32 vcc, 1, v0
	v_cndmask_b32_e32 v78, v25, v27, vcc
	v_cmp_eq_u32_e64 s[4:5], 2, v0
	v_cndmask_b32_e64 v78, v78, v29, s[4:5]
	v_cmp_eq_u32_e64 s[6:7], 3, v0
	v_cndmask_b32_e64 v78, v78, v31, s[6:7]
	;; [unrolled: 2-line block ×9, first 2 shown]
	v_cndmask_b32_e32 v78, v24, v26, vcc
	v_cndmask_b32_e64 v78, v78, v28, s[4:5]
	v_cndmask_b32_e64 v78, v78, v30, s[6:7]
	v_cndmask_b32_e64 v78, v78, v32, s[8:9]
	v_cndmask_b32_e64 v78, v78, v34, s[10:11]
	v_cndmask_b32_e64 v78, v78, v36, s[12:13]
	ds_read_b64 v[82:83], v81
	v_cndmask_b32_e64 v78, v78, v38, s[14:15]
	v_cndmask_b32_e64 v78, v78, v40, s[16:17]
	;; [unrolled: 1-line block ×4, first 2 shown]
	s_waitcnt lgkmcnt(0)
	v_mul_f64 v[78:79], v[78:79], v[82:83]
	s_cbranch_execz .LBB74_101
	s_branch .LBB74_102
.LBB74_100:
                                        ; implicit-def: $vgpr78_vgpr79
.LBB74_101:
	ds_read_b64 v[78:79], v81
.LBB74_102:
	s_and_saveexec_b64 s[6:7], s[2:3]
	s_cbranch_execz .LBB74_112
; %bb.103:
	v_add_u32_e32 v80, -4, v0
	v_add_u32_e32 v83, -3, v0
	v_cmp_lt_u32_e32 vcc, 6, v80
	v_mov_b32_e32 v80, 3
	s_and_saveexec_b64 s[2:3], vcc
	s_cbranch_execz .LBB74_107
; %bb.104:
	v_and_b32_e32 v80, -8, v83
	v_sub_u32_e32 v82, 0, v80
	s_mov_b64 s[4:5], 10
	s_movk_i32 s10, 0x78
	s_mov_b64 s[8:9], 0
.LBB74_105:                             ; =>This Inner Loop Header: Depth=1
	s_lshl_b32 s11, s4, 1
	s_add_i32 s12, s11, -13
	v_mov_b32_e32 v98, s10
	s_add_i32 s13, s11, -14
	s_set_gpr_idx_on s12, gpr_idx(SRC0)
	v_mov_b32_e32 v93, v24
	s_set_gpr_idx_off
	s_add_i32 s14, s11, -11
	s_set_gpr_idx_on s13, gpr_idx(SRC0)
	v_mov_b32_e32 v92, v24
	s_set_gpr_idx_off
	ds_read2_b64 v[84:87], v98 offset1:1
	s_add_i32 s15, s11, -12
	s_set_gpr_idx_on s14, gpr_idx(SRC0)
	v_mov_b32_e32 v95, v24
	s_set_gpr_idx_off
	s_add_i32 s16, s11, -9
	s_set_gpr_idx_on s15, gpr_idx(SRC0)
	v_mov_b32_e32 v94, v24
	s_set_gpr_idx_off
	;; [unrolled: 4-line block ×4, first 2 shown]
	ds_read2_b64 v[88:91], v98 offset0:2 offset1:3
	s_add_i32 s19, s11, -8
	s_waitcnt lgkmcnt(1)
	v_fmac_f64_e32 v[78:79], v[92:93], v[84:85]
	s_set_gpr_idx_on s18, gpr_idx(SRC0)
	v_mov_b32_e32 v93, v24
	s_set_gpr_idx_off
	s_add_i32 s20, s11, -5
	v_fmac_f64_e32 v[78:79], v[94:95], v[86:87]
	s_set_gpr_idx_on s19, gpr_idx(SRC0)
	v_mov_b32_e32 v92, v24
	s_set_gpr_idx_off
	s_add_i32 s21, s11, -6
	s_set_gpr_idx_on s20, gpr_idx(SRC0)
	v_mov_b32_e32 v95, v24
	s_set_gpr_idx_off
	s_add_i32 s26, s11, -3
	;; [unrolled: 4-line block ×3, first 2 shown]
	ds_read2_b64 v[84:87], v98 offset0:4 offset1:5
	s_waitcnt lgkmcnt(1)
	v_fmac_f64_e32 v[78:79], v[96:97], v[88:89]
	s_set_gpr_idx_on s26, gpr_idx(SRC0)
	v_mov_b32_e32 v97, v24
	s_set_gpr_idx_off
	s_add_i32 s28, s11, -1
	v_fmac_f64_e32 v[78:79], v[92:93], v[90:91]
	s_set_gpr_idx_on s27, gpr_idx(SRC0)
	v_mov_b32_e32 v96, v24
	s_set_gpr_idx_off
	s_add_i32 s29, s11, -2
	s_set_gpr_idx_on s28, gpr_idx(SRC0)
	v_mov_b32_e32 v93, v24
	s_set_gpr_idx_off
	s_set_gpr_idx_on s29, gpr_idx(SRC0)
	v_mov_b32_e32 v92, v24
	s_set_gpr_idx_off
	ds_read2_b64 v[88:91], v98 offset0:6 offset1:7
	s_add_u32 s4, s4, 8
	s_waitcnt lgkmcnt(1)
	v_fmac_f64_e32 v[78:79], v[94:95], v[84:85]
	s_set_gpr_idx_on s11, gpr_idx(SRC0)
	v_mov_b32_e32 v85, v25
	s_set_gpr_idx_off
	v_add_u32_e32 v80, s4, v82
	v_fmac_f64_e32 v[78:79], v[96:97], v[86:87]
	s_set_gpr_idx_on s11, gpr_idx(SRC0)
	v_mov_b32_e32 v84, v24
	s_set_gpr_idx_off
	s_addc_u32 s5, s5, 0
	s_add_i32 s10, s10, 64
	s_add_i32 s12, s4, -7
	v_cmp_eq_u32_e32 vcc, 10, v80
	s_waitcnt lgkmcnt(0)
	v_fmac_f64_e32 v[78:79], v[92:93], v[88:89]
	v_mov_b32_e32 v80, s12
	s_or_b64 s[8:9], vcc, s[8:9]
	v_fmac_f64_e32 v[78:79], v[84:85], v[90:91]
	s_andn2_b64 exec, exec, s[8:9]
	s_cbranch_execnz .LBB74_105
; %bb.106:
	s_or_b64 exec, exec, s[8:9]
.LBB74_107:
	s_or_b64 exec, exec, s[2:3]
	v_and_b32_e32 v46, 7, v83
	v_cmp_ne_u32_e32 vcc, 0, v46
	s_and_saveexec_b64 s[8:9], vcc
	s_cbranch_execz .LBB74_111
; %bb.108:
	v_mov_b32_e32 v47, 0x60
	v_lshl_add_u32 v48, v80, 3, v47
	v_mov_b32_e32 v47, 0
	s_mov_b64 s[10:11], 0
.LBB74_109:                             ; =>This Inner Loop Header: Depth=1
	v_cmp_eq_u32_e32 vcc, 1, v80
	v_cndmask_b32_e32 v49, v25, v27, vcc
	v_add_u32_e32 v46, -1, v46
	v_cmp_eq_u32_e64 s[2:3], 2, v80
	v_cndmask_b32_e64 v49, v49, v29, s[2:3]
	v_cndmask_b32_e32 v52, v24, v26, vcc
	v_cmp_eq_u32_e32 vcc, 0, v46
	v_cmp_eq_u32_e64 s[4:5], 3, v80
	v_cndmask_b32_e64 v49, v49, v31, s[4:5]
	v_cndmask_b32_e64 v52, v52, v28, s[2:3]
	s_or_b64 s[10:11], vcc, s[10:11]
	v_cmp_eq_u32_e32 vcc, 4, v80
	v_cndmask_b32_e32 v49, v49, v33, vcc
	v_cndmask_b32_e64 v52, v52, v30, s[4:5]
	v_cmp_eq_u32_e64 s[2:3], 5, v80
	v_cndmask_b32_e64 v49, v49, v35, s[2:3]
	v_cndmask_b32_e32 v52, v52, v32, vcc
	v_cmp_eq_u32_e32 vcc, 6, v80
	v_cndmask_b32_e32 v49, v49, v37, vcc
	v_cndmask_b32_e64 v52, v52, v34, s[2:3]
	v_cmp_eq_u32_e64 s[2:3], 7, v80
	ds_read_b64 v[50:51], v48
	v_cndmask_b32_e64 v49, v49, v39, s[2:3]
	v_cndmask_b32_e32 v52, v52, v36, vcc
	v_cmp_eq_u32_e32 vcc, 8, v80
	v_cndmask_b32_e32 v49, v49, v41, vcc
	v_cndmask_b32_e64 v52, v52, v38, s[2:3]
	v_cmp_eq_u32_e64 s[2:3], 9, v80
	v_cndmask_b32_e64 v49, v49, v43, s[2:3]
	v_cmp_eq_u32_e64 s[4:5], 10, v80
	v_cndmask_b32_e32 v52, v52, v40, vcc
	v_cndmask_b32_e64 v53, v49, v45, s[4:5]
	v_cndmask_b32_e64 v49, v52, v42, s[2:3]
	v_add_co_u32_e32 v80, vcc, 1, v80
	v_cndmask_b32_e64 v52, v49, v44, s[4:5]
	v_add_u32_e32 v48, 8, v48
	v_addc_co_u32_e32 v47, vcc, 0, v47, vcc
	s_waitcnt lgkmcnt(0)
	v_fmac_f64_e32 v[78:79], v[52:53], v[50:51]
	s_andn2_b64 exec, exec, s[10:11]
	s_cbranch_execnz .LBB74_109
; %bb.110:
	s_or_b64 exec, exec, s[10:11]
.LBB74_111:
	s_or_b64 exec, exec, s[8:9]
.LBB74_112:
	s_or_b64 exec, exec, s[6:7]
	v_mov_b32_e32 v28, 0
	ds_read_b64 v[28:29], v28 offset:16
	s_waitcnt lgkmcnt(0)
	v_mul_f64 v[28:29], v[78:79], v[28:29]
.LBB74_113:
	s_or_b64 exec, exec, s[24:25]
	v_cmp_lt_u32_e64 s[2:3], 1, v0
	ds_write_b64 v81, v[26:27]
	s_waitcnt lgkmcnt(0)
	; wave barrier
	s_waitcnt lgkmcnt(0)
	s_and_saveexec_b64 s[24:25], s[2:3]
	s_cbranch_execz .LBB74_129
; %bb.114:
	s_andn2_b64 vcc, exec, s[22:23]
	s_cbranch_vccnz .LBB74_116
; %bb.115:
	v_cmp_eq_u32_e32 vcc, 1, v0
	v_cndmask_b32_e32 v78, v25, v27, vcc
	v_cmp_eq_u32_e64 s[4:5], 2, v0
	v_cndmask_b32_e64 v78, v78, v29, s[4:5]
	v_cmp_eq_u32_e64 s[6:7], 3, v0
	v_cndmask_b32_e64 v78, v78, v31, s[6:7]
	;; [unrolled: 2-line block ×9, first 2 shown]
	v_cndmask_b32_e32 v78, v24, v26, vcc
	v_cndmask_b32_e64 v78, v78, v28, s[4:5]
	v_cndmask_b32_e64 v78, v78, v30, s[6:7]
	;; [unrolled: 1-line block ×5, first 2 shown]
	ds_read_b64 v[82:83], v81
	v_cndmask_b32_e64 v78, v78, v38, s[14:15]
	v_cndmask_b32_e64 v78, v78, v40, s[16:17]
	;; [unrolled: 1-line block ×4, first 2 shown]
	s_waitcnt lgkmcnt(0)
	v_mul_f64 v[78:79], v[78:79], v[82:83]
	s_cbranch_execz .LBB74_117
	s_branch .LBB74_118
.LBB74_116:
                                        ; implicit-def: $vgpr78_vgpr79
.LBB74_117:
	ds_read_b64 v[78:79], v81
.LBB74_118:
	s_and_saveexec_b64 s[6:7], s[0:1]
	s_cbranch_execz .LBB74_128
; %bb.119:
	v_add_u32_e32 v80, -3, v0
	v_add_u32_e32 v83, -2, v0
	v_cmp_lt_u32_e32 vcc, 6, v80
	v_mov_b32_e32 v82, 2
	s_and_saveexec_b64 s[0:1], vcc
	s_cbranch_execz .LBB74_123
; %bb.120:
	v_and_b32_e32 v80, -8, v83
	v_sub_u32_e32 v80, 0, v80
	s_mov_b64 s[4:5], 9
	s_movk_i32 s10, 0x70
	s_mov_b64 s[8:9], 0
.LBB74_121:                             ; =>This Inner Loop Header: Depth=1
	s_lshl_b32 s11, s4, 1
	s_add_i32 s12, s11, -13
	s_add_i32 s13, s11, -14
	s_set_gpr_idx_on s12, gpr_idx(SRC0)
	v_mov_b32_e32 v101, v24
	s_set_gpr_idx_off
	v_mov_b32_e32 v82, s10
	s_add_i32 s14, s11, -11
	s_set_gpr_idx_on s13, gpr_idx(SRC0)
	v_mov_b32_e32 v100, v24
	s_set_gpr_idx_off
	s_add_i32 s15, s11, -12
	ds_read_b128 v[84:87], v82
	ds_read_b128 v[88:91], v82 offset:16
	ds_read_b128 v[92:95], v82 offset:32
	;; [unrolled: 1-line block ×3, first 2 shown]
	s_set_gpr_idx_on s14, gpr_idx(SRC0)
	v_mov_b32_e32 v103, v24
	s_set_gpr_idx_off
	s_add_i32 s16, s11, -9
	s_set_gpr_idx_on s15, gpr_idx(SRC0)
	v_mov_b32_e32 v102, v24
	s_set_gpr_idx_off
	s_add_i32 s17, s11, -10
	;; [unrolled: 4-line block ×4, first 2 shown]
	s_waitcnt lgkmcnt(3)
	v_fmac_f64_e32 v[78:79], v[100:101], v[84:85]
	s_set_gpr_idx_on s18, gpr_idx(SRC0)
	v_mov_b32_e32 v85, v24
	s_set_gpr_idx_off
	s_add_i32 s20, s11, -5
	v_fmac_f64_e32 v[78:79], v[102:103], v[86:87]
	s_set_gpr_idx_on s19, gpr_idx(SRC0)
	v_mov_b32_e32 v84, v24
	s_set_gpr_idx_off
	s_add_i32 s21, s11, -6
	s_waitcnt lgkmcnt(2)
	v_fmac_f64_e32 v[78:79], v[104:105], v[88:89]
	s_set_gpr_idx_on s20, gpr_idx(SRC0)
	v_mov_b32_e32 v87, v24
	s_set_gpr_idx_off
	s_add_i32 s26, s11, -3
	v_fmac_f64_e32 v[78:79], v[84:85], v[90:91]
	s_set_gpr_idx_on s21, gpr_idx(SRC0)
	v_mov_b32_e32 v86, v24
	s_set_gpr_idx_off
	s_add_i32 s27, s11, -4
	s_waitcnt lgkmcnt(1)
	v_fmac_f64_e32 v[78:79], v[86:87], v[92:93]
	s_set_gpr_idx_on s26, gpr_idx(SRC0)
	v_mov_b32_e32 v85, v24
	s_set_gpr_idx_off
	s_add_i32 s28, s11, -1
	s_set_gpr_idx_on s27, gpr_idx(SRC0)
	v_mov_b32_e32 v84, v24
	s_set_gpr_idx_off
	s_add_i32 s29, s11, -2
	v_fmac_f64_e32 v[78:79], v[84:85], v[94:95]
	s_set_gpr_idx_on s28, gpr_idx(SRC0)
	v_mov_b32_e32 v85, v24
	s_set_gpr_idx_off
	s_add_u32 s4, s4, 8
	s_set_gpr_idx_on s29, gpr_idx(SRC0)
	v_mov_b32_e32 v84, v24
	s_set_gpr_idx_off
	v_add_u32_e32 v82, s4, v80
	s_waitcnt lgkmcnt(0)
	v_fmac_f64_e32 v[78:79], v[84:85], v[96:97]
	s_set_gpr_idx_on s11, gpr_idx(SRC0)
	v_mov_b32_e32 v85, v25
	s_set_gpr_idx_off
	s_addc_u32 s5, s5, 0
	s_add_i32 s10, s10, 64
	s_add_i32 s12, s4, -7
	v_cmp_eq_u32_e32 vcc, 9, v82
	s_set_gpr_idx_on s11, gpr_idx(SRC0)
	v_mov_b32_e32 v84, v24
	s_set_gpr_idx_off
	v_mov_b32_e32 v82, s12
	s_or_b64 s[8:9], vcc, s[8:9]
	v_fmac_f64_e32 v[78:79], v[84:85], v[98:99]
	s_andn2_b64 exec, exec, s[8:9]
	s_cbranch_execnz .LBB74_121
; %bb.122:
	s_or_b64 exec, exec, s[8:9]
.LBB74_123:
	s_or_b64 exec, exec, s[0:1]
	v_and_b32_e32 v46, 7, v83
	v_cmp_ne_u32_e32 vcc, 0, v46
	s_and_saveexec_b64 s[8:9], vcc
	s_cbranch_execz .LBB74_127
; %bb.124:
	v_mov_b32_e32 v47, 0x60
	v_lshl_add_u32 v48, v82, 3, v47
	v_mov_b32_e32 v47, 0
	s_mov_b64 s[10:11], 0
.LBB74_125:                             ; =>This Inner Loop Header: Depth=1
	v_cmp_eq_u32_e32 vcc, 1, v82
	v_cndmask_b32_e32 v49, v25, v27, vcc
	v_add_u32_e32 v46, -1, v46
	v_cmp_eq_u32_e64 s[0:1], 2, v82
	v_cndmask_b32_e64 v49, v49, v29, s[0:1]
	v_cndmask_b32_e32 v52, v24, v26, vcc
	v_cmp_eq_u32_e32 vcc, 0, v46
	v_cmp_eq_u32_e64 s[4:5], 3, v82
	v_cndmask_b32_e64 v49, v49, v31, s[4:5]
	v_cndmask_b32_e64 v52, v52, v28, s[0:1]
	s_or_b64 s[10:11], vcc, s[10:11]
	v_cmp_eq_u32_e32 vcc, 4, v82
	v_cndmask_b32_e32 v49, v49, v33, vcc
	v_cndmask_b32_e64 v52, v52, v30, s[4:5]
	v_cmp_eq_u32_e64 s[0:1], 5, v82
	v_cndmask_b32_e64 v49, v49, v35, s[0:1]
	v_cndmask_b32_e32 v52, v52, v32, vcc
	v_cmp_eq_u32_e32 vcc, 6, v82
	v_cndmask_b32_e32 v49, v49, v37, vcc
	v_cndmask_b32_e64 v52, v52, v34, s[0:1]
	v_cmp_eq_u32_e64 s[0:1], 7, v82
	ds_read_b64 v[50:51], v48
	v_cndmask_b32_e64 v49, v49, v39, s[0:1]
	v_cndmask_b32_e32 v52, v52, v36, vcc
	v_cmp_eq_u32_e32 vcc, 8, v82
	v_cndmask_b32_e32 v49, v49, v41, vcc
	v_cndmask_b32_e64 v52, v52, v38, s[0:1]
	v_cmp_eq_u32_e64 s[0:1], 9, v82
	v_cndmask_b32_e64 v49, v49, v43, s[0:1]
	v_cmp_eq_u32_e64 s[4:5], 10, v82
	v_cndmask_b32_e32 v52, v52, v40, vcc
	v_cndmask_b32_e64 v53, v49, v45, s[4:5]
	v_cndmask_b32_e64 v49, v52, v42, s[0:1]
	v_add_co_u32_e32 v82, vcc, 1, v82
	v_cndmask_b32_e64 v52, v49, v44, s[4:5]
	v_add_u32_e32 v48, 8, v48
	v_addc_co_u32_e32 v47, vcc, 0, v47, vcc
	s_waitcnt lgkmcnt(0)
	v_fmac_f64_e32 v[78:79], v[52:53], v[50:51]
	s_andn2_b64 exec, exec, s[10:11]
	s_cbranch_execnz .LBB74_125
; %bb.126:
	s_or_b64 exec, exec, s[10:11]
.LBB74_127:
	s_or_b64 exec, exec, s[8:9]
.LBB74_128:
	s_or_b64 exec, exec, s[6:7]
	v_mov_b32_e32 v26, 0
	ds_read_b64 v[26:27], v26 offset:8
	s_waitcnt lgkmcnt(0)
	v_mul_f64 v[26:27], v[78:79], v[26:27]
.LBB74_129:
	s_or_b64 exec, exec, s[24:25]
	v_cmp_ne_u32_e32 vcc, 0, v0
	ds_write_b64 v81, v[24:25]
	s_waitcnt lgkmcnt(0)
	; wave barrier
	s_waitcnt lgkmcnt(0)
	s_and_saveexec_b64 s[20:21], vcc
	s_cbranch_execz .LBB74_145
; %bb.130:
	s_andn2_b64 vcc, exec, s[22:23]
	s_cbranch_vccnz .LBB74_132
; %bb.131:
	v_cmp_eq_u32_e32 vcc, 1, v0
	v_cndmask_b32_e32 v78, v25, v27, vcc
	v_cmp_eq_u32_e64 s[0:1], 2, v0
	v_cndmask_b32_e64 v78, v78, v29, s[0:1]
	v_cmp_eq_u32_e64 s[4:5], 3, v0
	v_cndmask_b32_e64 v78, v78, v31, s[4:5]
	;; [unrolled: 2-line block ×9, first 2 shown]
	v_cndmask_b32_e32 v78, v24, v26, vcc
	v_cndmask_b32_e64 v78, v78, v28, s[0:1]
	v_cndmask_b32_e64 v78, v78, v30, s[4:5]
	;; [unrolled: 1-line block ×5, first 2 shown]
	ds_read_b64 v[82:83], v81
	v_cndmask_b32_e64 v78, v78, v38, s[12:13]
	v_cndmask_b32_e64 v78, v78, v40, s[14:15]
	;; [unrolled: 1-line block ×4, first 2 shown]
	s_waitcnt lgkmcnt(0)
	v_mul_f64 v[78:79], v[78:79], v[82:83]
	s_cbranch_execz .LBB74_133
	s_branch .LBB74_134
.LBB74_132:
                                        ; implicit-def: $vgpr78_vgpr79
.LBB74_133:
	ds_read_b64 v[78:79], v81
.LBB74_134:
	s_and_saveexec_b64 s[4:5], s[2:3]
	s_cbranch_execz .LBB74_144
; %bb.135:
	v_add_u32_e32 v80, -2, v0
	v_add_u32_e32 v83, -1, v0
	v_cmp_lt_u32_e32 vcc, 6, v80
	v_mov_b32_e32 v80, 1
	s_and_saveexec_b64 s[0:1], vcc
	s_cbranch_execz .LBB74_139
; %bb.136:
	v_and_b32_e32 v80, -8, v83
	v_sub_u32_e32 v82, 0, v80
	s_mov_b64 s[2:3], 8
	s_movk_i32 s8, 0x68
	s_mov_b64 s[6:7], 0
.LBB74_137:                             ; =>This Inner Loop Header: Depth=1
	s_lshl_b32 s9, s2, 1
	s_add_i32 s10, s9, -13
	v_mov_b32_e32 v98, s8
	s_add_i32 s11, s9, -14
	s_set_gpr_idx_on s10, gpr_idx(SRC0)
	v_mov_b32_e32 v93, v24
	s_set_gpr_idx_off
	s_add_i32 s12, s9, -11
	s_set_gpr_idx_on s11, gpr_idx(SRC0)
	v_mov_b32_e32 v92, v24
	s_set_gpr_idx_off
	ds_read2_b64 v[84:87], v98 offset1:1
	s_add_i32 s13, s9, -12
	s_set_gpr_idx_on s12, gpr_idx(SRC0)
	v_mov_b32_e32 v95, v24
	s_set_gpr_idx_off
	s_add_i32 s14, s9, -9
	s_set_gpr_idx_on s13, gpr_idx(SRC0)
	v_mov_b32_e32 v94, v24
	s_set_gpr_idx_off
	;; [unrolled: 4-line block ×4, first 2 shown]
	ds_read2_b64 v[88:91], v98 offset0:2 offset1:3
	s_add_i32 s17, s9, -8
	s_waitcnt lgkmcnt(1)
	v_fmac_f64_e32 v[78:79], v[92:93], v[84:85]
	s_set_gpr_idx_on s16, gpr_idx(SRC0)
	v_mov_b32_e32 v93, v24
	s_set_gpr_idx_off
	s_add_i32 s18, s9, -5
	v_fmac_f64_e32 v[78:79], v[94:95], v[86:87]
	s_set_gpr_idx_on s17, gpr_idx(SRC0)
	v_mov_b32_e32 v92, v24
	s_set_gpr_idx_off
	s_add_i32 s19, s9, -6
	s_set_gpr_idx_on s18, gpr_idx(SRC0)
	v_mov_b32_e32 v95, v24
	s_set_gpr_idx_off
	s_add_i32 s24, s9, -3
	s_set_gpr_idx_on s19, gpr_idx(SRC0)
	v_mov_b32_e32 v94, v24
	s_set_gpr_idx_off
	s_add_i32 s25, s9, -4
	ds_read2_b64 v[84:87], v98 offset0:4 offset1:5
	s_waitcnt lgkmcnt(1)
	v_fmac_f64_e32 v[78:79], v[96:97], v[88:89]
	s_set_gpr_idx_on s24, gpr_idx(SRC0)
	v_mov_b32_e32 v97, v24
	s_set_gpr_idx_off
	s_add_i32 s26, s9, -1
	v_fmac_f64_e32 v[78:79], v[92:93], v[90:91]
	s_set_gpr_idx_on s25, gpr_idx(SRC0)
	v_mov_b32_e32 v96, v24
	s_set_gpr_idx_off
	s_add_i32 s27, s9, -2
	s_set_gpr_idx_on s26, gpr_idx(SRC0)
	v_mov_b32_e32 v93, v24
	s_set_gpr_idx_off
	s_set_gpr_idx_on s27, gpr_idx(SRC0)
	v_mov_b32_e32 v92, v24
	s_set_gpr_idx_off
	ds_read2_b64 v[88:91], v98 offset0:6 offset1:7
	s_add_u32 s2, s2, 8
	s_waitcnt lgkmcnt(1)
	v_fmac_f64_e32 v[78:79], v[94:95], v[84:85]
	s_set_gpr_idx_on s9, gpr_idx(SRC0)
	v_mov_b32_e32 v85, v25
	s_set_gpr_idx_off
	v_add_u32_e32 v80, s2, v82
	v_fmac_f64_e32 v[78:79], v[96:97], v[86:87]
	s_set_gpr_idx_on s9, gpr_idx(SRC0)
	v_mov_b32_e32 v84, v24
	s_set_gpr_idx_off
	s_addc_u32 s3, s3, 0
	s_add_i32 s8, s8, 64
	s_add_i32 s10, s2, -7
	v_cmp_eq_u32_e32 vcc, 8, v80
	s_waitcnt lgkmcnt(0)
	v_fmac_f64_e32 v[78:79], v[92:93], v[88:89]
	v_mov_b32_e32 v80, s10
	s_or_b64 s[6:7], vcc, s[6:7]
	v_fmac_f64_e32 v[78:79], v[84:85], v[90:91]
	s_andn2_b64 exec, exec, s[6:7]
	s_cbranch_execnz .LBB74_137
; %bb.138:
	s_or_b64 exec, exec, s[6:7]
.LBB74_139:
	s_or_b64 exec, exec, s[0:1]
	v_and_b32_e32 v46, 7, v83
	v_cmp_ne_u32_e32 vcc, 0, v46
	s_and_saveexec_b64 s[6:7], vcc
	s_cbranch_execz .LBB74_143
; %bb.140:
	v_mov_b32_e32 v47, 0x60
	v_lshl_add_u32 v48, v80, 3, v47
	v_mov_b32_e32 v47, 0
	s_mov_b64 s[8:9], 0
.LBB74_141:                             ; =>This Inner Loop Header: Depth=1
	v_cmp_eq_u32_e32 vcc, 1, v80
	v_cndmask_b32_e32 v49, v25, v27, vcc
	v_add_u32_e32 v46, -1, v46
	v_cmp_eq_u32_e64 s[0:1], 2, v80
	v_cndmask_b32_e64 v49, v49, v29, s[0:1]
	v_cndmask_b32_e32 v52, v24, v26, vcc
	v_cmp_eq_u32_e32 vcc, 0, v46
	v_cmp_eq_u32_e64 s[2:3], 3, v80
	v_cndmask_b32_e64 v49, v49, v31, s[2:3]
	v_cndmask_b32_e64 v52, v52, v28, s[0:1]
	s_or_b64 s[8:9], vcc, s[8:9]
	v_cmp_eq_u32_e32 vcc, 4, v80
	v_cndmask_b32_e32 v49, v49, v33, vcc
	v_cndmask_b32_e64 v52, v52, v30, s[2:3]
	v_cmp_eq_u32_e64 s[0:1], 5, v80
	v_cndmask_b32_e64 v49, v49, v35, s[0:1]
	v_cndmask_b32_e32 v52, v52, v32, vcc
	v_cmp_eq_u32_e32 vcc, 6, v80
	v_cndmask_b32_e32 v49, v49, v37, vcc
	v_cndmask_b32_e64 v52, v52, v34, s[0:1]
	v_cmp_eq_u32_e64 s[0:1], 7, v80
	ds_read_b64 v[50:51], v48
	v_cndmask_b32_e64 v49, v49, v39, s[0:1]
	v_cndmask_b32_e32 v52, v52, v36, vcc
	v_cmp_eq_u32_e32 vcc, 8, v80
	v_cndmask_b32_e32 v49, v49, v41, vcc
	v_cndmask_b32_e64 v52, v52, v38, s[0:1]
	v_cmp_eq_u32_e64 s[0:1], 9, v80
	v_cndmask_b32_e64 v49, v49, v43, s[0:1]
	v_cmp_eq_u32_e64 s[2:3], 10, v80
	v_cndmask_b32_e32 v52, v52, v40, vcc
	v_cndmask_b32_e64 v53, v49, v45, s[2:3]
	v_cndmask_b32_e64 v49, v52, v42, s[0:1]
	v_add_co_u32_e32 v80, vcc, 1, v80
	v_cndmask_b32_e64 v52, v49, v44, s[2:3]
	v_add_u32_e32 v48, 8, v48
	v_addc_co_u32_e32 v47, vcc, 0, v47, vcc
	s_waitcnt lgkmcnt(0)
	v_fmac_f64_e32 v[78:79], v[52:53], v[50:51]
	s_andn2_b64 exec, exec, s[8:9]
	s_cbranch_execnz .LBB74_141
; %bb.142:
	s_or_b64 exec, exec, s[8:9]
.LBB74_143:
	s_or_b64 exec, exec, s[6:7]
.LBB74_144:
	s_or_b64 exec, exec, s[4:5]
	v_mov_b32_e32 v24, 0
	ds_read_b64 v[24:25], v24
	s_waitcnt lgkmcnt(0)
	v_mul_f64 v[24:25], v[78:79], v[24:25]
.LBB74_145:
	s_or_b64 exec, exec, s[20:21]
	s_branch .LBB74_251
.LBB74_146:
	v_cmp_eq_u32_e64 s[0:1], 0, v0
	s_waitcnt vmcnt(10)
	ds_write_b64 v81, v[4:5]
	s_waitcnt lgkmcnt(0)
	; wave barrier
	s_waitcnt lgkmcnt(0)
	s_and_saveexec_b64 s[20:21], s[0:1]
	s_cbranch_execz .LBB74_152
; %bb.147:
	s_and_b64 vcc, exec, s[22:23]
	s_cbranch_vccz .LBB74_149
; %bb.148:
	v_cmp_eq_u32_e32 vcc, 1, v0
	s_waitcnt vmcnt(1)
	v_cndmask_b32_e32 v5, v3, v5, vcc
	v_cmp_eq_u32_e64 s[2:3], 2, v0
	v_cndmask_b32_e32 v4, v2, v4, vcc
	v_cndmask_b32_e64 v5, v5, v7, s[2:3]
	v_cmp_eq_u32_e64 s[4:5], 3, v0
	v_cndmask_b32_e64 v4, v4, v6, s[2:3]
	v_cndmask_b32_e64 v5, v5, v9, s[4:5]
	v_cmp_eq_u32_e64 s[6:7], 4, v0
	v_cndmask_b32_e64 v4, v4, v8, s[4:5]
	;; [unrolled: 3-line block ×5, first 2 shown]
	ds_read_b64 v[24:25], v81
	v_cndmask_b32_e64 v5, v5, v17, s[12:13]
	v_cmp_eq_u32_e64 s[14:15], 8, v0
	v_cndmask_b32_e64 v4, v4, v16, s[12:13]
	v_cndmask_b32_e64 v5, v5, v19, s[14:15]
	v_cmp_eq_u32_e64 s[16:17], 9, v0
	v_cndmask_b32_e64 v4, v4, v18, s[14:15]
	;; [unrolled: 3-line block ×3, first 2 shown]
	s_waitcnt vmcnt(0)
	v_cndmask_b32_e64 v5, v5, v23, s[18:19]
	v_cndmask_b32_e64 v4, v4, v22, s[18:19]
	s_waitcnt lgkmcnt(0)
	v_mul_f64 v[4:5], v[4:5], v[24:25]
	s_cbranch_execz .LBB74_150
	s_branch .LBB74_151
.LBB74_149:
                                        ; implicit-def: $vgpr4_vgpr5
.LBB74_150:
	ds_read_b64 v[4:5], v81
.LBB74_151:
	v_mov_b32_e32 v24, 0
	ds_read_b64 v[24:25], v24 offset:8
	s_waitcnt lgkmcnt(0)
	v_mul_f64 v[4:5], v[4:5], v[24:25]
.LBB74_152:
	s_or_b64 exec, exec, s[20:21]
	v_cndmask_b32_e64 v24, 0, 1, s[22:23]
	v_add_u32_e32 v28, 1, v0
	v_cmp_gt_u32_e32 vcc, 2, v0
	v_cmp_ne_u32_e64 s[2:3], 1, v24
	s_waitcnt vmcnt(9)
	ds_write_b64 v81, v[6:7]
	s_waitcnt lgkmcnt(0)
	; wave barrier
	s_waitcnt lgkmcnt(0)
	s_and_saveexec_b64 s[22:23], vcc
	s_cbranch_execz .LBB74_160
; %bb.153:
	s_and_b64 vcc, exec, s[2:3]
	s_cbranch_vccnz .LBB74_155
; %bb.154:
	v_cmp_eq_u32_e32 vcc, 1, v0
	s_waitcnt vmcnt(1)
	v_cndmask_b32_e32 v24, v3, v5, vcc
	v_cmp_eq_u32_e64 s[4:5], 2, v0
	v_cndmask_b32_e64 v24, v24, v7, s[4:5]
	v_cmp_eq_u32_e64 s[6:7], 3, v0
	v_cndmask_b32_e64 v24, v24, v9, s[6:7]
	;; [unrolled: 2-line block ×8, first 2 shown]
	v_cmp_eq_u32_e64 s[20:21], 10, v0
	s_waitcnt vmcnt(0)
	v_cndmask_b32_e64 v25, v24, v23, s[20:21]
	v_cndmask_b32_e32 v24, v2, v4, vcc
	v_cndmask_b32_e64 v24, v24, v6, s[4:5]
	v_cndmask_b32_e64 v24, v24, v8, s[6:7]
	;; [unrolled: 1-line block ×5, first 2 shown]
	ds_read_b64 v[26:27], v81
	v_cndmask_b32_e64 v24, v24, v16, s[14:15]
	v_cndmask_b32_e64 v24, v24, v18, s[16:17]
	;; [unrolled: 1-line block ×4, first 2 shown]
	s_waitcnt lgkmcnt(0)
	v_mul_f64 v[24:25], v[24:25], v[26:27]
	s_cbranch_execz .LBB74_156
	s_branch .LBB74_157
.LBB74_155:
                                        ; implicit-def: $vgpr24_vgpr25
.LBB74_156:
	ds_read_b64 v[24:25], v81
.LBB74_157:
	s_and_saveexec_b64 s[24:25], s[0:1]
	s_cbranch_execz .LBB74_159
; %bb.158:
	v_cmp_eq_u32_e32 vcc, 1, v28
	s_waitcnt vmcnt(1)
	v_cndmask_b32_e32 v26, v3, v5, vcc
	v_cmp_eq_u32_e64 s[4:5], 2, v28
	v_cndmask_b32_e64 v7, v26, v7, s[4:5]
	v_cndmask_b32_e32 v26, v2, v4, vcc
	v_cmp_eq_u32_e64 s[6:7], 3, v28
	v_cndmask_b32_e64 v6, v26, v6, s[4:5]
	v_cndmask_b32_e64 v7, v7, v9, s[6:7]
	v_cmp_eq_u32_e64 s[8:9], 4, v28
	v_cndmask_b32_e64 v6, v6, v8, s[6:7]
	v_cndmask_b32_e64 v7, v7, v11, s[8:9]
	v_cmp_eq_u32_e64 s[10:11], 5, v28
	v_cndmask_b32_e64 v6, v6, v10, s[8:9]
	v_cndmask_b32_e64 v7, v7, v13, s[10:11]
	v_cmp_eq_u32_e64 s[12:13], 6, v28
	v_cndmask_b32_e64 v6, v6, v12, s[10:11]
	v_cndmask_b32_e64 v7, v7, v15, s[12:13]
	v_cmp_eq_u32_e64 s[14:15], 7, v28
	v_cndmask_b32_e64 v6, v6, v14, s[12:13]
	ds_read_b64 v[26:27], v81 offset:8
	v_cndmask_b32_e64 v7, v7, v17, s[14:15]
	v_cmp_eq_u32_e64 s[16:17], 8, v28
	v_cndmask_b32_e64 v6, v6, v16, s[14:15]
	v_cndmask_b32_e64 v7, v7, v19, s[16:17]
	v_cmp_eq_u32_e64 s[18:19], 9, v28
	v_cndmask_b32_e64 v6, v6, v18, s[16:17]
	;; [unrolled: 3-line block ×3, first 2 shown]
	s_waitcnt vmcnt(0)
	v_cndmask_b32_e64 v7, v7, v23, s[20:21]
	v_cndmask_b32_e64 v6, v6, v22, s[20:21]
	s_waitcnt lgkmcnt(0)
	v_fmac_f64_e32 v[24:25], v[6:7], v[26:27]
.LBB74_159:
	s_or_b64 exec, exec, s[24:25]
	v_mov_b32_e32 v6, 0
	ds_read_b64 v[6:7], v6 offset:16
	s_waitcnt lgkmcnt(0)
	v_mul_f64 v[6:7], v[24:25], v[6:7]
.LBB74_160:
	s_or_b64 exec, exec, s[22:23]
	v_cmp_gt_u32_e64 s[4:5], 3, v0
	s_waitcnt vmcnt(8)
	ds_write_b64 v81, v[8:9]
	s_waitcnt lgkmcnt(0)
	; wave barrier
	s_waitcnt lgkmcnt(0)
	s_and_saveexec_b64 s[24:25], s[4:5]
	s_cbranch_execz .LBB74_168
; %bb.161:
	s_and_b64 vcc, exec, s[2:3]
	s_cbranch_vccnz .LBB74_163
; %bb.162:
	v_cmp_eq_u32_e32 vcc, 1, v0
	s_waitcnt vmcnt(1)
	v_cndmask_b32_e32 v24, v3, v5, vcc
	v_cmp_eq_u32_e64 s[6:7], 2, v0
	v_cndmask_b32_e64 v24, v24, v7, s[6:7]
	v_cmp_eq_u32_e64 s[8:9], 3, v0
	v_cndmask_b32_e64 v24, v24, v9, s[8:9]
	;; [unrolled: 2-line block ×8, first 2 shown]
	v_cmp_eq_u32_e64 s[22:23], 10, v0
	s_waitcnt vmcnt(0)
	v_cndmask_b32_e64 v25, v24, v23, s[22:23]
	v_cndmask_b32_e32 v24, v2, v4, vcc
	v_cndmask_b32_e64 v24, v24, v6, s[6:7]
	v_cndmask_b32_e64 v24, v24, v8, s[8:9]
	;; [unrolled: 1-line block ×5, first 2 shown]
	ds_read_b64 v[26:27], v81
	v_cndmask_b32_e64 v24, v24, v16, s[16:17]
	v_cndmask_b32_e64 v24, v24, v18, s[18:19]
	;; [unrolled: 1-line block ×4, first 2 shown]
	s_waitcnt lgkmcnt(0)
	v_mul_f64 v[24:25], v[24:25], v[26:27]
	s_cbranch_execz .LBB74_164
	s_branch .LBB74_165
.LBB74_163:
                                        ; implicit-def: $vgpr24_vgpr25
.LBB74_164:
	ds_read_b64 v[24:25], v81
.LBB74_165:
	v_cmp_ne_u32_e32 vcc, 2, v0
	s_and_saveexec_b64 s[26:27], vcc
	s_cbranch_execz .LBB74_167
; %bb.166:
	v_cmp_eq_u32_e32 vcc, 1, v28
	s_waitcnt vmcnt(1)
	v_cndmask_b32_e32 v26, v3, v5, vcc
	v_cmp_eq_u32_e64 s[6:7], 2, v28
	v_cndmask_b32_e64 v26, v26, v7, s[6:7]
	v_cmp_eq_u32_e64 s[8:9], 3, v28
	v_cndmask_b32_e64 v9, v26, v9, s[8:9]
	v_cndmask_b32_e32 v26, v2, v4, vcc
	v_cndmask_b32_e64 v26, v26, v6, s[6:7]
	v_cmp_eq_u32_e64 s[10:11], 4, v28
	v_cndmask_b32_e64 v8, v26, v8, s[8:9]
	v_cndmask_b32_e64 v9, v9, v11, s[10:11]
	v_cmp_eq_u32_e64 s[12:13], 5, v28
	v_cndmask_b32_e64 v8, v8, v10, s[10:11]
	;; [unrolled: 3-line block ×5, first 2 shown]
	v_mov_b32_e32 v29, 0
	ds_read_b64 v[26:27], v81 offset:8
	ds_read_b64 v[30:31], v29 offset:112
	v_cndmask_b32_e64 v9, v9, v19, s[18:19]
	v_cmp_eq_u32_e64 s[20:21], 9, v28
	v_cndmask_b32_e64 v8, v8, v18, s[18:19]
	v_cndmask_b32_e64 v9, v9, v21, s[20:21]
	v_cmp_eq_u32_e64 s[22:23], 10, v28
	v_cndmask_b32_e64 v8, v8, v20, s[20:21]
	s_waitcnt vmcnt(0)
	v_cndmask_b32_e64 v9, v9, v23, s[22:23]
	v_cndmask_b32_e64 v8, v8, v22, s[22:23]
	s_waitcnt lgkmcnt(1)
	v_fmac_f64_e32 v[24:25], v[8:9], v[26:27]
	s_waitcnt lgkmcnt(0)
	v_fma_f64 v[8:9], v[6:7], v[30:31], v[24:25]
	v_cndmask_b32_e64 v25, v25, v9, s[0:1]
	v_cndmask_b32_e64 v24, v24, v8, s[0:1]
.LBB74_167:
	s_or_b64 exec, exec, s[26:27]
	v_mov_b32_e32 v8, 0
	ds_read_b64 v[8:9], v8 offset:24
	s_waitcnt lgkmcnt(0)
	v_mul_f64 v[8:9], v[24:25], v[8:9]
.LBB74_168:
	s_or_b64 exec, exec, s[24:25]
	v_cmp_gt_u32_e32 vcc, 4, v0
	s_waitcnt vmcnt(7)
	ds_write_b64 v81, v[10:11]
	s_waitcnt lgkmcnt(0)
	; wave barrier
	s_waitcnt lgkmcnt(0)
	s_and_saveexec_b64 s[24:25], vcc
	s_cbranch_execz .LBB74_178
; %bb.169:
	s_and_b64 vcc, exec, s[2:3]
	s_cbranch_vccnz .LBB74_171
; %bb.170:
	v_cmp_eq_u32_e32 vcc, 1, v0
	s_waitcnt vmcnt(1)
	v_cndmask_b32_e32 v24, v3, v5, vcc
	v_cmp_eq_u32_e64 s[6:7], 2, v0
	v_cndmask_b32_e64 v24, v24, v7, s[6:7]
	v_cmp_eq_u32_e64 s[8:9], 3, v0
	v_cndmask_b32_e64 v24, v24, v9, s[8:9]
	;; [unrolled: 2-line block ×8, first 2 shown]
	v_cmp_eq_u32_e64 s[22:23], 10, v0
	s_waitcnt vmcnt(0)
	v_cndmask_b32_e64 v25, v24, v23, s[22:23]
	v_cndmask_b32_e32 v24, v2, v4, vcc
	v_cndmask_b32_e64 v24, v24, v6, s[6:7]
	v_cndmask_b32_e64 v24, v24, v8, s[8:9]
	;; [unrolled: 1-line block ×5, first 2 shown]
	ds_read_b64 v[26:27], v81
	v_cndmask_b32_e64 v24, v24, v16, s[16:17]
	v_cndmask_b32_e64 v24, v24, v18, s[18:19]
	;; [unrolled: 1-line block ×4, first 2 shown]
	s_waitcnt lgkmcnt(0)
	v_mul_f64 v[24:25], v[24:25], v[26:27]
	s_cbranch_execz .LBB74_172
	s_branch .LBB74_173
.LBB74_171:
                                        ; implicit-def: $vgpr24_vgpr25
.LBB74_172:
	ds_read_b64 v[24:25], v81
.LBB74_173:
	v_cmp_ne_u32_e32 vcc, 3, v0
	s_and_saveexec_b64 s[10:11], vcc
	s_cbranch_execz .LBB74_177
; %bb.174:
	v_mov_b32_e32 v26, 0x68
	v_lshl_add_u32 v29, v0, 3, v26
	s_mov_b64 s[12:13], 0
	v_pk_mov_b32 v[26:27], v[0:1], v[0:1] op_sel:[0,1]
.LBB74_175:                             ; =>This Inner Loop Header: Depth=1
	v_add_co_u32_e32 v26, vcc, 1, v26
	v_addc_co_u32_e32 v27, vcc, 0, v27, vcc
	v_cmp_eq_u32_e32 vcc, 1, v26
	s_waitcnt vmcnt(1)
	v_cndmask_b32_e32 v32, v3, v5, vcc
	v_cmp_eq_u32_e64 s[8:9], 2, v26
	v_cmp_lt_u32_e64 s[6:7], 2, v26
	v_cndmask_b32_e64 v32, v32, v7, s[8:9]
	v_cndmask_b32_e32 v33, v2, v4, vcc
	v_cmp_eq_u32_e32 vcc, 3, v26
	s_or_b64 s[12:13], s[6:7], s[12:13]
	v_cndmask_b32_e32 v32, v32, v9, vcc
	v_cndmask_b32_e64 v33, v33, v6, s[8:9]
	v_cmp_eq_u32_e64 s[6:7], 4, v26
	v_cndmask_b32_e64 v32, v32, v11, s[6:7]
	v_cndmask_b32_e32 v33, v33, v8, vcc
	v_cmp_eq_u32_e32 vcc, 5, v26
	v_cndmask_b32_e32 v32, v32, v13, vcc
	v_cndmask_b32_e64 v33, v33, v10, s[6:7]
	v_cmp_eq_u32_e64 s[6:7], 6, v26
	v_cndmask_b32_e64 v32, v32, v15, s[6:7]
	v_cndmask_b32_e32 v33, v33, v12, vcc
	v_cmp_eq_u32_e32 vcc, 7, v26
	ds_read_b64 v[30:31], v29
	v_cndmask_b32_e32 v32, v32, v17, vcc
	v_cndmask_b32_e64 v33, v33, v14, s[6:7]
	v_cmp_eq_u32_e64 s[6:7], 8, v26
	v_cndmask_b32_e64 v32, v32, v19, s[6:7]
	v_cndmask_b32_e32 v33, v33, v16, vcc
	v_cmp_eq_u32_e32 vcc, 9, v26
	v_cndmask_b32_e32 v32, v32, v21, vcc
	v_cndmask_b32_e64 v34, v33, v18, s[6:7]
	v_cmp_eq_u32_e64 s[6:7], 10, v26
	s_waitcnt vmcnt(0)
	v_cndmask_b32_e64 v33, v32, v23, s[6:7]
	v_cndmask_b32_e32 v32, v34, v20, vcc
	v_cndmask_b32_e64 v32, v32, v22, s[6:7]
	v_add_u32_e32 v29, 8, v29
	s_waitcnt lgkmcnt(0)
	v_fmac_f64_e32 v[24:25], v[32:33], v[30:31]
	s_andn2_b64 exec, exec, s[12:13]
	s_cbranch_execnz .LBB74_175
; %bb.176:
	s_or_b64 exec, exec, s[12:13]
.LBB74_177:
	s_or_b64 exec, exec, s[10:11]
	v_mov_b32_e32 v10, 0
	ds_read_b64 v[10:11], v10 offset:32
	s_waitcnt lgkmcnt(0)
	v_mul_f64 v[10:11], v[24:25], v[10:11]
.LBB74_178:
	s_or_b64 exec, exec, s[24:25]
	v_cmp_gt_u32_e64 s[6:7], 5, v0
	s_waitcnt vmcnt(6)
	ds_write_b64 v81, v[12:13]
	s_waitcnt lgkmcnt(0)
	; wave barrier
	s_waitcnt lgkmcnt(0)
	s_and_saveexec_b64 s[26:27], s[6:7]
	s_cbranch_execz .LBB74_188
; %bb.179:
	s_and_b64 vcc, exec, s[2:3]
	s_cbranch_vccnz .LBB74_181
; %bb.180:
	v_cmp_eq_u32_e32 vcc, 1, v0
	s_waitcnt vmcnt(1)
	v_cndmask_b32_e32 v24, v3, v5, vcc
	v_cmp_eq_u32_e64 s[8:9], 2, v0
	v_cndmask_b32_e64 v24, v24, v7, s[8:9]
	v_cmp_eq_u32_e64 s[10:11], 3, v0
	v_cndmask_b32_e64 v24, v24, v9, s[10:11]
	;; [unrolled: 2-line block ×8, first 2 shown]
	v_cmp_eq_u32_e64 s[24:25], 10, v0
	s_waitcnt vmcnt(0)
	v_cndmask_b32_e64 v25, v24, v23, s[24:25]
	v_cndmask_b32_e32 v24, v2, v4, vcc
	v_cndmask_b32_e64 v24, v24, v6, s[8:9]
	v_cndmask_b32_e64 v24, v24, v8, s[10:11]
	v_cndmask_b32_e64 v24, v24, v10, s[12:13]
	v_cndmask_b32_e64 v24, v24, v12, s[14:15]
	v_cndmask_b32_e64 v24, v24, v14, s[16:17]
	ds_read_b64 v[26:27], v81
	v_cndmask_b32_e64 v24, v24, v16, s[18:19]
	v_cndmask_b32_e64 v24, v24, v18, s[20:21]
	;; [unrolled: 1-line block ×4, first 2 shown]
	s_waitcnt lgkmcnt(0)
	v_mul_f64 v[24:25], v[24:25], v[26:27]
	s_cbranch_execz .LBB74_182
	s_branch .LBB74_183
.LBB74_181:
                                        ; implicit-def: $vgpr24_vgpr25
.LBB74_182:
	ds_read_b64 v[24:25], v81
.LBB74_183:
	v_cmp_ne_u32_e32 vcc, 4, v0
	s_and_saveexec_b64 s[12:13], vcc
	s_cbranch_execz .LBB74_187
; %bb.184:
	v_mov_b32_e32 v26, 0x68
	v_lshl_add_u32 v29, v0, 3, v26
	s_mov_b64 s[14:15], 0
	v_pk_mov_b32 v[26:27], v[0:1], v[0:1] op_sel:[0,1]
.LBB74_185:                             ; =>This Inner Loop Header: Depth=1
	v_add_co_u32_e32 v26, vcc, 1, v26
	v_addc_co_u32_e32 v27, vcc, 0, v27, vcc
	v_cmp_eq_u32_e32 vcc, 1, v26
	s_waitcnt vmcnt(1)
	v_cndmask_b32_e32 v32, v3, v5, vcc
	v_cmp_eq_u32_e64 s[10:11], 2, v26
	v_cmp_lt_u32_e64 s[8:9], 3, v26
	v_cndmask_b32_e64 v32, v32, v7, s[10:11]
	v_cndmask_b32_e32 v33, v2, v4, vcc
	v_cmp_eq_u32_e32 vcc, 3, v26
	s_or_b64 s[14:15], s[8:9], s[14:15]
	v_cndmask_b32_e32 v32, v32, v9, vcc
	v_cndmask_b32_e64 v33, v33, v6, s[10:11]
	v_cmp_eq_u32_e64 s[8:9], 4, v26
	v_cndmask_b32_e64 v32, v32, v11, s[8:9]
	v_cndmask_b32_e32 v33, v33, v8, vcc
	v_cmp_eq_u32_e32 vcc, 5, v26
	v_cndmask_b32_e32 v32, v32, v13, vcc
	v_cndmask_b32_e64 v33, v33, v10, s[8:9]
	v_cmp_eq_u32_e64 s[8:9], 6, v26
	v_cndmask_b32_e64 v32, v32, v15, s[8:9]
	v_cndmask_b32_e32 v33, v33, v12, vcc
	v_cmp_eq_u32_e32 vcc, 7, v26
	ds_read_b64 v[30:31], v29
	v_cndmask_b32_e32 v32, v32, v17, vcc
	v_cndmask_b32_e64 v33, v33, v14, s[8:9]
	v_cmp_eq_u32_e64 s[8:9], 8, v26
	v_cndmask_b32_e64 v32, v32, v19, s[8:9]
	v_cndmask_b32_e32 v33, v33, v16, vcc
	v_cmp_eq_u32_e32 vcc, 9, v26
	v_cndmask_b32_e32 v32, v32, v21, vcc
	v_cndmask_b32_e64 v34, v33, v18, s[8:9]
	v_cmp_eq_u32_e64 s[8:9], 10, v26
	s_waitcnt vmcnt(0)
	v_cndmask_b32_e64 v33, v32, v23, s[8:9]
	v_cndmask_b32_e32 v32, v34, v20, vcc
	v_cndmask_b32_e64 v32, v32, v22, s[8:9]
	v_add_u32_e32 v29, 8, v29
	s_waitcnt lgkmcnt(0)
	v_fmac_f64_e32 v[24:25], v[32:33], v[30:31]
	s_andn2_b64 exec, exec, s[14:15]
	s_cbranch_execnz .LBB74_185
; %bb.186:
	s_or_b64 exec, exec, s[14:15]
.LBB74_187:
	s_or_b64 exec, exec, s[12:13]
	v_mov_b32_e32 v12, 0
	ds_read_b64 v[12:13], v12 offset:40
	s_waitcnt lgkmcnt(0)
	v_mul_f64 v[12:13], v[24:25], v[12:13]
.LBB74_188:
	s_or_b64 exec, exec, s[26:27]
	v_cmp_gt_u32_e32 vcc, 6, v0
	s_waitcnt vmcnt(5)
	ds_write_b64 v81, v[14:15]
	s_waitcnt lgkmcnt(0)
	; wave barrier
	s_waitcnt lgkmcnt(0)
	s_and_saveexec_b64 s[26:27], vcc
	s_cbranch_execz .LBB74_198
; %bb.189:
	s_and_b64 vcc, exec, s[2:3]
	s_cbranch_vccnz .LBB74_191
; %bb.190:
	v_cmp_eq_u32_e32 vcc, 1, v0
	s_waitcnt vmcnt(1)
	v_cndmask_b32_e32 v24, v3, v5, vcc
	v_cmp_eq_u32_e64 s[8:9], 2, v0
	v_cndmask_b32_e64 v24, v24, v7, s[8:9]
	v_cmp_eq_u32_e64 s[10:11], 3, v0
	v_cndmask_b32_e64 v24, v24, v9, s[10:11]
	;; [unrolled: 2-line block ×8, first 2 shown]
	v_cmp_eq_u32_e64 s[24:25], 10, v0
	s_waitcnt vmcnt(0)
	v_cndmask_b32_e64 v25, v24, v23, s[24:25]
	v_cndmask_b32_e32 v24, v2, v4, vcc
	v_cndmask_b32_e64 v24, v24, v6, s[8:9]
	v_cndmask_b32_e64 v24, v24, v8, s[10:11]
	;; [unrolled: 1-line block ×5, first 2 shown]
	ds_read_b64 v[26:27], v81
	v_cndmask_b32_e64 v24, v24, v16, s[18:19]
	v_cndmask_b32_e64 v24, v24, v18, s[20:21]
	v_cndmask_b32_e64 v24, v24, v20, s[22:23]
	v_cndmask_b32_e64 v24, v24, v22, s[24:25]
	s_waitcnt lgkmcnt(0)
	v_mul_f64 v[24:25], v[24:25], v[26:27]
	s_cbranch_execz .LBB74_192
	s_branch .LBB74_193
.LBB74_191:
                                        ; implicit-def: $vgpr24_vgpr25
.LBB74_192:
	ds_read_b64 v[24:25], v81
.LBB74_193:
	v_cmp_ne_u32_e32 vcc, 5, v0
	s_and_saveexec_b64 s[12:13], vcc
	s_cbranch_execz .LBB74_197
; %bb.194:
	v_mov_b32_e32 v26, 0x68
	v_lshl_add_u32 v29, v0, 3, v26
	s_mov_b64 s[14:15], 0
	v_pk_mov_b32 v[26:27], v[0:1], v[0:1] op_sel:[0,1]
.LBB74_195:                             ; =>This Inner Loop Header: Depth=1
	v_add_co_u32_e32 v26, vcc, 1, v26
	v_addc_co_u32_e32 v27, vcc, 0, v27, vcc
	v_cmp_eq_u32_e32 vcc, 1, v26
	s_waitcnt vmcnt(1)
	v_cndmask_b32_e32 v32, v3, v5, vcc
	v_cmp_eq_u32_e64 s[10:11], 2, v26
	v_cmp_lt_u32_e64 s[8:9], 4, v26
	v_cndmask_b32_e64 v32, v32, v7, s[10:11]
	v_cndmask_b32_e32 v33, v2, v4, vcc
	v_cmp_eq_u32_e32 vcc, 3, v26
	s_or_b64 s[14:15], s[8:9], s[14:15]
	v_cndmask_b32_e32 v32, v32, v9, vcc
	v_cndmask_b32_e64 v33, v33, v6, s[10:11]
	v_cmp_eq_u32_e64 s[8:9], 4, v26
	v_cndmask_b32_e64 v32, v32, v11, s[8:9]
	v_cndmask_b32_e32 v33, v33, v8, vcc
	v_cmp_eq_u32_e32 vcc, 5, v26
	v_cndmask_b32_e32 v32, v32, v13, vcc
	v_cndmask_b32_e64 v33, v33, v10, s[8:9]
	v_cmp_eq_u32_e64 s[8:9], 6, v26
	v_cndmask_b32_e64 v32, v32, v15, s[8:9]
	v_cndmask_b32_e32 v33, v33, v12, vcc
	v_cmp_eq_u32_e32 vcc, 7, v26
	ds_read_b64 v[30:31], v29
	v_cndmask_b32_e32 v32, v32, v17, vcc
	v_cndmask_b32_e64 v33, v33, v14, s[8:9]
	v_cmp_eq_u32_e64 s[8:9], 8, v26
	v_cndmask_b32_e64 v32, v32, v19, s[8:9]
	v_cndmask_b32_e32 v33, v33, v16, vcc
	v_cmp_eq_u32_e32 vcc, 9, v26
	v_cndmask_b32_e32 v32, v32, v21, vcc
	v_cndmask_b32_e64 v34, v33, v18, s[8:9]
	v_cmp_eq_u32_e64 s[8:9], 10, v26
	s_waitcnt vmcnt(0)
	v_cndmask_b32_e64 v33, v32, v23, s[8:9]
	v_cndmask_b32_e32 v32, v34, v20, vcc
	v_cndmask_b32_e64 v32, v32, v22, s[8:9]
	v_add_u32_e32 v29, 8, v29
	s_waitcnt lgkmcnt(0)
	v_fmac_f64_e32 v[24:25], v[32:33], v[30:31]
	s_andn2_b64 exec, exec, s[14:15]
	s_cbranch_execnz .LBB74_195
; %bb.196:
	s_or_b64 exec, exec, s[14:15]
.LBB74_197:
	s_or_b64 exec, exec, s[12:13]
	v_mov_b32_e32 v14, 0
	ds_read_b64 v[14:15], v14 offset:48
	s_waitcnt lgkmcnt(0)
	v_mul_f64 v[14:15], v[24:25], v[14:15]
.LBB74_198:
	s_or_b64 exec, exec, s[26:27]
	v_cmp_gt_u32_e64 s[8:9], 7, v0
	s_waitcnt vmcnt(4)
	ds_write_b64 v81, v[16:17]
	s_waitcnt lgkmcnt(0)
	; wave barrier
	s_waitcnt lgkmcnt(0)
	s_and_saveexec_b64 s[28:29], s[8:9]
	s_cbranch_execz .LBB74_208
; %bb.199:
	s_and_b64 vcc, exec, s[2:3]
	s_cbranch_vccnz .LBB74_201
; %bb.200:
	v_cmp_eq_u32_e32 vcc, 1, v0
	s_waitcnt vmcnt(1)
	v_cndmask_b32_e32 v24, v3, v5, vcc
	v_cmp_eq_u32_e64 s[10:11], 2, v0
	v_cndmask_b32_e64 v24, v24, v7, s[10:11]
	v_cmp_eq_u32_e64 s[12:13], 3, v0
	v_cndmask_b32_e64 v24, v24, v9, s[12:13]
	;; [unrolled: 2-line block ×8, first 2 shown]
	v_cmp_eq_u32_e64 s[26:27], 10, v0
	s_waitcnt vmcnt(0)
	v_cndmask_b32_e64 v25, v24, v23, s[26:27]
	v_cndmask_b32_e32 v24, v2, v4, vcc
	v_cndmask_b32_e64 v24, v24, v6, s[10:11]
	v_cndmask_b32_e64 v24, v24, v8, s[12:13]
	;; [unrolled: 1-line block ×5, first 2 shown]
	ds_read_b64 v[26:27], v81
	v_cndmask_b32_e64 v24, v24, v16, s[20:21]
	v_cndmask_b32_e64 v24, v24, v18, s[22:23]
	;; [unrolled: 1-line block ×4, first 2 shown]
	s_waitcnt lgkmcnt(0)
	v_mul_f64 v[24:25], v[24:25], v[26:27]
	s_cbranch_execz .LBB74_202
	s_branch .LBB74_203
.LBB74_201:
                                        ; implicit-def: $vgpr24_vgpr25
.LBB74_202:
	ds_read_b64 v[24:25], v81
.LBB74_203:
	v_cmp_ne_u32_e32 vcc, 6, v0
	s_and_saveexec_b64 s[14:15], vcc
	s_cbranch_execz .LBB74_207
; %bb.204:
	v_mov_b32_e32 v26, 0x68
	v_lshl_add_u32 v29, v0, 3, v26
	s_mov_b64 s[16:17], 0
	v_pk_mov_b32 v[26:27], v[0:1], v[0:1] op_sel:[0,1]
.LBB74_205:                             ; =>This Inner Loop Header: Depth=1
	v_add_co_u32_e32 v26, vcc, 1, v26
	v_addc_co_u32_e32 v27, vcc, 0, v27, vcc
	v_cmp_eq_u32_e32 vcc, 1, v26
	s_waitcnt vmcnt(1)
	v_cndmask_b32_e32 v32, v3, v5, vcc
	v_cmp_eq_u32_e64 s[12:13], 2, v26
	v_cmp_lt_u32_e64 s[10:11], 5, v26
	v_cndmask_b32_e64 v32, v32, v7, s[12:13]
	v_cndmask_b32_e32 v33, v2, v4, vcc
	v_cmp_eq_u32_e32 vcc, 3, v26
	s_or_b64 s[16:17], s[10:11], s[16:17]
	v_cndmask_b32_e32 v32, v32, v9, vcc
	v_cndmask_b32_e64 v33, v33, v6, s[12:13]
	v_cmp_eq_u32_e64 s[10:11], 4, v26
	v_cndmask_b32_e64 v32, v32, v11, s[10:11]
	v_cndmask_b32_e32 v33, v33, v8, vcc
	v_cmp_eq_u32_e32 vcc, 5, v26
	v_cndmask_b32_e32 v32, v32, v13, vcc
	v_cndmask_b32_e64 v33, v33, v10, s[10:11]
	v_cmp_eq_u32_e64 s[10:11], 6, v26
	v_cndmask_b32_e64 v32, v32, v15, s[10:11]
	v_cndmask_b32_e32 v33, v33, v12, vcc
	v_cmp_eq_u32_e32 vcc, 7, v26
	ds_read_b64 v[30:31], v29
	v_cndmask_b32_e32 v32, v32, v17, vcc
	v_cndmask_b32_e64 v33, v33, v14, s[10:11]
	v_cmp_eq_u32_e64 s[10:11], 8, v26
	v_cndmask_b32_e64 v32, v32, v19, s[10:11]
	v_cndmask_b32_e32 v33, v33, v16, vcc
	v_cmp_eq_u32_e32 vcc, 9, v26
	v_cndmask_b32_e32 v32, v32, v21, vcc
	v_cndmask_b32_e64 v34, v33, v18, s[10:11]
	v_cmp_eq_u32_e64 s[10:11], 10, v26
	s_waitcnt vmcnt(0)
	v_cndmask_b32_e64 v33, v32, v23, s[10:11]
	v_cndmask_b32_e32 v32, v34, v20, vcc
	v_cndmask_b32_e64 v32, v32, v22, s[10:11]
	v_add_u32_e32 v29, 8, v29
	s_waitcnt lgkmcnt(0)
	v_fmac_f64_e32 v[24:25], v[32:33], v[30:31]
	s_andn2_b64 exec, exec, s[16:17]
	s_cbranch_execnz .LBB74_205
; %bb.206:
	s_or_b64 exec, exec, s[16:17]
.LBB74_207:
	s_or_b64 exec, exec, s[14:15]
	v_mov_b32_e32 v16, 0
	ds_read_b64 v[16:17], v16 offset:56
	s_waitcnt lgkmcnt(0)
	v_mul_f64 v[16:17], v[24:25], v[16:17]
.LBB74_208:
	s_or_b64 exec, exec, s[28:29]
	v_cmp_gt_u32_e32 vcc, 8, v0
	s_waitcnt vmcnt(3)
	ds_write_b64 v81, v[18:19]
	s_waitcnt lgkmcnt(0)
	; wave barrier
	s_waitcnt lgkmcnt(0)
	s_and_saveexec_b64 s[28:29], vcc
	s_cbranch_execz .LBB74_218
; %bb.209:
	s_and_b64 vcc, exec, s[2:3]
	s_cbranch_vccnz .LBB74_211
; %bb.210:
	v_cmp_eq_u32_e32 vcc, 1, v0
	s_waitcnt vmcnt(1)
	v_cndmask_b32_e32 v24, v3, v5, vcc
	v_cmp_eq_u32_e64 s[10:11], 2, v0
	v_cndmask_b32_e64 v24, v24, v7, s[10:11]
	v_cmp_eq_u32_e64 s[12:13], 3, v0
	v_cndmask_b32_e64 v24, v24, v9, s[12:13]
	;; [unrolled: 2-line block ×8, first 2 shown]
	v_cmp_eq_u32_e64 s[26:27], 10, v0
	s_waitcnt vmcnt(0)
	v_cndmask_b32_e64 v25, v24, v23, s[26:27]
	v_cndmask_b32_e32 v24, v2, v4, vcc
	v_cndmask_b32_e64 v24, v24, v6, s[10:11]
	v_cndmask_b32_e64 v24, v24, v8, s[12:13]
	;; [unrolled: 1-line block ×5, first 2 shown]
	ds_read_b64 v[26:27], v81
	v_cndmask_b32_e64 v24, v24, v16, s[20:21]
	v_cndmask_b32_e64 v24, v24, v18, s[22:23]
	;; [unrolled: 1-line block ×4, first 2 shown]
	s_waitcnt lgkmcnt(0)
	v_mul_f64 v[24:25], v[24:25], v[26:27]
	s_cbranch_execz .LBB74_212
	s_branch .LBB74_213
.LBB74_211:
                                        ; implicit-def: $vgpr24_vgpr25
.LBB74_212:
	ds_read_b64 v[24:25], v81
.LBB74_213:
	v_cmp_ne_u32_e32 vcc, 7, v0
	s_and_saveexec_b64 s[14:15], vcc
	s_cbranch_execz .LBB74_217
; %bb.214:
	v_mov_b32_e32 v26, 0x68
	v_lshl_add_u32 v29, v0, 3, v26
	s_mov_b64 s[16:17], 0
	v_pk_mov_b32 v[26:27], v[0:1], v[0:1] op_sel:[0,1]
.LBB74_215:                             ; =>This Inner Loop Header: Depth=1
	v_add_co_u32_e32 v26, vcc, 1, v26
	v_addc_co_u32_e32 v27, vcc, 0, v27, vcc
	v_cmp_eq_u32_e32 vcc, 1, v26
	s_waitcnt vmcnt(1)
	v_cndmask_b32_e32 v32, v3, v5, vcc
	v_cmp_eq_u32_e64 s[12:13], 2, v26
	v_cmp_lt_u32_e64 s[10:11], 6, v26
	v_cndmask_b32_e64 v32, v32, v7, s[12:13]
	v_cndmask_b32_e32 v33, v2, v4, vcc
	v_cmp_eq_u32_e32 vcc, 3, v26
	s_or_b64 s[16:17], s[10:11], s[16:17]
	v_cndmask_b32_e32 v32, v32, v9, vcc
	v_cndmask_b32_e64 v33, v33, v6, s[12:13]
	v_cmp_eq_u32_e64 s[10:11], 4, v26
	v_cndmask_b32_e64 v32, v32, v11, s[10:11]
	v_cndmask_b32_e32 v33, v33, v8, vcc
	v_cmp_eq_u32_e32 vcc, 5, v26
	v_cndmask_b32_e32 v32, v32, v13, vcc
	v_cndmask_b32_e64 v33, v33, v10, s[10:11]
	v_cmp_eq_u32_e64 s[10:11], 6, v26
	v_cndmask_b32_e64 v32, v32, v15, s[10:11]
	v_cndmask_b32_e32 v33, v33, v12, vcc
	v_cmp_eq_u32_e32 vcc, 7, v26
	ds_read_b64 v[30:31], v29
	v_cndmask_b32_e32 v32, v32, v17, vcc
	v_cndmask_b32_e64 v33, v33, v14, s[10:11]
	v_cmp_eq_u32_e64 s[10:11], 8, v26
	v_cndmask_b32_e64 v32, v32, v19, s[10:11]
	v_cndmask_b32_e32 v33, v33, v16, vcc
	v_cmp_eq_u32_e32 vcc, 9, v26
	v_cndmask_b32_e32 v32, v32, v21, vcc
	v_cndmask_b32_e64 v34, v33, v18, s[10:11]
	v_cmp_eq_u32_e64 s[10:11], 10, v26
	s_waitcnt vmcnt(0)
	v_cndmask_b32_e64 v33, v32, v23, s[10:11]
	v_cndmask_b32_e32 v32, v34, v20, vcc
	v_cndmask_b32_e64 v32, v32, v22, s[10:11]
	v_add_u32_e32 v29, 8, v29
	s_waitcnt lgkmcnt(0)
	v_fmac_f64_e32 v[24:25], v[32:33], v[30:31]
	s_andn2_b64 exec, exec, s[16:17]
	s_cbranch_execnz .LBB74_215
; %bb.216:
	s_or_b64 exec, exec, s[16:17]
.LBB74_217:
	s_or_b64 exec, exec, s[14:15]
	v_mov_b32_e32 v18, 0
	ds_read_b64 v[18:19], v18 offset:64
	s_waitcnt lgkmcnt(0)
	v_mul_f64 v[18:19], v[24:25], v[18:19]
.LBB74_218:
	s_or_b64 exec, exec, s[28:29]
	v_cmp_gt_u32_e64 s[10:11], 9, v0
	s_waitcnt vmcnt(2)
	ds_write_b64 v81, v[20:21]
	s_waitcnt lgkmcnt(0)
	; wave barrier
	s_waitcnt lgkmcnt(0)
	s_and_saveexec_b64 s[30:31], s[10:11]
	s_cbranch_execz .LBB74_240
; %bb.219:
	s_and_b64 vcc, exec, s[2:3]
	s_cbranch_vccnz .LBB74_221
; %bb.220:
	v_cmp_eq_u32_e32 vcc, 1, v0
	s_waitcnt vmcnt(1)
	v_cndmask_b32_e32 v24, v3, v5, vcc
	v_cmp_eq_u32_e64 s[12:13], 2, v0
	v_cndmask_b32_e64 v24, v24, v7, s[12:13]
	v_cmp_eq_u32_e64 s[14:15], 3, v0
	v_cndmask_b32_e64 v24, v24, v9, s[14:15]
	v_cmp_eq_u32_e64 s[16:17], 4, v0
	v_cndmask_b32_e64 v24, v24, v11, s[16:17]
	v_cmp_eq_u32_e64 s[18:19], 5, v0
	v_cndmask_b32_e64 v24, v24, v13, s[18:19]
	v_cmp_eq_u32_e64 s[20:21], 6, v0
	v_cndmask_b32_e64 v24, v24, v15, s[20:21]
	v_cmp_eq_u32_e64 s[22:23], 7, v0
	v_cndmask_b32_e64 v24, v24, v17, s[22:23]
	v_cmp_eq_u32_e64 s[24:25], 8, v0
	v_cndmask_b32_e64 v24, v24, v19, s[24:25]
	v_cmp_eq_u32_e64 s[26:27], 9, v0
	v_cndmask_b32_e64 v24, v24, v21, s[26:27]
	v_cmp_eq_u32_e64 s[28:29], 10, v0
	s_waitcnt vmcnt(0)
	v_cndmask_b32_e64 v25, v24, v23, s[28:29]
	v_cndmask_b32_e32 v24, v2, v4, vcc
	v_cndmask_b32_e64 v24, v24, v6, s[12:13]
	v_cndmask_b32_e64 v24, v24, v8, s[14:15]
	;; [unrolled: 1-line block ×5, first 2 shown]
	ds_read_b64 v[26:27], v81
	v_cndmask_b32_e64 v24, v24, v16, s[22:23]
	v_cndmask_b32_e64 v24, v24, v18, s[24:25]
	;; [unrolled: 1-line block ×4, first 2 shown]
	s_waitcnt lgkmcnt(0)
	v_mul_f64 v[24:25], v[24:25], v[26:27]
	s_cbranch_execz .LBB74_222
	s_branch .LBB74_223
.LBB74_221:
                                        ; implicit-def: $vgpr24_vgpr25
.LBB74_222:
	ds_read_b64 v[24:25], v81
.LBB74_223:
	v_cmp_ne_u32_e32 vcc, 8, v0
	s_and_saveexec_b64 s[34:35], vcc
	s_cbranch_execz .LBB74_239
; %bb.224:
	v_cmp_eq_u32_e32 vcc, 1, v28
	s_waitcnt vmcnt(1)
	v_cndmask_b32_e32 v26, v3, v5, vcc
	v_cmp_eq_u32_e64 s[12:13], 2, v28
	v_cndmask_b32_e64 v26, v26, v7, s[12:13]
	v_cmp_eq_u32_e64 s[14:15], 3, v28
	v_cndmask_b32_e64 v26, v26, v9, s[14:15]
	;; [unrolled: 2-line block ×8, first 2 shown]
	v_cmp_eq_u32_e64 s[28:29], 10, v28
	s_waitcnt vmcnt(0)
	v_cndmask_b32_e64 v27, v26, v23, s[28:29]
	v_cndmask_b32_e32 v26, v2, v4, vcc
	v_cndmask_b32_e64 v26, v26, v6, s[12:13]
	v_cndmask_b32_e64 v26, v26, v8, s[14:15]
	;; [unrolled: 1-line block ×5, first 2 shown]
	ds_read_b64 v[28:29], v81 offset:8
	v_cndmask_b32_e64 v26, v26, v16, s[22:23]
	v_cndmask_b32_e64 v26, v26, v18, s[24:25]
	;; [unrolled: 1-line block ×4, first 2 shown]
	s_waitcnt lgkmcnt(0)
	v_fmac_f64_e32 v[24:25], v[26:27], v[28:29]
	s_and_saveexec_b64 s[28:29], s[8:9]
	s_cbranch_execz .LBB74_238
; %bb.225:
	v_add_u32_e32 v26, 2, v0
	v_cmp_eq_u32_e32 vcc, 1, v26
	v_cndmask_b32_e32 v27, v3, v5, vcc
	v_cmp_eq_u32_e64 s[8:9], 2, v26
	v_cmp_eq_u32_e64 s[12:13], 3, v26
	;; [unrolled: 1-line block ×9, first 2 shown]
	v_cndmask_b32_e32 v26, v2, v4, vcc
	v_cndmask_b32_e64 v27, v27, v7, s[8:9]
	v_cndmask_b32_e64 v26, v26, v6, s[8:9]
	;; [unrolled: 1-line block ×10, first 2 shown]
	ds_read_b64 v[28:29], v81 offset:16
	v_cndmask_b32_e64 v27, v27, v17, s[20:21]
	v_cndmask_b32_e64 v26, v26, v16, s[20:21]
	;; [unrolled: 1-line block ×8, first 2 shown]
	s_waitcnt lgkmcnt(0)
	v_fmac_f64_e32 v[24:25], v[26:27], v[28:29]
	v_cmp_ne_u32_e32 vcc, 6, v0
	s_and_saveexec_b64 s[36:37], vcc
	s_cbranch_execz .LBB74_237
; %bb.226:
	v_add_u32_e32 v26, 3, v0
	v_cmp_eq_u32_e32 vcc, 1, v26
	v_cndmask_b32_e32 v27, v3, v5, vcc
	v_cmp_eq_u32_e64 s[8:9], 2, v26
	v_cmp_eq_u32_e64 s[12:13], 3, v26
	;; [unrolled: 1-line block ×9, first 2 shown]
	v_cndmask_b32_e32 v26, v2, v4, vcc
	v_cndmask_b32_e64 v27, v27, v7, s[8:9]
	v_cndmask_b32_e64 v26, v26, v6, s[8:9]
	;; [unrolled: 1-line block ×10, first 2 shown]
	ds_read_b64 v[28:29], v81 offset:24
	v_cndmask_b32_e64 v27, v27, v17, s[20:21]
	v_cndmask_b32_e64 v26, v26, v16, s[20:21]
	;; [unrolled: 1-line block ×8, first 2 shown]
	s_waitcnt lgkmcnt(0)
	v_fmac_f64_e32 v[24:25], v[26:27], v[28:29]
	s_and_saveexec_b64 s[26:27], s[6:7]
	s_cbranch_execz .LBB74_236
; %bb.227:
	v_add_u32_e32 v26, 4, v0
	v_cmp_eq_u32_e32 vcc, 1, v26
	v_cndmask_b32_e32 v27, v3, v5, vcc
	v_cmp_eq_u32_e64 s[6:7], 2, v26
	v_cmp_eq_u32_e64 s[8:9], 3, v26
	;; [unrolled: 1-line block ×9, first 2 shown]
	v_cndmask_b32_e32 v26, v2, v4, vcc
	v_cndmask_b32_e64 v27, v27, v7, s[6:7]
	v_cndmask_b32_e64 v26, v26, v6, s[6:7]
	v_cndmask_b32_e64 v27, v27, v9, s[8:9]
	v_cndmask_b32_e64 v26, v26, v8, s[8:9]
	v_cndmask_b32_e64 v27, v27, v11, s[12:13]
	v_cndmask_b32_e64 v26, v26, v10, s[12:13]
	v_cndmask_b32_e64 v27, v27, v13, s[14:15]
	v_cndmask_b32_e64 v26, v26, v12, s[14:15]
	v_cndmask_b32_e64 v27, v27, v15, s[16:17]
	v_cndmask_b32_e64 v26, v26, v14, s[16:17]
	ds_read_b64 v[28:29], v81 offset:32
	v_cndmask_b32_e64 v27, v27, v17, s[18:19]
	v_cndmask_b32_e64 v26, v26, v16, s[18:19]
	;; [unrolled: 1-line block ×8, first 2 shown]
	s_waitcnt lgkmcnt(0)
	v_fmac_f64_e32 v[24:25], v[26:27], v[28:29]
	v_cmp_ne_u32_e32 vcc, 4, v0
	s_and_saveexec_b64 s[38:39], vcc
	s_cbranch_execz .LBB74_235
; %bb.228:
	v_add_u32_e32 v26, 5, v0
	v_cmp_eq_u32_e32 vcc, 1, v26
	v_cndmask_b32_e32 v27, v3, v5, vcc
	v_cmp_eq_u32_e64 s[6:7], 2, v26
	v_cmp_eq_u32_e64 s[8:9], 3, v26
	;; [unrolled: 1-line block ×9, first 2 shown]
	v_cndmask_b32_e32 v26, v2, v4, vcc
	v_cndmask_b32_e64 v27, v27, v7, s[6:7]
	v_cndmask_b32_e64 v26, v26, v6, s[6:7]
	;; [unrolled: 1-line block ×10, first 2 shown]
	ds_read_b64 v[28:29], v81 offset:40
	v_cndmask_b32_e64 v27, v27, v17, s[18:19]
	v_cndmask_b32_e64 v26, v26, v16, s[18:19]
	;; [unrolled: 1-line block ×8, first 2 shown]
	s_waitcnt lgkmcnt(0)
	v_fmac_f64_e32 v[24:25], v[26:27], v[28:29]
	s_and_saveexec_b64 s[24:25], s[4:5]
	s_cbranch_execz .LBB74_234
; %bb.229:
	v_add_u32_e32 v26, 6, v0
	v_cmp_eq_u32_e32 vcc, 1, v26
	v_cndmask_b32_e32 v27, v3, v5, vcc
	v_cmp_eq_u32_e64 s[4:5], 2, v26
	v_cmp_eq_u32_e64 s[6:7], 3, v26
	;; [unrolled: 1-line block ×9, first 2 shown]
	v_cndmask_b32_e32 v26, v2, v4, vcc
	v_cndmask_b32_e64 v27, v27, v7, s[4:5]
	v_cndmask_b32_e64 v26, v26, v6, s[4:5]
	;; [unrolled: 1-line block ×10, first 2 shown]
	ds_read_b64 v[28:29], v81 offset:48
	v_cndmask_b32_e64 v27, v27, v17, s[16:17]
	v_cndmask_b32_e64 v26, v26, v16, s[16:17]
	;; [unrolled: 1-line block ×8, first 2 shown]
	s_waitcnt lgkmcnt(0)
	v_fmac_f64_e32 v[24:25], v[26:27], v[28:29]
	v_cmp_ne_u32_e32 vcc, 2, v0
	s_and_saveexec_b64 s[40:41], vcc
	s_cbranch_execz .LBB74_233
; %bb.230:
	v_add_u32_e32 v26, 7, v0
	v_cmp_eq_u32_e32 vcc, 1, v26
	v_cndmask_b32_e32 v27, v3, v5, vcc
	v_cmp_eq_u32_e64 s[4:5], 2, v26
	v_cndmask_b32_e64 v27, v27, v7, s[4:5]
	v_cmp_eq_u32_e64 s[6:7], 3, v26
	v_cndmask_b32_e64 v27, v27, v9, s[6:7]
	;; [unrolled: 2-line block ×3, first 2 shown]
	v_cmp_eq_u32_e64 s[12:13], 5, v26
	v_cmp_eq_u32_e64 s[14:15], 6, v26
	;; [unrolled: 1-line block ×6, first 2 shown]
	v_cndmask_b32_e32 v26, v2, v4, vcc
	v_cndmask_b32_e64 v27, v27, v13, s[12:13]
	v_cndmask_b32_e64 v26, v26, v6, s[4:5]
	;; [unrolled: 1-line block ×10, first 2 shown]
	ds_read_b64 v[26:27], v81 offset:56
	v_cndmask_b32_e64 v28, v28, v16, s[16:17]
	v_cndmask_b32_e64 v28, v28, v18, s[18:19]
	v_cndmask_b32_e64 v20, v28, v20, s[20:21]
	v_cndmask_b32_e64 v21, v21, v23, s[22:23]
	v_cndmask_b32_e64 v20, v20, v22, s[22:23]
	s_waitcnt lgkmcnt(0)
	v_fmac_f64_e32 v[24:25], v[20:21], v[26:27]
	s_and_saveexec_b64 s[4:5], s[0:1]
	s_cbranch_execz .LBB74_232
; %bb.231:
	ds_read_b64 v[20:21], v81 offset:64
	s_waitcnt lgkmcnt(0)
	v_fmac_f64_e32 v[24:25], v[18:19], v[20:21]
.LBB74_232:
	s_or_b64 exec, exec, s[4:5]
.LBB74_233:
	s_or_b64 exec, exec, s[40:41]
.LBB74_234:
	s_or_b64 exec, exec, s[24:25]
.LBB74_235:
	s_or_b64 exec, exec, s[38:39]
.LBB74_236:
	s_or_b64 exec, exec, s[26:27]
.LBB74_237:
	s_or_b64 exec, exec, s[36:37]
.LBB74_238:
	s_or_b64 exec, exec, s[28:29]
.LBB74_239:
	s_or_b64 exec, exec, s[34:35]
	v_mov_b32_e32 v20, 0
	ds_read_b64 v[20:21], v20 offset:72
	s_waitcnt lgkmcnt(0)
	v_mul_f64 v[20:21], v[24:25], v[20:21]
.LBB74_240:
	s_or_b64 exec, exec, s[30:31]
	v_cmp_ne_u32_e32 vcc, 10, v0
	s_waitcnt vmcnt(0)
	ds_write_b64 v81, v[22:23]
	s_waitcnt lgkmcnt(0)
	; wave barrier
	s_waitcnt lgkmcnt(0)
	s_and_saveexec_b64 s[20:21], vcc
	s_cbranch_execz .LBB74_250
; %bb.241:
	s_and_b64 vcc, exec, s[2:3]
	s_cbranch_vccnz .LBB74_243
; %bb.242:
	v_cmp_eq_u32_e32 vcc, 1, v0
	v_cndmask_b32_e32 v24, v3, v5, vcc
	v_cmp_eq_u32_e64 s[0:1], 2, v0
	v_cndmask_b32_e64 v24, v24, v7, s[0:1]
	v_cmp_eq_u32_e64 s[2:3], 3, v0
	v_cndmask_b32_e64 v24, v24, v9, s[2:3]
	;; [unrolled: 2-line block ×9, first 2 shown]
	v_cndmask_b32_e32 v24, v2, v4, vcc
	v_cndmask_b32_e64 v24, v24, v6, s[0:1]
	v_cndmask_b32_e64 v24, v24, v8, s[2:3]
	;; [unrolled: 1-line block ×5, first 2 shown]
	ds_read_b64 v[26:27], v81
	v_cndmask_b32_e64 v24, v24, v16, s[12:13]
	v_cndmask_b32_e64 v24, v24, v18, s[14:15]
	;; [unrolled: 1-line block ×4, first 2 shown]
	s_waitcnt lgkmcnt(0)
	v_mul_f64 v[24:25], v[24:25], v[26:27]
	s_cbranch_execz .LBB74_244
	s_branch .LBB74_245
.LBB74_243:
                                        ; implicit-def: $vgpr24_vgpr25
.LBB74_244:
	ds_read_b64 v[24:25], v81
.LBB74_245:
	s_and_saveexec_b64 s[4:5], s[10:11]
	s_cbranch_execz .LBB74_249
; %bb.246:
	v_mov_b32_e32 v26, 0x68
	v_lshl_add_u32 v26, v0, 3, v26
	s_mov_b64 s[6:7], 0
.LBB74_247:                             ; =>This Inner Loop Header: Depth=1
	v_add_co_u32_e32 v0, vcc, 1, v0
	v_addc_co_u32_e32 v1, vcc, 0, v1, vcc
	v_cmp_eq_u32_e32 vcc, 1, v0
	v_cndmask_b32_e32 v27, v3, v5, vcc
	v_cmp_eq_u32_e64 s[2:3], 2, v0
	v_cmp_lt_u32_e64 s[0:1], 8, v0
	v_cndmask_b32_e64 v27, v27, v7, s[2:3]
	v_cndmask_b32_e32 v30, v2, v4, vcc
	v_cmp_eq_u32_e32 vcc, 3, v0
	s_or_b64 s[6:7], s[0:1], s[6:7]
	v_cndmask_b32_e32 v27, v27, v9, vcc
	v_cndmask_b32_e64 v30, v30, v6, s[2:3]
	v_cmp_eq_u32_e64 s[0:1], 4, v0
	v_cndmask_b32_e64 v27, v27, v11, s[0:1]
	v_cndmask_b32_e32 v30, v30, v8, vcc
	v_cmp_eq_u32_e32 vcc, 5, v0
	v_cndmask_b32_e32 v27, v27, v13, vcc
	v_cndmask_b32_e64 v30, v30, v10, s[0:1]
	v_cmp_eq_u32_e64 s[0:1], 6, v0
	v_cndmask_b32_e64 v27, v27, v15, s[0:1]
	v_cndmask_b32_e32 v30, v30, v12, vcc
	v_cmp_eq_u32_e32 vcc, 7, v0
	ds_read_b64 v[28:29], v26
	v_cndmask_b32_e32 v27, v27, v17, vcc
	v_cndmask_b32_e64 v30, v30, v14, s[0:1]
	v_cmp_eq_u32_e64 s[0:1], 8, v0
	v_cndmask_b32_e64 v27, v27, v19, s[0:1]
	v_cndmask_b32_e32 v30, v30, v16, vcc
	v_cmp_eq_u32_e32 vcc, 9, v0
	v_cndmask_b32_e32 v27, v27, v21, vcc
	v_cndmask_b32_e64 v30, v30, v18, s[0:1]
	v_cmp_eq_u32_e64 s[0:1], 10, v0
	v_cndmask_b32_e64 v31, v27, v23, s[0:1]
	v_cndmask_b32_e32 v27, v30, v20, vcc
	v_cndmask_b32_e64 v30, v27, v22, s[0:1]
	v_add_u32_e32 v26, 8, v26
	s_waitcnt lgkmcnt(0)
	v_fmac_f64_e32 v[24:25], v[30:31], v[28:29]
	s_andn2_b64 exec, exec, s[6:7]
	s_cbranch_execnz .LBB74_247
; %bb.248:
	s_or_b64 exec, exec, s[6:7]
.LBB74_249:
	s_or_b64 exec, exec, s[4:5]
	v_mov_b32_e32 v0, 0
	ds_read_b64 v[0:1], v0 offset:80
	s_waitcnt lgkmcnt(0)
	v_mul_f64 v[22:23], v[24:25], v[0:1]
.LBB74_250:
	s_or_b64 exec, exec, s[20:21]
	v_pk_mov_b32 v[54:55], v[32:33], v[32:33] op_sel:[0,1]
	v_pk_mov_b32 v[52:53], v[30:31], v[30:31] op_sel:[0,1]
	;; [unrolled: 1-line block ×16, first 2 shown]
.LBB74_251:
	global_store_dwordx2 v[56:57], v[24:25], off
	global_store_dwordx2 v[58:59], v[26:27], off
	;; [unrolled: 1-line block ×11, first 2 shown]
.LBB74_252:
	s_endpgm
	.section	.rodata,"a",@progbits
	.p2align	6, 0x0
	.amdhsa_kernel _ZN9rocsolver6v33100L18trti2_kernel_smallILi11EdPKPdEEv13rocblas_fill_17rocblas_diagonal_T1_iil
		.amdhsa_group_segment_fixed_size 184
		.amdhsa_private_segment_fixed_size 0
		.amdhsa_kernarg_size 32
		.amdhsa_user_sgpr_count 6
		.amdhsa_user_sgpr_private_segment_buffer 1
		.amdhsa_user_sgpr_dispatch_ptr 0
		.amdhsa_user_sgpr_queue_ptr 0
		.amdhsa_user_sgpr_kernarg_segment_ptr 1
		.amdhsa_user_sgpr_dispatch_id 0
		.amdhsa_user_sgpr_flat_scratch_init 0
		.amdhsa_user_sgpr_kernarg_preload_length 0
		.amdhsa_user_sgpr_kernarg_preload_offset 0
		.amdhsa_user_sgpr_private_segment_size 0
		.amdhsa_uses_dynamic_stack 0
		.amdhsa_system_sgpr_private_segment_wavefront_offset 0
		.amdhsa_system_sgpr_workgroup_id_x 1
		.amdhsa_system_sgpr_workgroup_id_y 0
		.amdhsa_system_sgpr_workgroup_id_z 0
		.amdhsa_system_sgpr_workgroup_info 0
		.amdhsa_system_vgpr_workitem_id 0
		.amdhsa_next_free_vgpr 106
		.amdhsa_next_free_sgpr 42
		.amdhsa_accum_offset 108
		.amdhsa_reserve_vcc 1
		.amdhsa_reserve_flat_scratch 0
		.amdhsa_float_round_mode_32 0
		.amdhsa_float_round_mode_16_64 0
		.amdhsa_float_denorm_mode_32 3
		.amdhsa_float_denorm_mode_16_64 3
		.amdhsa_dx10_clamp 1
		.amdhsa_ieee_mode 1
		.amdhsa_fp16_overflow 0
		.amdhsa_tg_split 0
		.amdhsa_exception_fp_ieee_invalid_op 0
		.amdhsa_exception_fp_denorm_src 0
		.amdhsa_exception_fp_ieee_div_zero 0
		.amdhsa_exception_fp_ieee_overflow 0
		.amdhsa_exception_fp_ieee_underflow 0
		.amdhsa_exception_fp_ieee_inexact 0
		.amdhsa_exception_int_div_zero 0
	.end_amdhsa_kernel
	.section	.text._ZN9rocsolver6v33100L18trti2_kernel_smallILi11EdPKPdEEv13rocblas_fill_17rocblas_diagonal_T1_iil,"axG",@progbits,_ZN9rocsolver6v33100L18trti2_kernel_smallILi11EdPKPdEEv13rocblas_fill_17rocblas_diagonal_T1_iil,comdat
.Lfunc_end74:
	.size	_ZN9rocsolver6v33100L18trti2_kernel_smallILi11EdPKPdEEv13rocblas_fill_17rocblas_diagonal_T1_iil, .Lfunc_end74-_ZN9rocsolver6v33100L18trti2_kernel_smallILi11EdPKPdEEv13rocblas_fill_17rocblas_diagonal_T1_iil
                                        ; -- End function
	.section	.AMDGPU.csdata,"",@progbits
; Kernel info:
; codeLenInByte = 18160
; NumSgprs: 46
; NumVgprs: 106
; NumAgprs: 0
; TotalNumVgprs: 106
; ScratchSize: 0
; MemoryBound: 0
; FloatMode: 240
; IeeeMode: 1
; LDSByteSize: 184 bytes/workgroup (compile time only)
; SGPRBlocks: 5
; VGPRBlocks: 13
; NumSGPRsForWavesPerEU: 46
; NumVGPRsForWavesPerEU: 106
; AccumOffset: 108
; Occupancy: 4
; WaveLimiterHint : 1
; COMPUTE_PGM_RSRC2:SCRATCH_EN: 0
; COMPUTE_PGM_RSRC2:USER_SGPR: 6
; COMPUTE_PGM_RSRC2:TRAP_HANDLER: 0
; COMPUTE_PGM_RSRC2:TGID_X_EN: 1
; COMPUTE_PGM_RSRC2:TGID_Y_EN: 0
; COMPUTE_PGM_RSRC2:TGID_Z_EN: 0
; COMPUTE_PGM_RSRC2:TIDIG_COMP_CNT: 0
; COMPUTE_PGM_RSRC3_GFX90A:ACCUM_OFFSET: 26
; COMPUTE_PGM_RSRC3_GFX90A:TG_SPLIT: 0
	.section	.text._ZN9rocsolver6v33100L18trti2_kernel_smallILi12EdPKPdEEv13rocblas_fill_17rocblas_diagonal_T1_iil,"axG",@progbits,_ZN9rocsolver6v33100L18trti2_kernel_smallILi12EdPKPdEEv13rocblas_fill_17rocblas_diagonal_T1_iil,comdat
	.globl	_ZN9rocsolver6v33100L18trti2_kernel_smallILi12EdPKPdEEv13rocblas_fill_17rocblas_diagonal_T1_iil ; -- Begin function _ZN9rocsolver6v33100L18trti2_kernel_smallILi12EdPKPdEEv13rocblas_fill_17rocblas_diagonal_T1_iil
	.p2align	8
	.type	_ZN9rocsolver6v33100L18trti2_kernel_smallILi12EdPKPdEEv13rocblas_fill_17rocblas_diagonal_T1_iil,@function
_ZN9rocsolver6v33100L18trti2_kernel_smallILi12EdPKPdEEv13rocblas_fill_17rocblas_diagonal_T1_iil: ; @_ZN9rocsolver6v33100L18trti2_kernel_smallILi12EdPKPdEEv13rocblas_fill_17rocblas_diagonal_T1_iil
; %bb.0:
	v_cmp_gt_u32_e32 vcc, 12, v0
	s_and_saveexec_b64 s[0:1], vcc
	s_cbranch_execz .LBB75_278
; %bb.1:
	s_load_dwordx2 s[0:1], s[4:5], 0x10
	s_load_dwordx4 s[24:27], s[4:5], 0x0
	s_ashr_i32 s7, s6, 31
	s_lshl_b64 s[2:3], s[6:7], 3
	v_lshlrev_b32_e32 v28, 3, v0
	s_waitcnt lgkmcnt(0)
	s_ashr_i32 s5, s0, 31
	s_add_u32 s2, s26, s2
	s_addc_u32 s3, s27, s3
	s_load_dwordx2 s[2:3], s[2:3], 0x0
	s_mov_b32 s4, s0
	s_lshl_b64 s[4:5], s[4:5], 3
	v_mov_b32_e32 v26, 0
	v_mov_b32_e32 v27, 0xbff00000
	s_waitcnt lgkmcnt(0)
	s_add_u32 s2, s2, s4
	s_addc_u32 s3, s3, s5
	v_mov_b32_e32 v1, s3
	v_add_co_u32_e32 v58, vcc, s2, v28
	s_ashr_i32 s5, s1, 31
	s_mov_b32 s4, s1
	s_add_i32 s0, s1, s1
	v_addc_co_u32_e32 v59, vcc, 0, v1, vcc
	s_lshl_b64 s[4:5], s[4:5], 3
	v_add_u32_e32 v2, s0, v0
	v_mov_b32_e32 v1, s5
	v_add_co_u32_e32 v60, vcc, s4, v58
	v_ashrrev_i32_e32 v3, 31, v2
	v_addc_co_u32_e32 v61, vcc, v59, v1, vcc
	v_lshlrev_b64 v[4:5], 3, v[2:3]
	v_add_u32_e32 v2, s1, v2
	v_mov_b32_e32 v1, s3
	v_add_co_u32_e32 v62, vcc, s2, v4
	v_ashrrev_i32_e32 v3, 31, v2
	v_addc_co_u32_e32 v63, vcc, v1, v5, vcc
	v_lshlrev_b64 v[4:5], 3, v[2:3]
	v_add_u32_e32 v2, s1, v2
	v_add_co_u32_e32 v64, vcc, s2, v4
	v_ashrrev_i32_e32 v3, 31, v2
	v_addc_co_u32_e32 v65, vcc, v1, v5, vcc
	v_lshlrev_b64 v[4:5], 3, v[2:3]
	v_add_u32_e32 v2, s1, v2
	;; [unrolled: 5-line block ×8, first 2 shown]
	v_add_co_u32_e32 v78, vcc, s2, v4
	v_ashrrev_i32_e32 v3, 31, v2
	v_addc_co_u32_e32 v79, vcc, v1, v5, vcc
	v_lshlrev_b64 v[2:3], 3, v[2:3]
	v_add_co_u32_e32 v80, vcc, s2, v2
	v_addc_co_u32_e32 v81, vcc, v1, v3, vcc
	global_load_dwordx2 v[4:5], v[60:61], off
	global_load_dwordx2 v[6:7], v[62:63], off
	;; [unrolled: 1-line block ×10, first 2 shown]
	global_load_dwordx2 v[2:3], v28, s[2:3]
	global_load_dwordx2 v[24:25], v[80:81], off
	s_cmpk_lg_i32 s25, 0x84
	v_mov_b32_e32 v1, 0
	s_cselect_b64 s[26:27], -1, 0
	s_cmpk_eq_i32 s25, 0x84
	v_cmp_eq_u32_e64 s[0:1], 0, v0
	s_cbranch_scc1 .LBB75_3
; %bb.2:
	v_cmp_eq_u32_e64 s[2:3], 1, v0
	s_waitcnt vmcnt(1)
	v_cndmask_b32_e64 v26, v3, v5, s[2:3]
	v_cmp_eq_u32_e64 s[4:5], 2, v0
	v_cndmask_b32_e64 v26, v26, v7, s[4:5]
	v_cmp_eq_u32_e64 s[6:7], 3, v0
	;; [unrolled: 2-line block ×10, first 2 shown]
	s_waitcnt vmcnt(0)
	v_cndmask_b32_e64 v27, v26, v25, s[22:23]
	v_cndmask_b32_e64 v26, v2, v4, s[2:3]
	v_cndmask_b32_e64 v26, v26, v6, s[4:5]
	v_cndmask_b32_e64 v26, v26, v8, s[6:7]
	v_cndmask_b32_e64 v26, v26, v10, s[8:9]
	v_cndmask_b32_e64 v26, v26, v12, s[10:11]
	v_cndmask_b32_e64 v26, v26, v14, s[12:13]
	v_cndmask_b32_e64 v26, v26, v16, s[14:15]
	v_cndmask_b32_e64 v26, v26, v18, s[16:17]
	v_cndmask_b32_e64 v26, v26, v20, s[18:19]
	v_cndmask_b32_e64 v26, v26, v22, s[20:21]
	v_cndmask_b32_e64 v26, v26, v24, s[22:23]
	v_div_scale_f64 v[30:31], s[28:29], v[26:27], v[26:27], 1.0
	v_rcp_f64_e32 v[32:33], v[30:31]
	v_fma_f64 v[34:35], -v[30:31], v[32:33], 1.0
	v_fmac_f64_e32 v[32:33], v[32:33], v[34:35]
	v_fma_f64 v[34:35], -v[30:31], v[32:33], 1.0
	v_fmac_f64_e32 v[32:33], v[32:33], v[34:35]
	v_div_scale_f64 v[34:35], vcc, 1.0, v[26:27], 1.0
	v_mul_f64 v[36:37], v[34:35], v[32:33]
	v_fma_f64 v[30:31], -v[30:31], v[36:37], v[34:35]
	s_nop 1
	v_div_fmas_f64 v[30:31], v[30:31], v[32:33], v[36:37]
	v_div_fixup_f64 v[26:27], v[30:31], v[26:27], 1.0
	v_cndmask_b32_e64 v25, v25, v27, s[22:23]
	v_cndmask_b32_e64 v24, v24, v26, s[22:23]
	;; [unrolled: 1-line block ×24, first 2 shown]
	v_xor_b32_e32 v27, 0x80000000, v27
.LBB75_3:
	s_cmpk_eq_i32 s24, 0x79
	v_add_u32_e32 v85, 0x60, v28
	ds_write_b64 v28, v[26:27]
	s_cbranch_scc1 .LBB75_7
; %bb.4:
	s_waitcnt vmcnt(0)
	v_pk_mov_b32 v[56:57], v[32:33], v[32:33] op_sel:[0,1]
	v_cmp_eq_u32_e64 s[0:1], 11, v0
	v_pk_mov_b32 v[54:55], v[30:31], v[30:31] op_sel:[0,1]
	v_pk_mov_b32 v[52:53], v[28:29], v[28:29] op_sel:[0,1]
	;; [unrolled: 1-line block ×15, first 2 shown]
	ds_write_b64 v85, v[22:23]
	s_waitcnt lgkmcnt(0)
	; wave barrier
	s_waitcnt lgkmcnt(0)
	s_and_saveexec_b64 s[22:23], s[0:1]
	s_cbranch_execz .LBB75_11
; %bb.5:
	s_and_b64 vcc, exec, s[26:27]
	s_cbranch_vccz .LBB75_8
; %bb.6:
	v_cmp_eq_u32_e32 vcc, 1, v0
	v_cndmask_b32_e32 v26, v3, v5, vcc
	v_cmp_eq_u32_e64 s[2:3], 2, v0
	v_cndmask_b32_e64 v26, v26, v7, s[2:3]
	v_cmp_eq_u32_e64 s[4:5], 3, v0
	v_cndmask_b32_e64 v26, v26, v9, s[4:5]
	;; [unrolled: 2-line block ×10, first 2 shown]
	v_cndmask_b32_e32 v26, v2, v4, vcc
	v_cndmask_b32_e64 v26, v26, v6, s[2:3]
	v_cndmask_b32_e64 v26, v26, v8, s[4:5]
	;; [unrolled: 1-line block ×6, first 2 shown]
	ds_read_b64 v[28:29], v85
	v_cndmask_b32_e64 v26, v26, v18, s[14:15]
	v_cndmask_b32_e64 v26, v26, v20, s[16:17]
	;; [unrolled: 1-line block ×4, first 2 shown]
	s_waitcnt lgkmcnt(0)
	v_mul_f64 v[30:31], v[26:27], v[28:29]
	s_cbranch_execz .LBB75_9
	s_branch .LBB75_10
.LBB75_7:
                                        ; implicit-def: $vgpr26_vgpr27_vgpr28_vgpr29_vgpr30_vgpr31_vgpr32_vgpr33_vgpr34_vgpr35_vgpr36_vgpr37_vgpr38_vgpr39_vgpr40_vgpr41_vgpr42_vgpr43_vgpr44_vgpr45_vgpr46_vgpr47_vgpr48_vgpr49_vgpr50_vgpr51_vgpr52_vgpr53_vgpr54_vgpr55_vgpr56_vgpr57
	s_cbranch_execnz .LBB75_162
	s_branch .LBB75_277
.LBB75_8:
                                        ; implicit-def: $vgpr30_vgpr31
.LBB75_9:
	ds_read_b64 v[30:31], v85
.LBB75_10:
	v_mov_b32_e32 v26, 0
	ds_read_b64 v[32:33], v26 offset:80
	v_mov_b32_e32 v26, v2
	v_mov_b32_e32 v27, v3
	v_mov_b32_e32 v28, v4
	v_mov_b32_e32 v29, v5
	s_waitcnt lgkmcnt(0)
	v_mul_f64 v[46:47], v[30:31], v[32:33]
	v_mov_b32_e32 v30, v6
	v_mov_b32_e32 v31, v7
	;; [unrolled: 1-line block ×18, first 2 shown]
.LBB75_11:
	s_or_b64 exec, exec, s[22:23]
	v_cmp_lt_u32_e64 s[2:3], 9, v0
	ds_write_b64 v85, v[44:45]
	s_waitcnt lgkmcnt(0)
	; wave barrier
	s_waitcnt lgkmcnt(0)
	s_and_saveexec_b64 s[24:25], s[2:3]
	s_cbranch_execz .LBB75_17
; %bb.12:
	s_andn2_b64 vcc, exec, s[26:27]
	s_cbranch_vccnz .LBB75_14
; %bb.13:
	v_cmp_eq_u32_e32 vcc, 1, v0
	v_cndmask_b32_e32 v50, v27, v29, vcc
	v_cmp_eq_u32_e64 s[4:5], 2, v0
	v_cndmask_b32_e64 v50, v50, v31, s[4:5]
	v_cmp_eq_u32_e64 s[6:7], 3, v0
	v_cndmask_b32_e64 v50, v50, v33, s[6:7]
	;; [unrolled: 2-line block ×8, first 2 shown]
	v_cndmask_b32_e32 v50, v26, v28, vcc
	v_cndmask_b32_e64 v50, v50, v30, s[4:5]
	v_cndmask_b32_e64 v50, v50, v32, s[6:7]
	;; [unrolled: 1-line block ×6, first 2 shown]
	ds_read_b64 v[50:51], v85
	v_cndmask_b32_e64 v52, v52, v42, s[16:17]
	v_cmp_eq_u32_e64 s[20:21], 10, v0
	v_cndmask_b32_e64 v44, v52, v44, s[18:19]
	v_cndmask_b32_e64 v45, v45, v47, s[20:21]
	v_cmp_eq_u32_e64 s[22:23], 11, v0
	v_cndmask_b32_e64 v44, v44, v46, s[20:21]
	v_cndmask_b32_e64 v45, v45, v49, s[22:23]
	v_cndmask_b32_e64 v44, v44, v48, s[22:23]
	s_waitcnt lgkmcnt(0)
	v_mul_f64 v[44:45], v[44:45], v[50:51]
	s_cbranch_execz .LBB75_15
	s_branch .LBB75_16
.LBB75_14:
                                        ; implicit-def: $vgpr44_vgpr45
.LBB75_15:
	ds_read_b64 v[44:45], v85
.LBB75_16:
	v_mov_b32_e32 v50, 0
	ds_read2_b64 v[50:53], v50 offset0:9 offset1:22
	s_waitcnt lgkmcnt(0)
	v_fma_f64 v[52:53], v[46:47], v[52:53], v[44:45]
	v_cndmask_b32_e64 v45, v45, v53, s[0:1]
	v_cndmask_b32_e64 v44, v44, v52, s[0:1]
	v_mul_f64 v[44:45], v[44:45], v[50:51]
.LBB75_17:
	s_or_b64 exec, exec, s[24:25]
	v_cmp_lt_u32_e64 s[0:1], 8, v0
	ds_write_b64 v85, v[42:43]
	s_waitcnt lgkmcnt(0)
	; wave barrier
	s_waitcnt lgkmcnt(0)
	s_and_saveexec_b64 s[24:25], s[0:1]
	s_cbranch_execz .LBB75_33
; %bb.18:
	s_andn2_b64 vcc, exec, s[26:27]
	s_cbranch_vccnz .LBB75_20
; %bb.19:
	v_cmp_eq_u32_e32 vcc, 1, v0
	v_cndmask_b32_e32 v82, v27, v29, vcc
	v_cmp_eq_u32_e64 s[4:5], 2, v0
	v_cndmask_b32_e64 v82, v82, v31, s[4:5]
	v_cmp_eq_u32_e64 s[6:7], 3, v0
	v_cndmask_b32_e64 v82, v82, v33, s[6:7]
	;; [unrolled: 2-line block ×10, first 2 shown]
	v_cndmask_b32_e32 v82, v26, v28, vcc
	v_cndmask_b32_e64 v82, v82, v30, s[4:5]
	v_cndmask_b32_e64 v82, v82, v32, s[6:7]
	;; [unrolled: 1-line block ×6, first 2 shown]
	ds_read_b64 v[86:87], v85
	v_cndmask_b32_e64 v82, v82, v42, s[16:17]
	v_cndmask_b32_e64 v82, v82, v44, s[18:19]
	;; [unrolled: 1-line block ×4, first 2 shown]
	s_waitcnt lgkmcnt(0)
	v_mul_f64 v[82:83], v[82:83], v[86:87]
	s_cbranch_execz .LBB75_21
	s_branch .LBB75_22
.LBB75_20:
                                        ; implicit-def: $vgpr82_vgpr83
.LBB75_21:
	ds_read_b64 v[82:83], v85
.LBB75_22:
	s_and_saveexec_b64 s[6:7], s[2:3]
	s_cbranch_execz .LBB75_32
; %bb.23:
	v_add_u32_e32 v84, -10, v0
	v_add_u32_e32 v87, -9, v0
	v_cmp_lt_u32_e32 vcc, 6, v84
	v_mov_b32_e32 v84, 9
	s_and_saveexec_b64 s[2:3], vcc
	s_cbranch_execz .LBB75_27
; %bb.24:
	v_and_b32_e32 v84, -8, v87
	v_sub_u32_e32 v86, 0, v84
	s_mov_b64 s[4:5], 16
	s_movk_i32 s10, 0xa8
	s_mov_b64 s[8:9], 0
.LBB75_25:                              ; =>This Inner Loop Header: Depth=1
	s_lshl_b32 s11, s4, 1
	s_add_i32 s12, s11, -13
	v_mov_b32_e32 v102, s10
	s_add_i32 s13, s11, -14
	s_set_gpr_idx_on s12, gpr_idx(SRC0)
	v_mov_b32_e32 v97, v26
	s_set_gpr_idx_off
	s_add_i32 s14, s11, -11
	s_set_gpr_idx_on s13, gpr_idx(SRC0)
	v_mov_b32_e32 v96, v26
	s_set_gpr_idx_off
	ds_read2_b64 v[88:91], v102 offset1:1
	s_add_i32 s15, s11, -12
	s_set_gpr_idx_on s14, gpr_idx(SRC0)
	v_mov_b32_e32 v99, v26
	s_set_gpr_idx_off
	s_add_i32 s16, s11, -9
	s_set_gpr_idx_on s15, gpr_idx(SRC0)
	v_mov_b32_e32 v98, v26
	s_set_gpr_idx_off
	;; [unrolled: 4-line block ×4, first 2 shown]
	ds_read2_b64 v[92:95], v102 offset0:2 offset1:3
	s_add_i32 s19, s11, -8
	s_waitcnt lgkmcnt(1)
	v_fmac_f64_e32 v[82:83], v[96:97], v[88:89]
	s_set_gpr_idx_on s18, gpr_idx(SRC0)
	v_mov_b32_e32 v97, v26
	s_set_gpr_idx_off
	s_add_i32 s20, s11, -5
	v_fmac_f64_e32 v[82:83], v[98:99], v[90:91]
	s_set_gpr_idx_on s19, gpr_idx(SRC0)
	v_mov_b32_e32 v96, v26
	s_set_gpr_idx_off
	s_add_i32 s21, s11, -6
	s_set_gpr_idx_on s20, gpr_idx(SRC0)
	v_mov_b32_e32 v99, v26
	s_set_gpr_idx_off
	s_add_i32 s22, s11, -3
	;; [unrolled: 4-line block ×3, first 2 shown]
	ds_read2_b64 v[88:91], v102 offset0:4 offset1:5
	s_waitcnt lgkmcnt(1)
	v_fmac_f64_e32 v[82:83], v[100:101], v[92:93]
	s_set_gpr_idx_on s22, gpr_idx(SRC0)
	v_mov_b32_e32 v101, v26
	s_set_gpr_idx_off
	s_add_i32 s28, s11, -1
	v_fmac_f64_e32 v[82:83], v[96:97], v[94:95]
	s_set_gpr_idx_on s23, gpr_idx(SRC0)
	v_mov_b32_e32 v100, v26
	s_set_gpr_idx_off
	s_add_i32 s29, s11, -2
	s_set_gpr_idx_on s28, gpr_idx(SRC0)
	v_mov_b32_e32 v97, v26
	s_set_gpr_idx_off
	s_set_gpr_idx_on s29, gpr_idx(SRC0)
	v_mov_b32_e32 v96, v26
	s_set_gpr_idx_off
	ds_read2_b64 v[92:95], v102 offset0:6 offset1:7
	s_add_u32 s4, s4, 8
	s_waitcnt lgkmcnt(1)
	v_fmac_f64_e32 v[82:83], v[98:99], v[88:89]
	s_set_gpr_idx_on s11, gpr_idx(SRC0)
	v_mov_b32_e32 v89, v27
	s_set_gpr_idx_off
	v_add_u32_e32 v84, s4, v86
	v_fmac_f64_e32 v[82:83], v[100:101], v[90:91]
	s_set_gpr_idx_on s11, gpr_idx(SRC0)
	v_mov_b32_e32 v88, v26
	s_set_gpr_idx_off
	s_addc_u32 s5, s5, 0
	s_add_i32 s10, s10, 64
	s_add_i32 s12, s4, -7
	v_cmp_eq_u32_e32 vcc, 16, v84
	s_waitcnt lgkmcnt(0)
	v_fmac_f64_e32 v[82:83], v[96:97], v[92:93]
	v_mov_b32_e32 v84, s12
	s_or_b64 s[8:9], vcc, s[8:9]
	v_fmac_f64_e32 v[82:83], v[88:89], v[94:95]
	s_andn2_b64 exec, exec, s[8:9]
	s_cbranch_execnz .LBB75_25
; %bb.26:
	s_or_b64 exec, exec, s[8:9]
.LBB75_27:
	s_or_b64 exec, exec, s[2:3]
	v_and_b32_e32 v50, 7, v87
	v_cmp_ne_u32_e32 vcc, 0, v50
	s_and_saveexec_b64 s[8:9], vcc
	s_cbranch_execz .LBB75_31
; %bb.28:
	v_mov_b32_e32 v51, 0x60
	v_lshl_add_u32 v52, v84, 3, v51
	v_mov_b32_e32 v51, 0
	s_mov_b64 s[10:11], 0
.LBB75_29:                              ; =>This Inner Loop Header: Depth=1
	v_cmp_eq_u32_e32 vcc, 1, v84
	v_cndmask_b32_e32 v53, v27, v29, vcc
	v_add_u32_e32 v50, -1, v50
	v_cmp_eq_u32_e64 s[2:3], 2, v84
	v_cndmask_b32_e64 v53, v53, v31, s[2:3]
	v_cndmask_b32_e32 v56, v26, v28, vcc
	v_cmp_eq_u32_e32 vcc, 0, v50
	v_cmp_eq_u32_e64 s[4:5], 3, v84
	v_cndmask_b32_e64 v53, v53, v33, s[4:5]
	v_cndmask_b32_e64 v56, v56, v30, s[2:3]
	s_or_b64 s[10:11], vcc, s[10:11]
	v_cmp_eq_u32_e32 vcc, 4, v84
	v_cndmask_b32_e32 v53, v53, v35, vcc
	v_cndmask_b32_e64 v56, v56, v32, s[4:5]
	v_cmp_eq_u32_e64 s[2:3], 5, v84
	v_cndmask_b32_e64 v53, v53, v37, s[2:3]
	v_cndmask_b32_e32 v56, v56, v34, vcc
	v_cmp_eq_u32_e32 vcc, 6, v84
	v_cndmask_b32_e32 v53, v53, v39, vcc
	v_cndmask_b32_e64 v56, v56, v36, s[2:3]
	v_cmp_eq_u32_e64 s[2:3], 7, v84
	v_cndmask_b32_e64 v53, v53, v41, s[2:3]
	v_cndmask_b32_e32 v56, v56, v38, vcc
	v_cmp_eq_u32_e32 vcc, 8, v84
	ds_read_b64 v[54:55], v52
	v_cndmask_b32_e32 v53, v53, v43, vcc
	v_cndmask_b32_e64 v56, v56, v40, s[2:3]
	v_cmp_eq_u32_e64 s[2:3], 9, v84
	v_cndmask_b32_e64 v53, v53, v45, s[2:3]
	v_cndmask_b32_e32 v56, v56, v42, vcc
	v_cmp_eq_u32_e32 vcc, 10, v84
	v_cndmask_b32_e32 v53, v53, v47, vcc
	v_cmp_eq_u32_e64 s[4:5], 11, v84
	v_cndmask_b32_e64 v56, v56, v44, s[2:3]
	v_cndmask_b32_e64 v57, v53, v49, s[4:5]
	v_cndmask_b32_e32 v53, v56, v46, vcc
	v_add_co_u32_e64 v84, s[2:3], 1, v84
	v_cndmask_b32_e64 v56, v53, v48, s[4:5]
	v_add_u32_e32 v52, 8, v52
	v_addc_co_u32_e64 v51, s[2:3], 0, v51, s[2:3]
	s_waitcnt lgkmcnt(0)
	v_fmac_f64_e32 v[82:83], v[56:57], v[54:55]
	s_andn2_b64 exec, exec, s[10:11]
	s_cbranch_execnz .LBB75_29
; %bb.30:
	s_or_b64 exec, exec, s[10:11]
.LBB75_31:
	s_or_b64 exec, exec, s[8:9]
.LBB75_32:
	s_or_b64 exec, exec, s[6:7]
	v_mov_b32_e32 v42, 0
	ds_read_b64 v[42:43], v42 offset:64
	s_waitcnt lgkmcnt(0)
	v_mul_f64 v[42:43], v[82:83], v[42:43]
.LBB75_33:
	s_or_b64 exec, exec, s[24:25]
	v_cmp_lt_u32_e64 s[2:3], 7, v0
	ds_write_b64 v85, v[40:41]
	s_waitcnt lgkmcnt(0)
	; wave barrier
	s_waitcnt lgkmcnt(0)
	s_and_saveexec_b64 s[24:25], s[2:3]
	s_cbranch_execz .LBB75_49
; %bb.34:
	s_andn2_b64 vcc, exec, s[26:27]
	s_cbranch_vccnz .LBB75_36
; %bb.35:
	v_cmp_eq_u32_e32 vcc, 1, v0
	v_cndmask_b32_e32 v82, v27, v29, vcc
	v_cmp_eq_u32_e64 s[4:5], 2, v0
	v_cndmask_b32_e64 v82, v82, v31, s[4:5]
	v_cmp_eq_u32_e64 s[6:7], 3, v0
	v_cndmask_b32_e64 v82, v82, v33, s[6:7]
	;; [unrolled: 2-line block ×10, first 2 shown]
	v_cndmask_b32_e32 v82, v26, v28, vcc
	v_cndmask_b32_e64 v82, v82, v30, s[4:5]
	v_cndmask_b32_e64 v82, v82, v32, s[6:7]
	;; [unrolled: 1-line block ×6, first 2 shown]
	ds_read_b64 v[86:87], v85
	v_cndmask_b32_e64 v82, v82, v42, s[16:17]
	v_cndmask_b32_e64 v82, v82, v44, s[18:19]
	;; [unrolled: 1-line block ×4, first 2 shown]
	s_waitcnt lgkmcnt(0)
	v_mul_f64 v[82:83], v[82:83], v[86:87]
	s_cbranch_execz .LBB75_37
	s_branch .LBB75_38
.LBB75_36:
                                        ; implicit-def: $vgpr82_vgpr83
.LBB75_37:
	ds_read_b64 v[82:83], v85
.LBB75_38:
	s_and_saveexec_b64 s[6:7], s[0:1]
	s_cbranch_execz .LBB75_48
; %bb.39:
	v_add_u32_e32 v84, -9, v0
	v_cmp_lt_u32_e32 vcc, 6, v84
	v_mov_b32_e32 v84, 8
	s_and_saveexec_b64 s[0:1], vcc
	s_cbranch_execz .LBB75_43
; %bb.40:
	v_and_b32_e32 v84, 8, v0
	v_sub_u32_e32 v86, 0, v84
	s_mov_b64 s[4:5], 15
	s_movk_i32 s10, 0xa0
	s_mov_b64 s[8:9], 0
.LBB75_41:                              ; =>This Inner Loop Header: Depth=1
	s_lshl_b32 s11, s4, 1
	s_add_i32 s12, s11, -13
	s_add_i32 s13, s11, -14
	s_set_gpr_idx_on s12, gpr_idx(SRC0)
	v_mov_b32_e32 v105, v26
	s_set_gpr_idx_off
	v_mov_b32_e32 v84, s10
	s_add_i32 s14, s11, -11
	s_set_gpr_idx_on s13, gpr_idx(SRC0)
	v_mov_b32_e32 v104, v26
	s_set_gpr_idx_off
	s_add_i32 s15, s11, -12
	ds_read_b128 v[88:91], v84
	ds_read_b128 v[92:95], v84 offset:16
	ds_read_b128 v[96:99], v84 offset:32
	;; [unrolled: 1-line block ×3, first 2 shown]
	s_set_gpr_idx_on s14, gpr_idx(SRC0)
	v_mov_b32_e32 v107, v26
	s_set_gpr_idx_off
	s_add_i32 s16, s11, -9
	s_set_gpr_idx_on s15, gpr_idx(SRC0)
	v_mov_b32_e32 v106, v26
	s_set_gpr_idx_off
	s_add_i32 s17, s11, -10
	s_set_gpr_idx_on s16, gpr_idx(SRC0)
	v_mov_b32_e32 v109, v26
	s_set_gpr_idx_off
	s_add_i32 s18, s11, -7
	s_set_gpr_idx_on s17, gpr_idx(SRC0)
	v_mov_b32_e32 v108, v26
	s_set_gpr_idx_off
	s_add_i32 s19, s11, -8
	s_waitcnt lgkmcnt(3)
	v_fmac_f64_e32 v[82:83], v[104:105], v[88:89]
	s_set_gpr_idx_on s18, gpr_idx(SRC0)
	v_mov_b32_e32 v89, v26
	s_set_gpr_idx_off
	s_add_i32 s20, s11, -5
	v_fmac_f64_e32 v[82:83], v[106:107], v[90:91]
	s_set_gpr_idx_on s19, gpr_idx(SRC0)
	v_mov_b32_e32 v88, v26
	s_set_gpr_idx_off
	s_add_i32 s21, s11, -6
	s_waitcnt lgkmcnt(2)
	v_fmac_f64_e32 v[82:83], v[108:109], v[92:93]
	s_set_gpr_idx_on s20, gpr_idx(SRC0)
	v_mov_b32_e32 v91, v26
	s_set_gpr_idx_off
	s_add_i32 s22, s11, -3
	v_fmac_f64_e32 v[82:83], v[88:89], v[94:95]
	s_set_gpr_idx_on s21, gpr_idx(SRC0)
	v_mov_b32_e32 v90, v26
	s_set_gpr_idx_off
	s_add_i32 s23, s11, -4
	s_waitcnt lgkmcnt(1)
	v_fmac_f64_e32 v[82:83], v[90:91], v[96:97]
	s_set_gpr_idx_on s22, gpr_idx(SRC0)
	v_mov_b32_e32 v89, v26
	s_set_gpr_idx_off
	s_add_i32 s28, s11, -1
	s_set_gpr_idx_on s23, gpr_idx(SRC0)
	v_mov_b32_e32 v88, v26
	s_set_gpr_idx_off
	s_add_i32 s29, s11, -2
	v_fmac_f64_e32 v[82:83], v[88:89], v[98:99]
	s_set_gpr_idx_on s28, gpr_idx(SRC0)
	v_mov_b32_e32 v89, v26
	s_set_gpr_idx_off
	s_add_u32 s4, s4, 8
	s_set_gpr_idx_on s29, gpr_idx(SRC0)
	v_mov_b32_e32 v88, v26
	s_set_gpr_idx_off
	v_add_u32_e32 v84, s4, v86
	s_waitcnt lgkmcnt(0)
	v_fmac_f64_e32 v[82:83], v[88:89], v[100:101]
	s_set_gpr_idx_on s11, gpr_idx(SRC0)
	v_mov_b32_e32 v89, v27
	s_set_gpr_idx_off
	s_addc_u32 s5, s5, 0
	s_add_i32 s10, s10, 64
	s_add_i32 s12, s4, -7
	v_cmp_eq_u32_e32 vcc, 7, v84
	s_set_gpr_idx_on s11, gpr_idx(SRC0)
	v_mov_b32_e32 v88, v26
	s_set_gpr_idx_off
	v_mov_b32_e32 v84, s12
	s_or_b64 s[8:9], vcc, s[8:9]
	v_fmac_f64_e32 v[82:83], v[88:89], v[102:103]
	s_andn2_b64 exec, exec, s[8:9]
	s_cbranch_execnz .LBB75_41
; %bb.42:
	s_or_b64 exec, exec, s[8:9]
.LBB75_43:
	s_or_b64 exec, exec, s[0:1]
	v_and_b32_e32 v50, 7, v0
	v_cmp_ne_u32_e32 vcc, 0, v50
	s_and_saveexec_b64 s[8:9], vcc
	s_cbranch_execz .LBB75_47
; %bb.44:
	v_mov_b32_e32 v51, 0x60
	v_lshl_add_u32 v52, v84, 3, v51
	v_mov_b32_e32 v51, 0
	s_mov_b64 s[10:11], 0
.LBB75_45:                              ; =>This Inner Loop Header: Depth=1
	v_cmp_eq_u32_e32 vcc, 1, v84
	v_cndmask_b32_e32 v53, v27, v29, vcc
	v_add_u32_e32 v50, -1, v50
	v_cmp_eq_u32_e64 s[0:1], 2, v84
	v_cndmask_b32_e64 v53, v53, v31, s[0:1]
	v_cndmask_b32_e32 v56, v26, v28, vcc
	v_cmp_eq_u32_e32 vcc, 0, v50
	v_cmp_eq_u32_e64 s[4:5], 3, v84
	v_cndmask_b32_e64 v53, v53, v33, s[4:5]
	v_cndmask_b32_e64 v56, v56, v30, s[0:1]
	s_or_b64 s[10:11], vcc, s[10:11]
	v_cmp_eq_u32_e32 vcc, 4, v84
	v_cndmask_b32_e32 v53, v53, v35, vcc
	v_cndmask_b32_e64 v56, v56, v32, s[4:5]
	v_cmp_eq_u32_e64 s[0:1], 5, v84
	v_cndmask_b32_e64 v53, v53, v37, s[0:1]
	v_cndmask_b32_e32 v56, v56, v34, vcc
	v_cmp_eq_u32_e32 vcc, 6, v84
	v_cndmask_b32_e32 v53, v53, v39, vcc
	v_cndmask_b32_e64 v56, v56, v36, s[0:1]
	v_cmp_eq_u32_e64 s[0:1], 7, v84
	v_cndmask_b32_e64 v53, v53, v41, s[0:1]
	v_cndmask_b32_e32 v56, v56, v38, vcc
	v_cmp_eq_u32_e32 vcc, 8, v84
	ds_read_b64 v[54:55], v52
	v_cndmask_b32_e32 v53, v53, v43, vcc
	v_cndmask_b32_e64 v56, v56, v40, s[0:1]
	v_cmp_eq_u32_e64 s[0:1], 9, v84
	v_cndmask_b32_e64 v53, v53, v45, s[0:1]
	v_cndmask_b32_e32 v56, v56, v42, vcc
	v_cmp_eq_u32_e32 vcc, 10, v84
	v_cndmask_b32_e32 v53, v53, v47, vcc
	v_cmp_eq_u32_e64 s[4:5], 11, v84
	v_cndmask_b32_e64 v56, v56, v44, s[0:1]
	v_cndmask_b32_e64 v57, v53, v49, s[4:5]
	v_cndmask_b32_e32 v53, v56, v46, vcc
	v_add_co_u32_e64 v84, s[0:1], 1, v84
	v_cndmask_b32_e64 v56, v53, v48, s[4:5]
	v_add_u32_e32 v52, 8, v52
	v_addc_co_u32_e64 v51, s[0:1], 0, v51, s[0:1]
	s_waitcnt lgkmcnt(0)
	v_fmac_f64_e32 v[82:83], v[56:57], v[54:55]
	s_andn2_b64 exec, exec, s[10:11]
	s_cbranch_execnz .LBB75_45
; %bb.46:
	s_or_b64 exec, exec, s[10:11]
.LBB75_47:
	s_or_b64 exec, exec, s[8:9]
.LBB75_48:
	s_or_b64 exec, exec, s[6:7]
	v_mov_b32_e32 v40, 0
	ds_read_b64 v[40:41], v40 offset:56
	s_waitcnt lgkmcnt(0)
	v_mul_f64 v[40:41], v[82:83], v[40:41]
.LBB75_49:
	s_or_b64 exec, exec, s[24:25]
	v_cmp_lt_u32_e64 s[0:1], 6, v0
	ds_write_b64 v85, v[38:39]
	s_waitcnt lgkmcnt(0)
	; wave barrier
	s_waitcnt lgkmcnt(0)
	s_and_saveexec_b64 s[24:25], s[0:1]
	s_cbranch_execz .LBB75_65
; %bb.50:
	s_andn2_b64 vcc, exec, s[26:27]
	s_cbranch_vccnz .LBB75_52
; %bb.51:
	v_cmp_eq_u32_e32 vcc, 1, v0
	v_cndmask_b32_e32 v82, v27, v29, vcc
	v_cmp_eq_u32_e64 s[4:5], 2, v0
	v_cndmask_b32_e64 v82, v82, v31, s[4:5]
	v_cmp_eq_u32_e64 s[6:7], 3, v0
	v_cndmask_b32_e64 v82, v82, v33, s[6:7]
	;; [unrolled: 2-line block ×10, first 2 shown]
	v_cndmask_b32_e32 v82, v26, v28, vcc
	v_cndmask_b32_e64 v82, v82, v30, s[4:5]
	v_cndmask_b32_e64 v82, v82, v32, s[6:7]
	;; [unrolled: 1-line block ×6, first 2 shown]
	ds_read_b64 v[86:87], v85
	v_cndmask_b32_e64 v82, v82, v42, s[16:17]
	v_cndmask_b32_e64 v82, v82, v44, s[18:19]
	;; [unrolled: 1-line block ×4, first 2 shown]
	s_waitcnt lgkmcnt(0)
	v_mul_f64 v[82:83], v[82:83], v[86:87]
	s_cbranch_execz .LBB75_53
	s_branch .LBB75_54
.LBB75_52:
                                        ; implicit-def: $vgpr82_vgpr83
.LBB75_53:
	ds_read_b64 v[82:83], v85
.LBB75_54:
	s_and_saveexec_b64 s[6:7], s[2:3]
	s_cbranch_execz .LBB75_64
; %bb.55:
	v_add_u32_e32 v84, -8, v0
	v_add_u32_e32 v87, -7, v0
	v_cmp_lt_u32_e32 vcc, 6, v84
	v_mov_b32_e32 v84, 7
	s_and_saveexec_b64 s[2:3], vcc
	s_cbranch_execz .LBB75_59
; %bb.56:
	v_and_b32_e32 v84, -8, v87
	v_sub_u32_e32 v86, 0, v84
	s_mov_b64 s[4:5], 14
	s_movk_i32 s10, 0x98
	s_mov_b64 s[8:9], 0
.LBB75_57:                              ; =>This Inner Loop Header: Depth=1
	s_lshl_b32 s11, s4, 1
	s_add_i32 s12, s11, -13
	v_mov_b32_e32 v102, s10
	s_add_i32 s13, s11, -14
	s_set_gpr_idx_on s12, gpr_idx(SRC0)
	v_mov_b32_e32 v97, v26
	s_set_gpr_idx_off
	s_add_i32 s14, s11, -11
	s_set_gpr_idx_on s13, gpr_idx(SRC0)
	v_mov_b32_e32 v96, v26
	s_set_gpr_idx_off
	ds_read2_b64 v[88:91], v102 offset1:1
	s_add_i32 s15, s11, -12
	s_set_gpr_idx_on s14, gpr_idx(SRC0)
	v_mov_b32_e32 v99, v26
	s_set_gpr_idx_off
	s_add_i32 s16, s11, -9
	s_set_gpr_idx_on s15, gpr_idx(SRC0)
	v_mov_b32_e32 v98, v26
	s_set_gpr_idx_off
	;; [unrolled: 4-line block ×4, first 2 shown]
	ds_read2_b64 v[92:95], v102 offset0:2 offset1:3
	s_add_i32 s19, s11, -8
	s_waitcnt lgkmcnt(1)
	v_fmac_f64_e32 v[82:83], v[96:97], v[88:89]
	s_set_gpr_idx_on s18, gpr_idx(SRC0)
	v_mov_b32_e32 v97, v26
	s_set_gpr_idx_off
	s_add_i32 s20, s11, -5
	v_fmac_f64_e32 v[82:83], v[98:99], v[90:91]
	s_set_gpr_idx_on s19, gpr_idx(SRC0)
	v_mov_b32_e32 v96, v26
	s_set_gpr_idx_off
	s_add_i32 s21, s11, -6
	s_set_gpr_idx_on s20, gpr_idx(SRC0)
	v_mov_b32_e32 v99, v26
	s_set_gpr_idx_off
	s_add_i32 s22, s11, -3
	;; [unrolled: 4-line block ×3, first 2 shown]
	ds_read2_b64 v[88:91], v102 offset0:4 offset1:5
	s_waitcnt lgkmcnt(1)
	v_fmac_f64_e32 v[82:83], v[100:101], v[92:93]
	s_set_gpr_idx_on s22, gpr_idx(SRC0)
	v_mov_b32_e32 v101, v26
	s_set_gpr_idx_off
	s_add_i32 s28, s11, -1
	v_fmac_f64_e32 v[82:83], v[96:97], v[94:95]
	s_set_gpr_idx_on s23, gpr_idx(SRC0)
	v_mov_b32_e32 v100, v26
	s_set_gpr_idx_off
	s_add_i32 s29, s11, -2
	s_set_gpr_idx_on s28, gpr_idx(SRC0)
	v_mov_b32_e32 v97, v26
	s_set_gpr_idx_off
	s_set_gpr_idx_on s29, gpr_idx(SRC0)
	v_mov_b32_e32 v96, v26
	s_set_gpr_idx_off
	ds_read2_b64 v[92:95], v102 offset0:6 offset1:7
	s_add_u32 s4, s4, 8
	s_waitcnt lgkmcnt(1)
	v_fmac_f64_e32 v[82:83], v[98:99], v[88:89]
	s_set_gpr_idx_on s11, gpr_idx(SRC0)
	v_mov_b32_e32 v89, v27
	s_set_gpr_idx_off
	v_add_u32_e32 v84, s4, v86
	v_fmac_f64_e32 v[82:83], v[100:101], v[90:91]
	s_set_gpr_idx_on s11, gpr_idx(SRC0)
	v_mov_b32_e32 v88, v26
	s_set_gpr_idx_off
	s_addc_u32 s5, s5, 0
	s_add_i32 s10, s10, 64
	s_add_i32 s12, s4, -7
	v_cmp_eq_u32_e32 vcc, 14, v84
	s_waitcnt lgkmcnt(0)
	v_fmac_f64_e32 v[82:83], v[96:97], v[92:93]
	v_mov_b32_e32 v84, s12
	s_or_b64 s[8:9], vcc, s[8:9]
	v_fmac_f64_e32 v[82:83], v[88:89], v[94:95]
	s_andn2_b64 exec, exec, s[8:9]
	s_cbranch_execnz .LBB75_57
; %bb.58:
	s_or_b64 exec, exec, s[8:9]
.LBB75_59:
	s_or_b64 exec, exec, s[2:3]
	v_and_b32_e32 v50, 7, v87
	v_cmp_ne_u32_e32 vcc, 0, v50
	s_and_saveexec_b64 s[8:9], vcc
	s_cbranch_execz .LBB75_63
; %bb.60:
	v_mov_b32_e32 v51, 0x60
	v_lshl_add_u32 v52, v84, 3, v51
	v_mov_b32_e32 v51, 0
	s_mov_b64 s[10:11], 0
.LBB75_61:                              ; =>This Inner Loop Header: Depth=1
	v_cmp_eq_u32_e32 vcc, 1, v84
	v_cndmask_b32_e32 v53, v27, v29, vcc
	v_add_u32_e32 v50, -1, v50
	v_cmp_eq_u32_e64 s[2:3], 2, v84
	v_cndmask_b32_e64 v53, v53, v31, s[2:3]
	v_cndmask_b32_e32 v56, v26, v28, vcc
	v_cmp_eq_u32_e32 vcc, 0, v50
	v_cmp_eq_u32_e64 s[4:5], 3, v84
	v_cndmask_b32_e64 v53, v53, v33, s[4:5]
	v_cndmask_b32_e64 v56, v56, v30, s[2:3]
	s_or_b64 s[10:11], vcc, s[10:11]
	v_cmp_eq_u32_e32 vcc, 4, v84
	v_cndmask_b32_e32 v53, v53, v35, vcc
	v_cndmask_b32_e64 v56, v56, v32, s[4:5]
	v_cmp_eq_u32_e64 s[2:3], 5, v84
	v_cndmask_b32_e64 v53, v53, v37, s[2:3]
	v_cndmask_b32_e32 v56, v56, v34, vcc
	v_cmp_eq_u32_e32 vcc, 6, v84
	v_cndmask_b32_e32 v53, v53, v39, vcc
	v_cndmask_b32_e64 v56, v56, v36, s[2:3]
	v_cmp_eq_u32_e64 s[2:3], 7, v84
	v_cndmask_b32_e64 v53, v53, v41, s[2:3]
	v_cndmask_b32_e32 v56, v56, v38, vcc
	v_cmp_eq_u32_e32 vcc, 8, v84
	ds_read_b64 v[54:55], v52
	v_cndmask_b32_e32 v53, v53, v43, vcc
	v_cndmask_b32_e64 v56, v56, v40, s[2:3]
	v_cmp_eq_u32_e64 s[2:3], 9, v84
	v_cndmask_b32_e64 v53, v53, v45, s[2:3]
	v_cndmask_b32_e32 v56, v56, v42, vcc
	v_cmp_eq_u32_e32 vcc, 10, v84
	v_cndmask_b32_e32 v53, v53, v47, vcc
	v_cmp_eq_u32_e64 s[4:5], 11, v84
	v_cndmask_b32_e64 v56, v56, v44, s[2:3]
	v_cndmask_b32_e64 v57, v53, v49, s[4:5]
	v_cndmask_b32_e32 v53, v56, v46, vcc
	v_add_co_u32_e64 v84, s[2:3], 1, v84
	v_cndmask_b32_e64 v56, v53, v48, s[4:5]
	v_add_u32_e32 v52, 8, v52
	v_addc_co_u32_e64 v51, s[2:3], 0, v51, s[2:3]
	s_waitcnt lgkmcnt(0)
	v_fmac_f64_e32 v[82:83], v[56:57], v[54:55]
	s_andn2_b64 exec, exec, s[10:11]
	s_cbranch_execnz .LBB75_61
; %bb.62:
	s_or_b64 exec, exec, s[10:11]
.LBB75_63:
	s_or_b64 exec, exec, s[8:9]
.LBB75_64:
	s_or_b64 exec, exec, s[6:7]
	v_mov_b32_e32 v38, 0
	ds_read_b64 v[38:39], v38 offset:48
	s_waitcnt lgkmcnt(0)
	v_mul_f64 v[38:39], v[82:83], v[38:39]
.LBB75_65:
	s_or_b64 exec, exec, s[24:25]
	v_cmp_lt_u32_e64 s[2:3], 5, v0
	ds_write_b64 v85, v[36:37]
	s_waitcnt lgkmcnt(0)
	; wave barrier
	s_waitcnt lgkmcnt(0)
	s_and_saveexec_b64 s[24:25], s[2:3]
	s_cbranch_execz .LBB75_81
; %bb.66:
	s_andn2_b64 vcc, exec, s[26:27]
	s_cbranch_vccnz .LBB75_68
; %bb.67:
	v_cmp_eq_u32_e32 vcc, 1, v0
	v_cndmask_b32_e32 v82, v27, v29, vcc
	v_cmp_eq_u32_e64 s[4:5], 2, v0
	v_cndmask_b32_e64 v82, v82, v31, s[4:5]
	v_cmp_eq_u32_e64 s[6:7], 3, v0
	v_cndmask_b32_e64 v82, v82, v33, s[6:7]
	;; [unrolled: 2-line block ×10, first 2 shown]
	v_cndmask_b32_e32 v82, v26, v28, vcc
	v_cndmask_b32_e64 v82, v82, v30, s[4:5]
	v_cndmask_b32_e64 v82, v82, v32, s[6:7]
	;; [unrolled: 1-line block ×6, first 2 shown]
	ds_read_b64 v[86:87], v85
	v_cndmask_b32_e64 v82, v82, v42, s[16:17]
	v_cndmask_b32_e64 v82, v82, v44, s[18:19]
	;; [unrolled: 1-line block ×4, first 2 shown]
	s_waitcnt lgkmcnt(0)
	v_mul_f64 v[82:83], v[82:83], v[86:87]
	s_cbranch_execz .LBB75_69
	s_branch .LBB75_70
.LBB75_68:
                                        ; implicit-def: $vgpr82_vgpr83
.LBB75_69:
	ds_read_b64 v[82:83], v85
.LBB75_70:
	s_and_saveexec_b64 s[6:7], s[0:1]
	s_cbranch_execz .LBB75_80
; %bb.71:
	v_add_u32_e32 v84, -7, v0
	v_add_u32_e32 v87, -6, v0
	v_cmp_lt_u32_e32 vcc, 6, v84
	v_mov_b32_e32 v84, 6
	s_and_saveexec_b64 s[0:1], vcc
	s_cbranch_execz .LBB75_75
; %bb.72:
	v_and_b32_e32 v84, -8, v87
	v_sub_u32_e32 v86, 0, v84
	s_mov_b64 s[4:5], 13
	s_movk_i32 s10, 0x90
	s_mov_b64 s[8:9], 0
.LBB75_73:                              ; =>This Inner Loop Header: Depth=1
	s_lshl_b32 s11, s4, 1
	s_add_i32 s12, s11, -13
	s_add_i32 s13, s11, -14
	s_set_gpr_idx_on s12, gpr_idx(SRC0)
	v_mov_b32_e32 v105, v26
	s_set_gpr_idx_off
	v_mov_b32_e32 v84, s10
	s_add_i32 s14, s11, -11
	s_set_gpr_idx_on s13, gpr_idx(SRC0)
	v_mov_b32_e32 v104, v26
	s_set_gpr_idx_off
	s_add_i32 s15, s11, -12
	ds_read_b128 v[88:91], v84
	ds_read_b128 v[92:95], v84 offset:16
	ds_read_b128 v[96:99], v84 offset:32
	;; [unrolled: 1-line block ×3, first 2 shown]
	s_set_gpr_idx_on s14, gpr_idx(SRC0)
	v_mov_b32_e32 v107, v26
	s_set_gpr_idx_off
	s_add_i32 s16, s11, -9
	s_set_gpr_idx_on s15, gpr_idx(SRC0)
	v_mov_b32_e32 v106, v26
	s_set_gpr_idx_off
	s_add_i32 s17, s11, -10
	;; [unrolled: 4-line block ×4, first 2 shown]
	s_waitcnt lgkmcnt(3)
	v_fmac_f64_e32 v[82:83], v[104:105], v[88:89]
	s_set_gpr_idx_on s18, gpr_idx(SRC0)
	v_mov_b32_e32 v89, v26
	s_set_gpr_idx_off
	s_add_i32 s20, s11, -5
	v_fmac_f64_e32 v[82:83], v[106:107], v[90:91]
	s_set_gpr_idx_on s19, gpr_idx(SRC0)
	v_mov_b32_e32 v88, v26
	s_set_gpr_idx_off
	s_add_i32 s21, s11, -6
	s_waitcnt lgkmcnt(2)
	v_fmac_f64_e32 v[82:83], v[108:109], v[92:93]
	s_set_gpr_idx_on s20, gpr_idx(SRC0)
	v_mov_b32_e32 v91, v26
	s_set_gpr_idx_off
	s_add_i32 s22, s11, -3
	v_fmac_f64_e32 v[82:83], v[88:89], v[94:95]
	s_set_gpr_idx_on s21, gpr_idx(SRC0)
	v_mov_b32_e32 v90, v26
	s_set_gpr_idx_off
	s_add_i32 s23, s11, -4
	s_waitcnt lgkmcnt(1)
	v_fmac_f64_e32 v[82:83], v[90:91], v[96:97]
	s_set_gpr_idx_on s22, gpr_idx(SRC0)
	v_mov_b32_e32 v89, v26
	s_set_gpr_idx_off
	s_add_i32 s28, s11, -1
	s_set_gpr_idx_on s23, gpr_idx(SRC0)
	v_mov_b32_e32 v88, v26
	s_set_gpr_idx_off
	s_add_i32 s29, s11, -2
	v_fmac_f64_e32 v[82:83], v[88:89], v[98:99]
	s_set_gpr_idx_on s28, gpr_idx(SRC0)
	v_mov_b32_e32 v89, v26
	s_set_gpr_idx_off
	s_add_u32 s4, s4, 8
	s_set_gpr_idx_on s29, gpr_idx(SRC0)
	v_mov_b32_e32 v88, v26
	s_set_gpr_idx_off
	v_add_u32_e32 v84, s4, v86
	s_waitcnt lgkmcnt(0)
	v_fmac_f64_e32 v[82:83], v[88:89], v[100:101]
	s_set_gpr_idx_on s11, gpr_idx(SRC0)
	v_mov_b32_e32 v89, v27
	s_set_gpr_idx_off
	s_addc_u32 s5, s5, 0
	s_add_i32 s10, s10, 64
	s_add_i32 s12, s4, -7
	v_cmp_eq_u32_e32 vcc, 13, v84
	s_set_gpr_idx_on s11, gpr_idx(SRC0)
	v_mov_b32_e32 v88, v26
	s_set_gpr_idx_off
	v_mov_b32_e32 v84, s12
	s_or_b64 s[8:9], vcc, s[8:9]
	v_fmac_f64_e32 v[82:83], v[88:89], v[102:103]
	s_andn2_b64 exec, exec, s[8:9]
	s_cbranch_execnz .LBB75_73
; %bb.74:
	s_or_b64 exec, exec, s[8:9]
.LBB75_75:
	s_or_b64 exec, exec, s[0:1]
	v_and_b32_e32 v50, 7, v87
	v_cmp_ne_u32_e32 vcc, 0, v50
	s_and_saveexec_b64 s[8:9], vcc
	s_cbranch_execz .LBB75_79
; %bb.76:
	v_mov_b32_e32 v51, 0x60
	v_lshl_add_u32 v52, v84, 3, v51
	v_mov_b32_e32 v51, 0
	s_mov_b64 s[10:11], 0
.LBB75_77:                              ; =>This Inner Loop Header: Depth=1
	v_cmp_eq_u32_e32 vcc, 1, v84
	v_cndmask_b32_e32 v53, v27, v29, vcc
	v_add_u32_e32 v50, -1, v50
	v_cmp_eq_u32_e64 s[0:1], 2, v84
	v_cndmask_b32_e64 v53, v53, v31, s[0:1]
	v_cndmask_b32_e32 v56, v26, v28, vcc
	v_cmp_eq_u32_e32 vcc, 0, v50
	v_cmp_eq_u32_e64 s[4:5], 3, v84
	v_cndmask_b32_e64 v53, v53, v33, s[4:5]
	v_cndmask_b32_e64 v56, v56, v30, s[0:1]
	s_or_b64 s[10:11], vcc, s[10:11]
	v_cmp_eq_u32_e32 vcc, 4, v84
	v_cndmask_b32_e32 v53, v53, v35, vcc
	v_cndmask_b32_e64 v56, v56, v32, s[4:5]
	v_cmp_eq_u32_e64 s[0:1], 5, v84
	v_cndmask_b32_e64 v53, v53, v37, s[0:1]
	v_cndmask_b32_e32 v56, v56, v34, vcc
	v_cmp_eq_u32_e32 vcc, 6, v84
	v_cndmask_b32_e32 v53, v53, v39, vcc
	v_cndmask_b32_e64 v56, v56, v36, s[0:1]
	v_cmp_eq_u32_e64 s[0:1], 7, v84
	v_cndmask_b32_e64 v53, v53, v41, s[0:1]
	v_cndmask_b32_e32 v56, v56, v38, vcc
	v_cmp_eq_u32_e32 vcc, 8, v84
	ds_read_b64 v[54:55], v52
	v_cndmask_b32_e32 v53, v53, v43, vcc
	v_cndmask_b32_e64 v56, v56, v40, s[0:1]
	v_cmp_eq_u32_e64 s[0:1], 9, v84
	v_cndmask_b32_e64 v53, v53, v45, s[0:1]
	v_cndmask_b32_e32 v56, v56, v42, vcc
	v_cmp_eq_u32_e32 vcc, 10, v84
	v_cndmask_b32_e32 v53, v53, v47, vcc
	v_cmp_eq_u32_e64 s[4:5], 11, v84
	v_cndmask_b32_e64 v56, v56, v44, s[0:1]
	v_cndmask_b32_e64 v57, v53, v49, s[4:5]
	v_cndmask_b32_e32 v53, v56, v46, vcc
	v_add_co_u32_e64 v84, s[0:1], 1, v84
	v_cndmask_b32_e64 v56, v53, v48, s[4:5]
	v_add_u32_e32 v52, 8, v52
	v_addc_co_u32_e64 v51, s[0:1], 0, v51, s[0:1]
	s_waitcnt lgkmcnt(0)
	v_fmac_f64_e32 v[82:83], v[56:57], v[54:55]
	s_andn2_b64 exec, exec, s[10:11]
	s_cbranch_execnz .LBB75_77
; %bb.78:
	s_or_b64 exec, exec, s[10:11]
.LBB75_79:
	s_or_b64 exec, exec, s[8:9]
.LBB75_80:
	s_or_b64 exec, exec, s[6:7]
	v_mov_b32_e32 v36, 0
	ds_read_b64 v[36:37], v36 offset:40
	s_waitcnt lgkmcnt(0)
	v_mul_f64 v[36:37], v[82:83], v[36:37]
.LBB75_81:
	s_or_b64 exec, exec, s[24:25]
	v_cmp_lt_u32_e64 s[0:1], 4, v0
	ds_write_b64 v85, v[34:35]
	s_waitcnt lgkmcnt(0)
	; wave barrier
	s_waitcnt lgkmcnt(0)
	s_and_saveexec_b64 s[24:25], s[0:1]
	s_cbranch_execz .LBB75_97
; %bb.82:
	s_andn2_b64 vcc, exec, s[26:27]
	s_cbranch_vccnz .LBB75_84
; %bb.83:
	v_cmp_eq_u32_e32 vcc, 1, v0
	v_cndmask_b32_e32 v82, v27, v29, vcc
	v_cmp_eq_u32_e64 s[4:5], 2, v0
	v_cndmask_b32_e64 v82, v82, v31, s[4:5]
	v_cmp_eq_u32_e64 s[6:7], 3, v0
	v_cndmask_b32_e64 v82, v82, v33, s[6:7]
	;; [unrolled: 2-line block ×10, first 2 shown]
	v_cndmask_b32_e32 v82, v26, v28, vcc
	v_cndmask_b32_e64 v82, v82, v30, s[4:5]
	v_cndmask_b32_e64 v82, v82, v32, s[6:7]
	;; [unrolled: 1-line block ×6, first 2 shown]
	ds_read_b64 v[86:87], v85
	v_cndmask_b32_e64 v82, v82, v42, s[16:17]
	v_cndmask_b32_e64 v82, v82, v44, s[18:19]
	;; [unrolled: 1-line block ×4, first 2 shown]
	s_waitcnt lgkmcnt(0)
	v_mul_f64 v[82:83], v[82:83], v[86:87]
	s_cbranch_execz .LBB75_85
	s_branch .LBB75_86
.LBB75_84:
                                        ; implicit-def: $vgpr82_vgpr83
.LBB75_85:
	ds_read_b64 v[82:83], v85
.LBB75_86:
	s_and_saveexec_b64 s[6:7], s[2:3]
	s_cbranch_execz .LBB75_96
; %bb.87:
	v_add_u32_e32 v84, -6, v0
	v_add_u32_e32 v87, -5, v0
	v_cmp_lt_u32_e32 vcc, 6, v84
	v_mov_b32_e32 v84, 5
	s_and_saveexec_b64 s[2:3], vcc
	s_cbranch_execz .LBB75_91
; %bb.88:
	v_and_b32_e32 v84, -8, v87
	v_sub_u32_e32 v86, 0, v84
	s_mov_b64 s[4:5], 12
	s_movk_i32 s10, 0x88
	s_mov_b64 s[8:9], 0
.LBB75_89:                              ; =>This Inner Loop Header: Depth=1
	s_lshl_b32 s11, s4, 1
	s_add_i32 s12, s11, -13
	v_mov_b32_e32 v102, s10
	s_add_i32 s13, s11, -14
	s_set_gpr_idx_on s12, gpr_idx(SRC0)
	v_mov_b32_e32 v97, v26
	s_set_gpr_idx_off
	s_add_i32 s14, s11, -11
	s_set_gpr_idx_on s13, gpr_idx(SRC0)
	v_mov_b32_e32 v96, v26
	s_set_gpr_idx_off
	ds_read2_b64 v[88:91], v102 offset1:1
	s_add_i32 s15, s11, -12
	s_set_gpr_idx_on s14, gpr_idx(SRC0)
	v_mov_b32_e32 v99, v26
	s_set_gpr_idx_off
	s_add_i32 s16, s11, -9
	s_set_gpr_idx_on s15, gpr_idx(SRC0)
	v_mov_b32_e32 v98, v26
	s_set_gpr_idx_off
	;; [unrolled: 4-line block ×4, first 2 shown]
	ds_read2_b64 v[92:95], v102 offset0:2 offset1:3
	s_add_i32 s19, s11, -8
	s_waitcnt lgkmcnt(1)
	v_fmac_f64_e32 v[82:83], v[96:97], v[88:89]
	s_set_gpr_idx_on s18, gpr_idx(SRC0)
	v_mov_b32_e32 v97, v26
	s_set_gpr_idx_off
	s_add_i32 s20, s11, -5
	v_fmac_f64_e32 v[82:83], v[98:99], v[90:91]
	s_set_gpr_idx_on s19, gpr_idx(SRC0)
	v_mov_b32_e32 v96, v26
	s_set_gpr_idx_off
	s_add_i32 s21, s11, -6
	s_set_gpr_idx_on s20, gpr_idx(SRC0)
	v_mov_b32_e32 v99, v26
	s_set_gpr_idx_off
	s_add_i32 s22, s11, -3
	;; [unrolled: 4-line block ×3, first 2 shown]
	ds_read2_b64 v[88:91], v102 offset0:4 offset1:5
	s_waitcnt lgkmcnt(1)
	v_fmac_f64_e32 v[82:83], v[100:101], v[92:93]
	s_set_gpr_idx_on s22, gpr_idx(SRC0)
	v_mov_b32_e32 v101, v26
	s_set_gpr_idx_off
	s_add_i32 s28, s11, -1
	v_fmac_f64_e32 v[82:83], v[96:97], v[94:95]
	s_set_gpr_idx_on s23, gpr_idx(SRC0)
	v_mov_b32_e32 v100, v26
	s_set_gpr_idx_off
	s_add_i32 s29, s11, -2
	s_set_gpr_idx_on s28, gpr_idx(SRC0)
	v_mov_b32_e32 v97, v26
	s_set_gpr_idx_off
	s_set_gpr_idx_on s29, gpr_idx(SRC0)
	v_mov_b32_e32 v96, v26
	s_set_gpr_idx_off
	ds_read2_b64 v[92:95], v102 offset0:6 offset1:7
	s_add_u32 s4, s4, 8
	s_waitcnt lgkmcnt(1)
	v_fmac_f64_e32 v[82:83], v[98:99], v[88:89]
	s_set_gpr_idx_on s11, gpr_idx(SRC0)
	v_mov_b32_e32 v89, v27
	s_set_gpr_idx_off
	v_add_u32_e32 v84, s4, v86
	v_fmac_f64_e32 v[82:83], v[100:101], v[90:91]
	s_set_gpr_idx_on s11, gpr_idx(SRC0)
	v_mov_b32_e32 v88, v26
	s_set_gpr_idx_off
	s_addc_u32 s5, s5, 0
	s_add_i32 s10, s10, 64
	s_add_i32 s12, s4, -7
	v_cmp_eq_u32_e32 vcc, 12, v84
	s_waitcnt lgkmcnt(0)
	v_fmac_f64_e32 v[82:83], v[96:97], v[92:93]
	v_mov_b32_e32 v84, s12
	s_or_b64 s[8:9], vcc, s[8:9]
	v_fmac_f64_e32 v[82:83], v[88:89], v[94:95]
	s_andn2_b64 exec, exec, s[8:9]
	s_cbranch_execnz .LBB75_89
; %bb.90:
	s_or_b64 exec, exec, s[8:9]
.LBB75_91:
	s_or_b64 exec, exec, s[2:3]
	v_and_b32_e32 v50, 7, v87
	v_cmp_ne_u32_e32 vcc, 0, v50
	s_and_saveexec_b64 s[8:9], vcc
	s_cbranch_execz .LBB75_95
; %bb.92:
	v_mov_b32_e32 v51, 0x60
	v_lshl_add_u32 v52, v84, 3, v51
	v_mov_b32_e32 v51, 0
	s_mov_b64 s[10:11], 0
.LBB75_93:                              ; =>This Inner Loop Header: Depth=1
	v_cmp_eq_u32_e32 vcc, 1, v84
	v_cndmask_b32_e32 v53, v27, v29, vcc
	v_add_u32_e32 v50, -1, v50
	v_cmp_eq_u32_e64 s[2:3], 2, v84
	v_cndmask_b32_e64 v53, v53, v31, s[2:3]
	v_cndmask_b32_e32 v56, v26, v28, vcc
	v_cmp_eq_u32_e32 vcc, 0, v50
	v_cmp_eq_u32_e64 s[4:5], 3, v84
	v_cndmask_b32_e64 v53, v53, v33, s[4:5]
	v_cndmask_b32_e64 v56, v56, v30, s[2:3]
	s_or_b64 s[10:11], vcc, s[10:11]
	v_cmp_eq_u32_e32 vcc, 4, v84
	v_cndmask_b32_e32 v53, v53, v35, vcc
	v_cndmask_b32_e64 v56, v56, v32, s[4:5]
	v_cmp_eq_u32_e64 s[2:3], 5, v84
	v_cndmask_b32_e64 v53, v53, v37, s[2:3]
	v_cndmask_b32_e32 v56, v56, v34, vcc
	v_cmp_eq_u32_e32 vcc, 6, v84
	v_cndmask_b32_e32 v53, v53, v39, vcc
	v_cndmask_b32_e64 v56, v56, v36, s[2:3]
	v_cmp_eq_u32_e64 s[2:3], 7, v84
	v_cndmask_b32_e64 v53, v53, v41, s[2:3]
	v_cndmask_b32_e32 v56, v56, v38, vcc
	v_cmp_eq_u32_e32 vcc, 8, v84
	ds_read_b64 v[54:55], v52
	v_cndmask_b32_e32 v53, v53, v43, vcc
	v_cndmask_b32_e64 v56, v56, v40, s[2:3]
	v_cmp_eq_u32_e64 s[2:3], 9, v84
	v_cndmask_b32_e64 v53, v53, v45, s[2:3]
	v_cndmask_b32_e32 v56, v56, v42, vcc
	v_cmp_eq_u32_e32 vcc, 10, v84
	v_cndmask_b32_e32 v53, v53, v47, vcc
	v_cmp_eq_u32_e64 s[4:5], 11, v84
	v_cndmask_b32_e64 v56, v56, v44, s[2:3]
	v_cndmask_b32_e64 v57, v53, v49, s[4:5]
	v_cndmask_b32_e32 v53, v56, v46, vcc
	v_add_co_u32_e64 v84, s[2:3], 1, v84
	v_cndmask_b32_e64 v56, v53, v48, s[4:5]
	v_add_u32_e32 v52, 8, v52
	v_addc_co_u32_e64 v51, s[2:3], 0, v51, s[2:3]
	s_waitcnt lgkmcnt(0)
	v_fmac_f64_e32 v[82:83], v[56:57], v[54:55]
	s_andn2_b64 exec, exec, s[10:11]
	s_cbranch_execnz .LBB75_93
; %bb.94:
	s_or_b64 exec, exec, s[10:11]
.LBB75_95:
	s_or_b64 exec, exec, s[8:9]
.LBB75_96:
	s_or_b64 exec, exec, s[6:7]
	v_mov_b32_e32 v34, 0
	ds_read_b64 v[34:35], v34 offset:32
	s_waitcnt lgkmcnt(0)
	v_mul_f64 v[34:35], v[82:83], v[34:35]
.LBB75_97:
	s_or_b64 exec, exec, s[24:25]
	v_cmp_lt_u32_e64 s[2:3], 3, v0
	ds_write_b64 v85, v[32:33]
	s_waitcnt lgkmcnt(0)
	; wave barrier
	s_waitcnt lgkmcnt(0)
	s_and_saveexec_b64 s[24:25], s[2:3]
	s_cbranch_execz .LBB75_113
; %bb.98:
	s_andn2_b64 vcc, exec, s[26:27]
	s_cbranch_vccnz .LBB75_100
; %bb.99:
	v_cmp_eq_u32_e32 vcc, 1, v0
	v_cndmask_b32_e32 v82, v27, v29, vcc
	v_cmp_eq_u32_e64 s[4:5], 2, v0
	v_cndmask_b32_e64 v82, v82, v31, s[4:5]
	v_cmp_eq_u32_e64 s[6:7], 3, v0
	v_cndmask_b32_e64 v82, v82, v33, s[6:7]
	;; [unrolled: 2-line block ×10, first 2 shown]
	v_cndmask_b32_e32 v82, v26, v28, vcc
	v_cndmask_b32_e64 v82, v82, v30, s[4:5]
	v_cndmask_b32_e64 v82, v82, v32, s[6:7]
	;; [unrolled: 1-line block ×6, first 2 shown]
	ds_read_b64 v[86:87], v85
	v_cndmask_b32_e64 v82, v82, v42, s[16:17]
	v_cndmask_b32_e64 v82, v82, v44, s[18:19]
	;; [unrolled: 1-line block ×4, first 2 shown]
	s_waitcnt lgkmcnt(0)
	v_mul_f64 v[82:83], v[82:83], v[86:87]
	s_cbranch_execz .LBB75_101
	s_branch .LBB75_102
.LBB75_100:
                                        ; implicit-def: $vgpr82_vgpr83
.LBB75_101:
	ds_read_b64 v[82:83], v85
.LBB75_102:
	s_and_saveexec_b64 s[6:7], s[0:1]
	s_cbranch_execz .LBB75_112
; %bb.103:
	v_add_u32_e32 v84, -5, v0
	v_add_u32_e32 v87, -4, v0
	v_cmp_lt_u32_e32 vcc, 6, v84
	v_mov_b32_e32 v84, 4
	s_and_saveexec_b64 s[0:1], vcc
	s_cbranch_execz .LBB75_107
; %bb.104:
	v_and_b32_e32 v84, -8, v87
	v_sub_u32_e32 v86, 0, v84
	s_mov_b64 s[4:5], 5
	s_movk_i32 s10, 0x80
	s_mov_b64 s[8:9], 0
.LBB75_105:                             ; =>This Inner Loop Header: Depth=1
	s_lshl_b32 s11, s4, 1
	s_add_i32 s12, s11, -1
	s_add_i32 s13, s11, -2
	s_set_gpr_idx_on s12, gpr_idx(SRC0)
	v_mov_b32_e32 v105, v26
	s_set_gpr_idx_off
	v_mov_b32_e32 v84, s10
	s_set_gpr_idx_on s13, gpr_idx(SRC0)
	v_mov_b32_e32 v104, v26
	s_set_gpr_idx_off
	ds_read_b128 v[88:91], v84
	ds_read_b128 v[92:95], v84 offset:16
	ds_read_b128 v[96:99], v84 offset:32
	;; [unrolled: 1-line block ×3, first 2 shown]
	s_set_gpr_idx_on s11, gpr_idx(SRC0)
	v_mov_b32_e32 v107, v27
	s_add_i32 s14, s11, 3
	v_mov_b32_e32 v106, v26
	s_set_gpr_idx_off
	s_add_i32 s15, s11, 2
	s_set_gpr_idx_on s14, gpr_idx(SRC0)
	v_mov_b32_e32 v109, v26
	s_set_gpr_idx_off
	s_add_i32 s16, s11, 5
	s_set_gpr_idx_on s15, gpr_idx(SRC0)
	v_mov_b32_e32 v108, v26
	s_set_gpr_idx_off
	s_add_i32 s17, s11, 4
	s_waitcnt lgkmcnt(3)
	v_fmac_f64_e32 v[82:83], v[104:105], v[88:89]
	s_set_gpr_idx_on s16, gpr_idx(SRC0)
	v_mov_b32_e32 v89, v26
	s_set_gpr_idx_off
	s_add_i32 s18, s11, 7
	v_fmac_f64_e32 v[82:83], v[106:107], v[90:91]
	s_set_gpr_idx_on s17, gpr_idx(SRC0)
	v_mov_b32_e32 v88, v26
	s_set_gpr_idx_off
	s_add_i32 s19, s11, 6
	s_waitcnt lgkmcnt(2)
	v_fmac_f64_e32 v[82:83], v[108:109], v[92:93]
	s_set_gpr_idx_on s18, gpr_idx(SRC0)
	v_mov_b32_e32 v91, v26
	s_set_gpr_idx_off
	s_add_i32 s20, s11, 9
	v_fmac_f64_e32 v[82:83], v[88:89], v[94:95]
	s_set_gpr_idx_on s19, gpr_idx(SRC0)
	v_mov_b32_e32 v90, v26
	s_set_gpr_idx_off
	s_add_i32 s21, s11, 8
	s_waitcnt lgkmcnt(1)
	v_fmac_f64_e32 v[82:83], v[90:91], v[96:97]
	s_set_gpr_idx_on s20, gpr_idx(SRC0)
	v_mov_b32_e32 v89, v26
	s_set_gpr_idx_off
	s_add_i32 s22, s11, 11
	s_set_gpr_idx_on s21, gpr_idx(SRC0)
	v_mov_b32_e32 v88, v26
	s_set_gpr_idx_off
	s_add_i32 s23, s11, 10
	s_add_i32 s28, s11, 13
	;; [unrolled: 1-line block ×3, first 2 shown]
	v_fmac_f64_e32 v[82:83], v[88:89], v[98:99]
	s_set_gpr_idx_on s22, gpr_idx(SRC0)
	v_mov_b32_e32 v89, v26
	s_set_gpr_idx_off
	s_add_u32 s4, s4, 8
	s_set_gpr_idx_on s23, gpr_idx(SRC0)
	v_mov_b32_e32 v88, v26
	s_set_gpr_idx_off
	v_add_u32_e32 v84, s4, v86
	s_waitcnt lgkmcnt(0)
	v_fmac_f64_e32 v[82:83], v[88:89], v[100:101]
	s_set_gpr_idx_on s28, gpr_idx(SRC0)
	v_mov_b32_e32 v89, v26
	s_set_gpr_idx_off
	s_addc_u32 s5, s5, 0
	s_add_i32 s10, s10, 64
	s_add_i32 s12, s4, -1
	v_cmp_eq_u32_e32 vcc, 5, v84
	s_set_gpr_idx_on s29, gpr_idx(SRC0)
	v_mov_b32_e32 v88, v26
	s_set_gpr_idx_off
	v_mov_b32_e32 v84, s12
	s_or_b64 s[8:9], vcc, s[8:9]
	v_fmac_f64_e32 v[82:83], v[88:89], v[102:103]
	s_andn2_b64 exec, exec, s[8:9]
	s_cbranch_execnz .LBB75_105
; %bb.106:
	s_or_b64 exec, exec, s[8:9]
.LBB75_107:
	s_or_b64 exec, exec, s[0:1]
	v_and_b32_e32 v50, 7, v87
	v_cmp_ne_u32_e32 vcc, 0, v50
	s_and_saveexec_b64 s[8:9], vcc
	s_cbranch_execz .LBB75_111
; %bb.108:
	v_mov_b32_e32 v51, 0x60
	v_lshl_add_u32 v52, v84, 3, v51
	v_mov_b32_e32 v51, 0
	s_mov_b64 s[10:11], 0
.LBB75_109:                             ; =>This Inner Loop Header: Depth=1
	v_cmp_eq_u32_e32 vcc, 1, v84
	v_cndmask_b32_e32 v53, v27, v29, vcc
	v_add_u32_e32 v50, -1, v50
	v_cmp_eq_u32_e64 s[0:1], 2, v84
	v_cndmask_b32_e64 v53, v53, v31, s[0:1]
	v_cndmask_b32_e32 v56, v26, v28, vcc
	v_cmp_eq_u32_e32 vcc, 0, v50
	v_cmp_eq_u32_e64 s[4:5], 3, v84
	v_cndmask_b32_e64 v53, v53, v33, s[4:5]
	v_cndmask_b32_e64 v56, v56, v30, s[0:1]
	s_or_b64 s[10:11], vcc, s[10:11]
	v_cmp_eq_u32_e32 vcc, 4, v84
	v_cndmask_b32_e32 v53, v53, v35, vcc
	v_cndmask_b32_e64 v56, v56, v32, s[4:5]
	v_cmp_eq_u32_e64 s[0:1], 5, v84
	v_cndmask_b32_e64 v53, v53, v37, s[0:1]
	v_cndmask_b32_e32 v56, v56, v34, vcc
	v_cmp_eq_u32_e32 vcc, 6, v84
	v_cndmask_b32_e32 v53, v53, v39, vcc
	v_cndmask_b32_e64 v56, v56, v36, s[0:1]
	v_cmp_eq_u32_e64 s[0:1], 7, v84
	v_cndmask_b32_e64 v53, v53, v41, s[0:1]
	v_cndmask_b32_e32 v56, v56, v38, vcc
	v_cmp_eq_u32_e32 vcc, 8, v84
	ds_read_b64 v[54:55], v52
	v_cndmask_b32_e32 v53, v53, v43, vcc
	v_cndmask_b32_e64 v56, v56, v40, s[0:1]
	v_cmp_eq_u32_e64 s[0:1], 9, v84
	v_cndmask_b32_e64 v53, v53, v45, s[0:1]
	v_cndmask_b32_e32 v56, v56, v42, vcc
	v_cmp_eq_u32_e32 vcc, 10, v84
	v_cndmask_b32_e32 v53, v53, v47, vcc
	v_cmp_eq_u32_e64 s[4:5], 11, v84
	v_cndmask_b32_e64 v56, v56, v44, s[0:1]
	v_cndmask_b32_e64 v57, v53, v49, s[4:5]
	v_cndmask_b32_e32 v53, v56, v46, vcc
	v_add_co_u32_e64 v84, s[0:1], 1, v84
	v_cndmask_b32_e64 v56, v53, v48, s[4:5]
	v_add_u32_e32 v52, 8, v52
	v_addc_co_u32_e64 v51, s[0:1], 0, v51, s[0:1]
	s_waitcnt lgkmcnt(0)
	v_fmac_f64_e32 v[82:83], v[56:57], v[54:55]
	s_andn2_b64 exec, exec, s[10:11]
	s_cbranch_execnz .LBB75_109
; %bb.110:
	s_or_b64 exec, exec, s[10:11]
.LBB75_111:
	s_or_b64 exec, exec, s[8:9]
.LBB75_112:
	s_or_b64 exec, exec, s[6:7]
	v_mov_b32_e32 v32, 0
	ds_read_b64 v[32:33], v32 offset:24
	s_waitcnt lgkmcnt(0)
	v_mul_f64 v[32:33], v[82:83], v[32:33]
.LBB75_113:
	s_or_b64 exec, exec, s[24:25]
	v_cmp_lt_u32_e64 s[0:1], 2, v0
	ds_write_b64 v85, v[30:31]
	s_waitcnt lgkmcnt(0)
	; wave barrier
	s_waitcnt lgkmcnt(0)
	s_and_saveexec_b64 s[24:25], s[0:1]
	s_cbranch_execz .LBB75_129
; %bb.114:
	s_andn2_b64 vcc, exec, s[26:27]
	s_cbranch_vccnz .LBB75_116
; %bb.115:
	v_cmp_eq_u32_e32 vcc, 1, v0
	v_cndmask_b32_e32 v82, v27, v29, vcc
	v_cmp_eq_u32_e64 s[4:5], 2, v0
	v_cndmask_b32_e64 v82, v82, v31, s[4:5]
	v_cmp_eq_u32_e64 s[6:7], 3, v0
	v_cndmask_b32_e64 v82, v82, v33, s[6:7]
	;; [unrolled: 2-line block ×10, first 2 shown]
	v_cndmask_b32_e32 v82, v26, v28, vcc
	v_cndmask_b32_e64 v82, v82, v30, s[4:5]
	v_cndmask_b32_e64 v82, v82, v32, s[6:7]
	;; [unrolled: 1-line block ×6, first 2 shown]
	ds_read_b64 v[86:87], v85
	v_cndmask_b32_e64 v82, v82, v42, s[16:17]
	v_cndmask_b32_e64 v82, v82, v44, s[18:19]
	;; [unrolled: 1-line block ×4, first 2 shown]
	s_waitcnt lgkmcnt(0)
	v_mul_f64 v[82:83], v[82:83], v[86:87]
	s_cbranch_execz .LBB75_117
	s_branch .LBB75_118
.LBB75_116:
                                        ; implicit-def: $vgpr82_vgpr83
.LBB75_117:
	ds_read_b64 v[82:83], v85
.LBB75_118:
	s_and_saveexec_b64 s[6:7], s[2:3]
	s_cbranch_execz .LBB75_128
; %bb.119:
	v_add_u32_e32 v84, -4, v0
	v_add_u32_e32 v87, -3, v0
	v_cmp_lt_u32_e32 vcc, 6, v84
	v_mov_b32_e32 v84, 3
	s_and_saveexec_b64 s[2:3], vcc
	s_cbranch_execz .LBB75_123
; %bb.120:
	v_and_b32_e32 v84, -8, v87
	v_sub_u32_e32 v86, 0, v84
	s_mov_b64 s[4:5], 10
	s_movk_i32 s10, 0x78
	s_mov_b64 s[8:9], 0
.LBB75_121:                             ; =>This Inner Loop Header: Depth=1
	s_lshl_b32 s11, s4, 1
	s_add_i32 s12, s11, -13
	v_mov_b32_e32 v102, s10
	s_add_i32 s13, s11, -14
	s_set_gpr_idx_on s12, gpr_idx(SRC0)
	v_mov_b32_e32 v97, v26
	s_set_gpr_idx_off
	s_add_i32 s14, s11, -11
	s_set_gpr_idx_on s13, gpr_idx(SRC0)
	v_mov_b32_e32 v96, v26
	s_set_gpr_idx_off
	ds_read2_b64 v[88:91], v102 offset1:1
	s_add_i32 s15, s11, -12
	s_set_gpr_idx_on s14, gpr_idx(SRC0)
	v_mov_b32_e32 v99, v26
	s_set_gpr_idx_off
	s_add_i32 s16, s11, -9
	s_set_gpr_idx_on s15, gpr_idx(SRC0)
	v_mov_b32_e32 v98, v26
	s_set_gpr_idx_off
	;; [unrolled: 4-line block ×4, first 2 shown]
	ds_read2_b64 v[92:95], v102 offset0:2 offset1:3
	s_add_i32 s19, s11, -8
	s_waitcnt lgkmcnt(1)
	v_fmac_f64_e32 v[82:83], v[96:97], v[88:89]
	s_set_gpr_idx_on s18, gpr_idx(SRC0)
	v_mov_b32_e32 v97, v26
	s_set_gpr_idx_off
	s_add_i32 s20, s11, -5
	v_fmac_f64_e32 v[82:83], v[98:99], v[90:91]
	s_set_gpr_idx_on s19, gpr_idx(SRC0)
	v_mov_b32_e32 v96, v26
	s_set_gpr_idx_off
	s_add_i32 s21, s11, -6
	s_set_gpr_idx_on s20, gpr_idx(SRC0)
	v_mov_b32_e32 v99, v26
	s_set_gpr_idx_off
	s_add_i32 s22, s11, -3
	;; [unrolled: 4-line block ×3, first 2 shown]
	ds_read2_b64 v[88:91], v102 offset0:4 offset1:5
	s_waitcnt lgkmcnt(1)
	v_fmac_f64_e32 v[82:83], v[100:101], v[92:93]
	s_set_gpr_idx_on s22, gpr_idx(SRC0)
	v_mov_b32_e32 v101, v26
	s_set_gpr_idx_off
	s_add_i32 s28, s11, -1
	v_fmac_f64_e32 v[82:83], v[96:97], v[94:95]
	s_set_gpr_idx_on s23, gpr_idx(SRC0)
	v_mov_b32_e32 v100, v26
	s_set_gpr_idx_off
	s_add_i32 s29, s11, -2
	s_set_gpr_idx_on s28, gpr_idx(SRC0)
	v_mov_b32_e32 v97, v26
	s_set_gpr_idx_off
	s_set_gpr_idx_on s29, gpr_idx(SRC0)
	v_mov_b32_e32 v96, v26
	s_set_gpr_idx_off
	ds_read2_b64 v[92:95], v102 offset0:6 offset1:7
	s_add_u32 s4, s4, 8
	s_waitcnt lgkmcnt(1)
	v_fmac_f64_e32 v[82:83], v[98:99], v[88:89]
	s_set_gpr_idx_on s11, gpr_idx(SRC0)
	v_mov_b32_e32 v89, v27
	s_set_gpr_idx_off
	v_add_u32_e32 v84, s4, v86
	v_fmac_f64_e32 v[82:83], v[100:101], v[90:91]
	s_set_gpr_idx_on s11, gpr_idx(SRC0)
	v_mov_b32_e32 v88, v26
	s_set_gpr_idx_off
	s_addc_u32 s5, s5, 0
	s_add_i32 s10, s10, 64
	s_add_i32 s12, s4, -7
	v_cmp_eq_u32_e32 vcc, 10, v84
	s_waitcnt lgkmcnt(0)
	v_fmac_f64_e32 v[82:83], v[96:97], v[92:93]
	v_mov_b32_e32 v84, s12
	s_or_b64 s[8:9], vcc, s[8:9]
	v_fmac_f64_e32 v[82:83], v[88:89], v[94:95]
	s_andn2_b64 exec, exec, s[8:9]
	s_cbranch_execnz .LBB75_121
; %bb.122:
	s_or_b64 exec, exec, s[8:9]
.LBB75_123:
	s_or_b64 exec, exec, s[2:3]
	v_and_b32_e32 v50, 7, v87
	v_cmp_ne_u32_e32 vcc, 0, v50
	s_and_saveexec_b64 s[8:9], vcc
	s_cbranch_execz .LBB75_127
; %bb.124:
	v_mov_b32_e32 v51, 0x60
	v_lshl_add_u32 v52, v84, 3, v51
	v_mov_b32_e32 v51, 0
	s_mov_b64 s[10:11], 0
.LBB75_125:                             ; =>This Inner Loop Header: Depth=1
	v_cmp_eq_u32_e32 vcc, 1, v84
	v_cndmask_b32_e32 v53, v27, v29, vcc
	v_add_u32_e32 v50, -1, v50
	v_cmp_eq_u32_e64 s[2:3], 2, v84
	v_cndmask_b32_e64 v53, v53, v31, s[2:3]
	v_cndmask_b32_e32 v56, v26, v28, vcc
	v_cmp_eq_u32_e32 vcc, 0, v50
	v_cmp_eq_u32_e64 s[4:5], 3, v84
	v_cndmask_b32_e64 v53, v53, v33, s[4:5]
	v_cndmask_b32_e64 v56, v56, v30, s[2:3]
	s_or_b64 s[10:11], vcc, s[10:11]
	v_cmp_eq_u32_e32 vcc, 4, v84
	v_cndmask_b32_e32 v53, v53, v35, vcc
	v_cndmask_b32_e64 v56, v56, v32, s[4:5]
	v_cmp_eq_u32_e64 s[2:3], 5, v84
	v_cndmask_b32_e64 v53, v53, v37, s[2:3]
	v_cndmask_b32_e32 v56, v56, v34, vcc
	v_cmp_eq_u32_e32 vcc, 6, v84
	v_cndmask_b32_e32 v53, v53, v39, vcc
	v_cndmask_b32_e64 v56, v56, v36, s[2:3]
	v_cmp_eq_u32_e64 s[2:3], 7, v84
	v_cndmask_b32_e64 v53, v53, v41, s[2:3]
	v_cndmask_b32_e32 v56, v56, v38, vcc
	v_cmp_eq_u32_e32 vcc, 8, v84
	ds_read_b64 v[54:55], v52
	v_cndmask_b32_e32 v53, v53, v43, vcc
	v_cndmask_b32_e64 v56, v56, v40, s[2:3]
	v_cmp_eq_u32_e64 s[2:3], 9, v84
	v_cndmask_b32_e64 v53, v53, v45, s[2:3]
	v_cndmask_b32_e32 v56, v56, v42, vcc
	v_cmp_eq_u32_e32 vcc, 10, v84
	v_cndmask_b32_e32 v53, v53, v47, vcc
	v_cmp_eq_u32_e64 s[4:5], 11, v84
	v_cndmask_b32_e64 v56, v56, v44, s[2:3]
	v_cndmask_b32_e64 v57, v53, v49, s[4:5]
	v_cndmask_b32_e32 v53, v56, v46, vcc
	v_add_co_u32_e64 v84, s[2:3], 1, v84
	v_cndmask_b32_e64 v56, v53, v48, s[4:5]
	v_add_u32_e32 v52, 8, v52
	v_addc_co_u32_e64 v51, s[2:3], 0, v51, s[2:3]
	s_waitcnt lgkmcnt(0)
	v_fmac_f64_e32 v[82:83], v[56:57], v[54:55]
	s_andn2_b64 exec, exec, s[10:11]
	s_cbranch_execnz .LBB75_125
; %bb.126:
	s_or_b64 exec, exec, s[10:11]
.LBB75_127:
	s_or_b64 exec, exec, s[8:9]
.LBB75_128:
	s_or_b64 exec, exec, s[6:7]
	v_mov_b32_e32 v30, 0
	ds_read_b64 v[30:31], v30 offset:16
	s_waitcnt lgkmcnt(0)
	v_mul_f64 v[30:31], v[82:83], v[30:31]
.LBB75_129:
	s_or_b64 exec, exec, s[24:25]
	v_cmp_lt_u32_e64 s[2:3], 1, v0
	ds_write_b64 v85, v[28:29]
	s_waitcnt lgkmcnt(0)
	; wave barrier
	s_waitcnt lgkmcnt(0)
	s_and_saveexec_b64 s[24:25], s[2:3]
	s_cbranch_execz .LBB75_145
; %bb.130:
	s_andn2_b64 vcc, exec, s[26:27]
	s_cbranch_vccnz .LBB75_132
; %bb.131:
	v_cmp_eq_u32_e32 vcc, 1, v0
	v_cndmask_b32_e32 v82, v27, v29, vcc
	v_cmp_eq_u32_e64 s[4:5], 2, v0
	v_cndmask_b32_e64 v82, v82, v31, s[4:5]
	v_cmp_eq_u32_e64 s[6:7], 3, v0
	v_cndmask_b32_e64 v82, v82, v33, s[6:7]
	;; [unrolled: 2-line block ×10, first 2 shown]
	v_cndmask_b32_e32 v82, v26, v28, vcc
	v_cndmask_b32_e64 v82, v82, v30, s[4:5]
	v_cndmask_b32_e64 v82, v82, v32, s[6:7]
	;; [unrolled: 1-line block ×6, first 2 shown]
	ds_read_b64 v[86:87], v85
	v_cndmask_b32_e64 v82, v82, v42, s[16:17]
	v_cndmask_b32_e64 v82, v82, v44, s[18:19]
	;; [unrolled: 1-line block ×4, first 2 shown]
	s_waitcnt lgkmcnt(0)
	v_mul_f64 v[82:83], v[82:83], v[86:87]
	s_cbranch_execz .LBB75_133
	s_branch .LBB75_134
.LBB75_132:
                                        ; implicit-def: $vgpr82_vgpr83
.LBB75_133:
	ds_read_b64 v[82:83], v85
.LBB75_134:
	s_and_saveexec_b64 s[6:7], s[0:1]
	s_cbranch_execz .LBB75_144
; %bb.135:
	v_add_u32_e32 v84, -3, v0
	v_add_u32_e32 v87, -2, v0
	v_cmp_lt_u32_e32 vcc, 6, v84
	v_mov_b32_e32 v84, 2
	s_and_saveexec_b64 s[0:1], vcc
	s_cbranch_execz .LBB75_139
; %bb.136:
	v_and_b32_e32 v84, -8, v87
	v_sub_u32_e32 v86, 0, v84
	s_mov_b64 s[4:5], 9
	s_movk_i32 s10, 0x70
	s_mov_b64 s[8:9], 0
.LBB75_137:                             ; =>This Inner Loop Header: Depth=1
	s_lshl_b32 s11, s4, 1
	s_add_i32 s12, s11, -13
	s_add_i32 s13, s11, -14
	s_set_gpr_idx_on s12, gpr_idx(SRC0)
	v_mov_b32_e32 v105, v26
	s_set_gpr_idx_off
	v_mov_b32_e32 v84, s10
	s_add_i32 s14, s11, -11
	s_set_gpr_idx_on s13, gpr_idx(SRC0)
	v_mov_b32_e32 v104, v26
	s_set_gpr_idx_off
	s_add_i32 s15, s11, -12
	ds_read_b128 v[88:91], v84
	ds_read_b128 v[92:95], v84 offset:16
	ds_read_b128 v[96:99], v84 offset:32
	;; [unrolled: 1-line block ×3, first 2 shown]
	s_set_gpr_idx_on s14, gpr_idx(SRC0)
	v_mov_b32_e32 v107, v26
	s_set_gpr_idx_off
	s_add_i32 s16, s11, -9
	s_set_gpr_idx_on s15, gpr_idx(SRC0)
	v_mov_b32_e32 v106, v26
	s_set_gpr_idx_off
	s_add_i32 s17, s11, -10
	;; [unrolled: 4-line block ×4, first 2 shown]
	s_waitcnt lgkmcnt(3)
	v_fmac_f64_e32 v[82:83], v[104:105], v[88:89]
	s_set_gpr_idx_on s18, gpr_idx(SRC0)
	v_mov_b32_e32 v89, v26
	s_set_gpr_idx_off
	s_add_i32 s20, s11, -5
	v_fmac_f64_e32 v[82:83], v[106:107], v[90:91]
	s_set_gpr_idx_on s19, gpr_idx(SRC0)
	v_mov_b32_e32 v88, v26
	s_set_gpr_idx_off
	s_add_i32 s21, s11, -6
	s_waitcnt lgkmcnt(2)
	v_fmac_f64_e32 v[82:83], v[108:109], v[92:93]
	s_set_gpr_idx_on s20, gpr_idx(SRC0)
	v_mov_b32_e32 v91, v26
	s_set_gpr_idx_off
	s_add_i32 s22, s11, -3
	v_fmac_f64_e32 v[82:83], v[88:89], v[94:95]
	s_set_gpr_idx_on s21, gpr_idx(SRC0)
	v_mov_b32_e32 v90, v26
	s_set_gpr_idx_off
	s_add_i32 s23, s11, -4
	s_waitcnt lgkmcnt(1)
	v_fmac_f64_e32 v[82:83], v[90:91], v[96:97]
	s_set_gpr_idx_on s22, gpr_idx(SRC0)
	v_mov_b32_e32 v89, v26
	s_set_gpr_idx_off
	s_add_i32 s28, s11, -1
	s_set_gpr_idx_on s23, gpr_idx(SRC0)
	v_mov_b32_e32 v88, v26
	s_set_gpr_idx_off
	s_add_i32 s29, s11, -2
	v_fmac_f64_e32 v[82:83], v[88:89], v[98:99]
	s_set_gpr_idx_on s28, gpr_idx(SRC0)
	v_mov_b32_e32 v89, v26
	s_set_gpr_idx_off
	s_add_u32 s4, s4, 8
	s_set_gpr_idx_on s29, gpr_idx(SRC0)
	v_mov_b32_e32 v88, v26
	s_set_gpr_idx_off
	v_add_u32_e32 v84, s4, v86
	s_waitcnt lgkmcnt(0)
	v_fmac_f64_e32 v[82:83], v[88:89], v[100:101]
	s_set_gpr_idx_on s11, gpr_idx(SRC0)
	v_mov_b32_e32 v89, v27
	s_set_gpr_idx_off
	s_addc_u32 s5, s5, 0
	s_add_i32 s10, s10, 64
	s_add_i32 s12, s4, -7
	v_cmp_eq_u32_e32 vcc, 9, v84
	s_set_gpr_idx_on s11, gpr_idx(SRC0)
	v_mov_b32_e32 v88, v26
	s_set_gpr_idx_off
	v_mov_b32_e32 v84, s12
	s_or_b64 s[8:9], vcc, s[8:9]
	v_fmac_f64_e32 v[82:83], v[88:89], v[102:103]
	s_andn2_b64 exec, exec, s[8:9]
	s_cbranch_execnz .LBB75_137
; %bb.138:
	s_or_b64 exec, exec, s[8:9]
.LBB75_139:
	s_or_b64 exec, exec, s[0:1]
	v_and_b32_e32 v50, 7, v87
	v_cmp_ne_u32_e32 vcc, 0, v50
	s_and_saveexec_b64 s[8:9], vcc
	s_cbranch_execz .LBB75_143
; %bb.140:
	v_mov_b32_e32 v51, 0x60
	v_lshl_add_u32 v52, v84, 3, v51
	v_mov_b32_e32 v51, 0
	s_mov_b64 s[10:11], 0
.LBB75_141:                             ; =>This Inner Loop Header: Depth=1
	v_cmp_eq_u32_e32 vcc, 1, v84
	v_cndmask_b32_e32 v53, v27, v29, vcc
	v_add_u32_e32 v50, -1, v50
	v_cmp_eq_u32_e64 s[0:1], 2, v84
	v_cndmask_b32_e64 v53, v53, v31, s[0:1]
	v_cndmask_b32_e32 v56, v26, v28, vcc
	v_cmp_eq_u32_e32 vcc, 0, v50
	v_cmp_eq_u32_e64 s[4:5], 3, v84
	v_cndmask_b32_e64 v53, v53, v33, s[4:5]
	v_cndmask_b32_e64 v56, v56, v30, s[0:1]
	s_or_b64 s[10:11], vcc, s[10:11]
	v_cmp_eq_u32_e32 vcc, 4, v84
	v_cndmask_b32_e32 v53, v53, v35, vcc
	v_cndmask_b32_e64 v56, v56, v32, s[4:5]
	v_cmp_eq_u32_e64 s[0:1], 5, v84
	v_cndmask_b32_e64 v53, v53, v37, s[0:1]
	v_cndmask_b32_e32 v56, v56, v34, vcc
	v_cmp_eq_u32_e32 vcc, 6, v84
	v_cndmask_b32_e32 v53, v53, v39, vcc
	v_cndmask_b32_e64 v56, v56, v36, s[0:1]
	v_cmp_eq_u32_e64 s[0:1], 7, v84
	v_cndmask_b32_e64 v53, v53, v41, s[0:1]
	v_cndmask_b32_e32 v56, v56, v38, vcc
	v_cmp_eq_u32_e32 vcc, 8, v84
	ds_read_b64 v[54:55], v52
	v_cndmask_b32_e32 v53, v53, v43, vcc
	v_cndmask_b32_e64 v56, v56, v40, s[0:1]
	v_cmp_eq_u32_e64 s[0:1], 9, v84
	v_cndmask_b32_e64 v53, v53, v45, s[0:1]
	v_cndmask_b32_e32 v56, v56, v42, vcc
	v_cmp_eq_u32_e32 vcc, 10, v84
	v_cndmask_b32_e32 v53, v53, v47, vcc
	v_cmp_eq_u32_e64 s[4:5], 11, v84
	v_cndmask_b32_e64 v56, v56, v44, s[0:1]
	v_cndmask_b32_e64 v57, v53, v49, s[4:5]
	v_cndmask_b32_e32 v53, v56, v46, vcc
	v_add_co_u32_e64 v84, s[0:1], 1, v84
	v_cndmask_b32_e64 v56, v53, v48, s[4:5]
	v_add_u32_e32 v52, 8, v52
	v_addc_co_u32_e64 v51, s[0:1], 0, v51, s[0:1]
	s_waitcnt lgkmcnt(0)
	v_fmac_f64_e32 v[82:83], v[56:57], v[54:55]
	s_andn2_b64 exec, exec, s[10:11]
	s_cbranch_execnz .LBB75_141
; %bb.142:
	s_or_b64 exec, exec, s[10:11]
.LBB75_143:
	s_or_b64 exec, exec, s[8:9]
.LBB75_144:
	s_or_b64 exec, exec, s[6:7]
	v_mov_b32_e32 v28, 0
	ds_read_b64 v[28:29], v28 offset:8
	s_waitcnt lgkmcnt(0)
	v_mul_f64 v[28:29], v[82:83], v[28:29]
.LBB75_145:
	s_or_b64 exec, exec, s[24:25]
	v_cmp_ne_u32_e32 vcc, 0, v0
	ds_write_b64 v85, v[26:27]
	s_waitcnt lgkmcnt(0)
	; wave barrier
	s_waitcnt lgkmcnt(0)
	s_and_saveexec_b64 s[22:23], vcc
	s_cbranch_execz .LBB75_161
; %bb.146:
	s_andn2_b64 vcc, exec, s[26:27]
	s_cbranch_vccnz .LBB75_148
; %bb.147:
	v_cmp_eq_u32_e32 vcc, 1, v0
	v_cndmask_b32_e32 v82, v27, v29, vcc
	v_cmp_eq_u32_e64 s[0:1], 2, v0
	v_cndmask_b32_e64 v82, v82, v31, s[0:1]
	v_cmp_eq_u32_e64 s[4:5], 3, v0
	v_cndmask_b32_e64 v82, v82, v33, s[4:5]
	;; [unrolled: 2-line block ×10, first 2 shown]
	v_cndmask_b32_e32 v82, v26, v28, vcc
	v_cndmask_b32_e64 v82, v82, v30, s[0:1]
	v_cndmask_b32_e64 v82, v82, v32, s[4:5]
	;; [unrolled: 1-line block ×6, first 2 shown]
	ds_read_b64 v[86:87], v85
	v_cndmask_b32_e64 v82, v82, v42, s[14:15]
	v_cndmask_b32_e64 v82, v82, v44, s[16:17]
	;; [unrolled: 1-line block ×4, first 2 shown]
	s_waitcnt lgkmcnt(0)
	v_mul_f64 v[82:83], v[82:83], v[86:87]
	s_cbranch_execz .LBB75_149
	s_branch .LBB75_150
.LBB75_148:
                                        ; implicit-def: $vgpr82_vgpr83
.LBB75_149:
	ds_read_b64 v[82:83], v85
.LBB75_150:
	s_and_saveexec_b64 s[4:5], s[2:3]
	s_cbranch_execz .LBB75_160
; %bb.151:
	v_add_u32_e32 v84, -2, v0
	v_add_u32_e32 v87, -1, v0
	v_cmp_lt_u32_e32 vcc, 6, v84
	v_mov_b32_e32 v84, 1
	s_and_saveexec_b64 s[0:1], vcc
	s_cbranch_execz .LBB75_155
; %bb.152:
	v_and_b32_e32 v84, -8, v87
	v_sub_u32_e32 v86, 0, v84
	s_mov_b64 s[2:3], 8
	s_movk_i32 s8, 0x68
	s_mov_b64 s[6:7], 0
.LBB75_153:                             ; =>This Inner Loop Header: Depth=1
	s_lshl_b32 s9, s2, 1
	s_add_i32 s10, s9, -13
	v_mov_b32_e32 v102, s8
	s_add_i32 s11, s9, -14
	s_set_gpr_idx_on s10, gpr_idx(SRC0)
	v_mov_b32_e32 v97, v26
	s_set_gpr_idx_off
	s_add_i32 s12, s9, -11
	s_set_gpr_idx_on s11, gpr_idx(SRC0)
	v_mov_b32_e32 v96, v26
	s_set_gpr_idx_off
	ds_read2_b64 v[88:91], v102 offset1:1
	s_add_i32 s13, s9, -12
	s_set_gpr_idx_on s12, gpr_idx(SRC0)
	v_mov_b32_e32 v99, v26
	s_set_gpr_idx_off
	s_add_i32 s14, s9, -9
	s_set_gpr_idx_on s13, gpr_idx(SRC0)
	v_mov_b32_e32 v98, v26
	s_set_gpr_idx_off
	;; [unrolled: 4-line block ×4, first 2 shown]
	ds_read2_b64 v[92:95], v102 offset0:2 offset1:3
	s_add_i32 s17, s9, -8
	s_waitcnt lgkmcnt(1)
	v_fmac_f64_e32 v[82:83], v[96:97], v[88:89]
	s_set_gpr_idx_on s16, gpr_idx(SRC0)
	v_mov_b32_e32 v97, v26
	s_set_gpr_idx_off
	s_add_i32 s18, s9, -5
	v_fmac_f64_e32 v[82:83], v[98:99], v[90:91]
	s_set_gpr_idx_on s17, gpr_idx(SRC0)
	v_mov_b32_e32 v96, v26
	s_set_gpr_idx_off
	s_add_i32 s19, s9, -6
	s_set_gpr_idx_on s18, gpr_idx(SRC0)
	v_mov_b32_e32 v99, v26
	s_set_gpr_idx_off
	s_add_i32 s20, s9, -3
	;; [unrolled: 4-line block ×3, first 2 shown]
	ds_read2_b64 v[88:91], v102 offset0:4 offset1:5
	s_waitcnt lgkmcnt(1)
	v_fmac_f64_e32 v[82:83], v[100:101], v[92:93]
	s_set_gpr_idx_on s20, gpr_idx(SRC0)
	v_mov_b32_e32 v101, v26
	s_set_gpr_idx_off
	s_add_i32 s24, s9, -1
	v_fmac_f64_e32 v[82:83], v[96:97], v[94:95]
	s_set_gpr_idx_on s21, gpr_idx(SRC0)
	v_mov_b32_e32 v100, v26
	s_set_gpr_idx_off
	s_add_i32 s25, s9, -2
	s_set_gpr_idx_on s24, gpr_idx(SRC0)
	v_mov_b32_e32 v97, v26
	s_set_gpr_idx_off
	s_set_gpr_idx_on s25, gpr_idx(SRC0)
	v_mov_b32_e32 v96, v26
	s_set_gpr_idx_off
	ds_read2_b64 v[92:95], v102 offset0:6 offset1:7
	s_add_u32 s2, s2, 8
	s_waitcnt lgkmcnt(1)
	v_fmac_f64_e32 v[82:83], v[98:99], v[88:89]
	s_set_gpr_idx_on s9, gpr_idx(SRC0)
	v_mov_b32_e32 v89, v27
	s_set_gpr_idx_off
	v_add_u32_e32 v84, s2, v86
	v_fmac_f64_e32 v[82:83], v[100:101], v[90:91]
	s_set_gpr_idx_on s9, gpr_idx(SRC0)
	v_mov_b32_e32 v88, v26
	s_set_gpr_idx_off
	s_addc_u32 s3, s3, 0
	s_add_i32 s8, s8, 64
	s_add_i32 s10, s2, -7
	v_cmp_eq_u32_e32 vcc, 8, v84
	s_waitcnt lgkmcnt(0)
	v_fmac_f64_e32 v[82:83], v[96:97], v[92:93]
	v_mov_b32_e32 v84, s10
	s_or_b64 s[6:7], vcc, s[6:7]
	v_fmac_f64_e32 v[82:83], v[88:89], v[94:95]
	s_andn2_b64 exec, exec, s[6:7]
	s_cbranch_execnz .LBB75_153
; %bb.154:
	s_or_b64 exec, exec, s[6:7]
.LBB75_155:
	s_or_b64 exec, exec, s[0:1]
	v_and_b32_e32 v50, 7, v87
	v_cmp_ne_u32_e32 vcc, 0, v50
	s_and_saveexec_b64 s[6:7], vcc
	s_cbranch_execz .LBB75_159
; %bb.156:
	v_mov_b32_e32 v51, 0x60
	v_lshl_add_u32 v52, v84, 3, v51
	v_mov_b32_e32 v51, 0
	s_mov_b64 s[8:9], 0
.LBB75_157:                             ; =>This Inner Loop Header: Depth=1
	v_cmp_eq_u32_e32 vcc, 1, v84
	v_cndmask_b32_e32 v53, v27, v29, vcc
	v_add_u32_e32 v50, -1, v50
	v_cmp_eq_u32_e64 s[0:1], 2, v84
	v_cndmask_b32_e64 v53, v53, v31, s[0:1]
	v_cndmask_b32_e32 v56, v26, v28, vcc
	v_cmp_eq_u32_e32 vcc, 0, v50
	v_cmp_eq_u32_e64 s[2:3], 3, v84
	v_cndmask_b32_e64 v53, v53, v33, s[2:3]
	v_cndmask_b32_e64 v56, v56, v30, s[0:1]
	s_or_b64 s[8:9], vcc, s[8:9]
	v_cmp_eq_u32_e32 vcc, 4, v84
	v_cndmask_b32_e32 v53, v53, v35, vcc
	v_cndmask_b32_e64 v56, v56, v32, s[2:3]
	v_cmp_eq_u32_e64 s[0:1], 5, v84
	v_cndmask_b32_e64 v53, v53, v37, s[0:1]
	v_cndmask_b32_e32 v56, v56, v34, vcc
	v_cmp_eq_u32_e32 vcc, 6, v84
	v_cndmask_b32_e32 v53, v53, v39, vcc
	v_cndmask_b32_e64 v56, v56, v36, s[0:1]
	v_cmp_eq_u32_e64 s[0:1], 7, v84
	v_cndmask_b32_e64 v53, v53, v41, s[0:1]
	v_cndmask_b32_e32 v56, v56, v38, vcc
	v_cmp_eq_u32_e32 vcc, 8, v84
	ds_read_b64 v[54:55], v52
	v_cndmask_b32_e32 v53, v53, v43, vcc
	v_cndmask_b32_e64 v56, v56, v40, s[0:1]
	v_cmp_eq_u32_e64 s[0:1], 9, v84
	v_cndmask_b32_e64 v53, v53, v45, s[0:1]
	v_cndmask_b32_e32 v56, v56, v42, vcc
	v_cmp_eq_u32_e32 vcc, 10, v84
	v_cndmask_b32_e32 v53, v53, v47, vcc
	v_cmp_eq_u32_e64 s[2:3], 11, v84
	v_cndmask_b32_e64 v56, v56, v44, s[0:1]
	v_cndmask_b32_e64 v57, v53, v49, s[2:3]
	v_cndmask_b32_e32 v53, v56, v46, vcc
	v_add_co_u32_e64 v84, s[0:1], 1, v84
	v_cndmask_b32_e64 v56, v53, v48, s[2:3]
	v_add_u32_e32 v52, 8, v52
	v_addc_co_u32_e64 v51, s[0:1], 0, v51, s[0:1]
	s_waitcnt lgkmcnt(0)
	v_fmac_f64_e32 v[82:83], v[56:57], v[54:55]
	s_andn2_b64 exec, exec, s[8:9]
	s_cbranch_execnz .LBB75_157
; %bb.158:
	s_or_b64 exec, exec, s[8:9]
.LBB75_159:
	s_or_b64 exec, exec, s[6:7]
.LBB75_160:
	s_or_b64 exec, exec, s[4:5]
	v_mov_b32_e32 v26, 0
	ds_read_b64 v[26:27], v26
	s_waitcnt lgkmcnt(0)
	v_mul_f64 v[26:27], v[82:83], v[26:27]
.LBB75_161:
	s_or_b64 exec, exec, s[22:23]
	s_branch .LBB75_277
.LBB75_162:
	v_cmp_eq_u32_e64 s[2:3], 0, v0
	s_waitcnt vmcnt(11)
	ds_write_b64 v85, v[4:5]
	s_waitcnt lgkmcnt(0)
	; wave barrier
	s_waitcnt lgkmcnt(0)
	s_and_saveexec_b64 s[22:23], s[2:3]
	s_cbranch_execz .LBB75_168
; %bb.163:
	s_and_b64 vcc, exec, s[26:27]
	s_cbranch_vccz .LBB75_165
; %bb.164:
	v_cmp_eq_u32_e32 vcc, 1, v0
	s_waitcnt vmcnt(1)
	v_cndmask_b32_e32 v5, v3, v5, vcc
	v_cmp_eq_u32_e64 s[0:1], 2, v0
	v_cndmask_b32_e32 v4, v2, v4, vcc
	v_cndmask_b32_e64 v5, v5, v7, s[0:1]
	v_cmp_eq_u32_e64 s[4:5], 3, v0
	v_cndmask_b32_e64 v4, v4, v6, s[0:1]
	v_cndmask_b32_e64 v5, v5, v9, s[4:5]
	v_cmp_eq_u32_e64 s[6:7], 4, v0
	v_cndmask_b32_e64 v4, v4, v8, s[4:5]
	;; [unrolled: 3-line block ×6, first 2 shown]
	ds_read_b64 v[26:27], v85
	v_cndmask_b32_e64 v5, v5, v19, s[14:15]
	v_cmp_eq_u32_e64 s[16:17], 9, v0
	v_cndmask_b32_e64 v4, v4, v18, s[14:15]
	v_cndmask_b32_e64 v5, v5, v21, s[16:17]
	v_cmp_eq_u32_e64 s[18:19], 10, v0
	v_cndmask_b32_e64 v4, v4, v20, s[16:17]
	;; [unrolled: 3-line block ×3, first 2 shown]
	s_waitcnt vmcnt(0)
	v_cndmask_b32_e64 v5, v5, v25, s[20:21]
	v_cndmask_b32_e64 v4, v4, v24, s[20:21]
	s_waitcnt lgkmcnt(0)
	v_mul_f64 v[4:5], v[4:5], v[26:27]
	s_cbranch_execz .LBB75_166
	s_branch .LBB75_167
.LBB75_165:
                                        ; implicit-def: $vgpr4_vgpr5
.LBB75_166:
	ds_read_b64 v[4:5], v85
.LBB75_167:
	v_mov_b32_e32 v26, 0
	ds_read_b64 v[26:27], v26 offset:8
	s_waitcnt lgkmcnt(0)
	v_mul_f64 v[4:5], v[4:5], v[26:27]
.LBB75_168:
	s_or_b64 exec, exec, s[22:23]
	v_cndmask_b32_e64 v26, 0, 1, s[26:27]
	v_add_u32_e32 v30, 1, v0
	v_cmp_gt_u32_e32 vcc, 2, v0
	v_cmp_ne_u32_e64 s[0:1], 1, v26
	s_waitcnt vmcnt(10)
	ds_write_b64 v85, v[6:7]
	s_waitcnt lgkmcnt(0)
	; wave barrier
	s_waitcnt lgkmcnt(0)
	s_and_saveexec_b64 s[24:25], vcc
	s_cbranch_execz .LBB75_176
; %bb.169:
	s_and_b64 vcc, exec, s[0:1]
	s_cbranch_vccnz .LBB75_171
; %bb.170:
	v_cmp_eq_u32_e32 vcc, 1, v0
	s_waitcnt vmcnt(1)
	v_cndmask_b32_e32 v26, v3, v5, vcc
	v_cmp_eq_u32_e64 s[4:5], 2, v0
	v_cndmask_b32_e64 v26, v26, v7, s[4:5]
	v_cmp_eq_u32_e64 s[6:7], 3, v0
	v_cndmask_b32_e64 v26, v26, v9, s[6:7]
	;; [unrolled: 2-line block ×9, first 2 shown]
	v_cmp_eq_u32_e64 s[22:23], 11, v0
	s_waitcnt vmcnt(0)
	v_cndmask_b32_e64 v27, v26, v25, s[22:23]
	v_cndmask_b32_e32 v26, v2, v4, vcc
	v_cndmask_b32_e64 v26, v26, v6, s[4:5]
	v_cndmask_b32_e64 v26, v26, v8, s[6:7]
	;; [unrolled: 1-line block ×6, first 2 shown]
	ds_read_b64 v[28:29], v85
	v_cndmask_b32_e64 v26, v26, v18, s[16:17]
	v_cndmask_b32_e64 v26, v26, v20, s[18:19]
	;; [unrolled: 1-line block ×4, first 2 shown]
	s_waitcnt lgkmcnt(0)
	v_mul_f64 v[26:27], v[26:27], v[28:29]
	s_cbranch_execz .LBB75_172
	s_branch .LBB75_173
.LBB75_171:
                                        ; implicit-def: $vgpr26_vgpr27
.LBB75_172:
	ds_read_b64 v[26:27], v85
.LBB75_173:
	s_and_saveexec_b64 s[26:27], s[2:3]
	s_cbranch_execz .LBB75_175
; %bb.174:
	v_cmp_eq_u32_e32 vcc, 1, v30
	s_waitcnt vmcnt(1)
	v_cndmask_b32_e32 v28, v3, v5, vcc
	v_cmp_eq_u32_e64 s[4:5], 2, v30
	v_cndmask_b32_e64 v7, v28, v7, s[4:5]
	v_cndmask_b32_e32 v28, v2, v4, vcc
	v_cmp_eq_u32_e64 s[6:7], 3, v30
	v_cndmask_b32_e64 v6, v28, v6, s[4:5]
	v_cndmask_b32_e64 v7, v7, v9, s[6:7]
	v_cmp_eq_u32_e64 s[8:9], 4, v30
	v_cndmask_b32_e64 v6, v6, v8, s[6:7]
	v_cndmask_b32_e64 v7, v7, v11, s[8:9]
	;; [unrolled: 3-line block ×5, first 2 shown]
	v_cmp_eq_u32_e64 s[16:17], 8, v30
	v_cndmask_b32_e64 v6, v6, v16, s[14:15]
	ds_read_b64 v[28:29], v85 offset:8
	v_cndmask_b32_e64 v7, v7, v19, s[16:17]
	v_cmp_eq_u32_e64 s[18:19], 9, v30
	v_cndmask_b32_e64 v6, v6, v18, s[16:17]
	v_cndmask_b32_e64 v7, v7, v21, s[18:19]
	v_cmp_eq_u32_e64 s[20:21], 10, v30
	v_cndmask_b32_e64 v6, v6, v20, s[18:19]
	;; [unrolled: 3-line block ×3, first 2 shown]
	s_waitcnt vmcnt(0)
	v_cndmask_b32_e64 v7, v7, v25, s[22:23]
	v_cndmask_b32_e64 v6, v6, v24, s[22:23]
	s_waitcnt lgkmcnt(0)
	v_fmac_f64_e32 v[26:27], v[6:7], v[28:29]
.LBB75_175:
	s_or_b64 exec, exec, s[26:27]
	v_mov_b32_e32 v6, 0
	ds_read_b64 v[6:7], v6 offset:16
	s_waitcnt lgkmcnt(0)
	v_mul_f64 v[6:7], v[26:27], v[6:7]
.LBB75_176:
	s_or_b64 exec, exec, s[24:25]
	v_cmp_gt_u32_e64 s[4:5], 3, v0
	s_waitcnt vmcnt(9)
	ds_write_b64 v85, v[8:9]
	s_waitcnt lgkmcnt(0)
	; wave barrier
	s_waitcnt lgkmcnt(0)
	s_and_saveexec_b64 s[26:27], s[4:5]
	s_cbranch_execz .LBB75_184
; %bb.177:
	s_and_b64 vcc, exec, s[0:1]
	s_cbranch_vccnz .LBB75_179
; %bb.178:
	v_cmp_eq_u32_e32 vcc, 1, v0
	s_waitcnt vmcnt(1)
	v_cndmask_b32_e32 v26, v3, v5, vcc
	v_cmp_eq_u32_e64 s[6:7], 2, v0
	v_cndmask_b32_e64 v26, v26, v7, s[6:7]
	v_cmp_eq_u32_e64 s[8:9], 3, v0
	v_cndmask_b32_e64 v26, v26, v9, s[8:9]
	;; [unrolled: 2-line block ×9, first 2 shown]
	v_cmp_eq_u32_e64 s[24:25], 11, v0
	s_waitcnt vmcnt(0)
	v_cndmask_b32_e64 v27, v26, v25, s[24:25]
	v_cndmask_b32_e32 v26, v2, v4, vcc
	v_cndmask_b32_e64 v26, v26, v6, s[6:7]
	v_cndmask_b32_e64 v26, v26, v8, s[8:9]
	;; [unrolled: 1-line block ×6, first 2 shown]
	ds_read_b64 v[28:29], v85
	v_cndmask_b32_e64 v26, v26, v18, s[18:19]
	v_cndmask_b32_e64 v26, v26, v20, s[20:21]
	;; [unrolled: 1-line block ×4, first 2 shown]
	s_waitcnt lgkmcnt(0)
	v_mul_f64 v[26:27], v[26:27], v[28:29]
	s_cbranch_execz .LBB75_180
	s_branch .LBB75_181
.LBB75_179:
                                        ; implicit-def: $vgpr26_vgpr27
.LBB75_180:
	ds_read_b64 v[26:27], v85
.LBB75_181:
	v_cmp_ne_u32_e32 vcc, 2, v0
	s_and_saveexec_b64 s[28:29], vcc
	s_cbranch_execz .LBB75_183
; %bb.182:
	v_cmp_eq_u32_e32 vcc, 1, v30
	s_waitcnt vmcnt(1)
	v_cndmask_b32_e32 v28, v3, v5, vcc
	v_cmp_eq_u32_e64 s[6:7], 2, v30
	v_cndmask_b32_e64 v28, v28, v7, s[6:7]
	v_cmp_eq_u32_e64 s[8:9], 3, v30
	v_cndmask_b32_e64 v9, v28, v9, s[8:9]
	v_cndmask_b32_e32 v28, v2, v4, vcc
	v_cndmask_b32_e64 v28, v28, v6, s[6:7]
	v_cmp_eq_u32_e64 s[10:11], 4, v30
	v_cndmask_b32_e64 v8, v28, v8, s[8:9]
	v_cndmask_b32_e64 v9, v9, v11, s[10:11]
	v_cmp_eq_u32_e64 s[12:13], 5, v30
	v_cndmask_b32_e64 v8, v8, v10, s[10:11]
	;; [unrolled: 3-line block ×6, first 2 shown]
	v_mov_b32_e32 v31, 0
	ds_read_b64 v[28:29], v85 offset:8
	ds_read_b64 v[32:33], v31 offset:112
	v_cndmask_b32_e64 v9, v9, v21, s[20:21]
	v_cmp_eq_u32_e64 s[22:23], 10, v30
	v_cndmask_b32_e64 v8, v8, v20, s[20:21]
	v_cndmask_b32_e64 v9, v9, v23, s[22:23]
	v_cmp_eq_u32_e64 s[24:25], 11, v30
	v_cndmask_b32_e64 v8, v8, v22, s[22:23]
	s_waitcnt vmcnt(0)
	v_cndmask_b32_e64 v9, v9, v25, s[24:25]
	v_cndmask_b32_e64 v8, v8, v24, s[24:25]
	s_waitcnt lgkmcnt(1)
	v_fmac_f64_e32 v[26:27], v[8:9], v[28:29]
	s_waitcnt lgkmcnt(0)
	v_fma_f64 v[8:9], v[6:7], v[32:33], v[26:27]
	v_cndmask_b32_e64 v27, v27, v9, s[2:3]
	v_cndmask_b32_e64 v26, v26, v8, s[2:3]
.LBB75_183:
	s_or_b64 exec, exec, s[28:29]
	v_mov_b32_e32 v8, 0
	ds_read_b64 v[8:9], v8 offset:24
	s_waitcnt lgkmcnt(0)
	v_mul_f64 v[8:9], v[26:27], v[8:9]
.LBB75_184:
	s_or_b64 exec, exec, s[26:27]
	v_cmp_gt_u32_e32 vcc, 4, v0
	s_waitcnt vmcnt(8)
	ds_write_b64 v85, v[10:11]
	s_waitcnt lgkmcnt(0)
	; wave barrier
	s_waitcnt lgkmcnt(0)
	s_and_saveexec_b64 s[26:27], vcc
	s_cbranch_execz .LBB75_194
; %bb.185:
	s_and_b64 vcc, exec, s[0:1]
	s_cbranch_vccnz .LBB75_187
; %bb.186:
	v_cmp_eq_u32_e32 vcc, 1, v0
	s_waitcnt vmcnt(1)
	v_cndmask_b32_e32 v26, v3, v5, vcc
	v_cmp_eq_u32_e64 s[6:7], 2, v0
	v_cndmask_b32_e64 v26, v26, v7, s[6:7]
	v_cmp_eq_u32_e64 s[8:9], 3, v0
	v_cndmask_b32_e64 v26, v26, v9, s[8:9]
	;; [unrolled: 2-line block ×9, first 2 shown]
	v_cmp_eq_u32_e64 s[24:25], 11, v0
	s_waitcnt vmcnt(0)
	v_cndmask_b32_e64 v27, v26, v25, s[24:25]
	v_cndmask_b32_e32 v26, v2, v4, vcc
	v_cndmask_b32_e64 v26, v26, v6, s[6:7]
	v_cndmask_b32_e64 v26, v26, v8, s[8:9]
	;; [unrolled: 1-line block ×6, first 2 shown]
	ds_read_b64 v[28:29], v85
	v_cndmask_b32_e64 v26, v26, v18, s[18:19]
	v_cndmask_b32_e64 v26, v26, v20, s[20:21]
	;; [unrolled: 1-line block ×4, first 2 shown]
	s_waitcnt lgkmcnt(0)
	v_mul_f64 v[26:27], v[26:27], v[28:29]
	s_cbranch_execz .LBB75_188
	s_branch .LBB75_189
.LBB75_187:
                                        ; implicit-def: $vgpr26_vgpr27
.LBB75_188:
	ds_read_b64 v[26:27], v85
.LBB75_189:
	v_cmp_ne_u32_e32 vcc, 3, v0
	s_and_saveexec_b64 s[10:11], vcc
	s_cbranch_execz .LBB75_193
; %bb.190:
	v_mov_b32_e32 v28, 0x68
	v_lshl_add_u32 v31, v0, 3, v28
	s_mov_b64 s[12:13], 0
	v_pk_mov_b32 v[28:29], v[0:1], v[0:1] op_sel:[0,1]
.LBB75_191:                             ; =>This Inner Loop Header: Depth=1
	v_add_co_u32_e32 v28, vcc, 1, v28
	v_addc_co_u32_e32 v29, vcc, 0, v29, vcc
	v_cmp_eq_u32_e32 vcc, 1, v28
	s_waitcnt vmcnt(1)
	v_cndmask_b32_e32 v34, v3, v5, vcc
	v_cmp_eq_u32_e64 s[8:9], 2, v28
	v_cmp_lt_u32_e64 s[6:7], 2, v28
	v_cndmask_b32_e64 v34, v34, v7, s[8:9]
	v_cndmask_b32_e32 v35, v2, v4, vcc
	v_cmp_eq_u32_e32 vcc, 3, v28
	s_or_b64 s[12:13], s[6:7], s[12:13]
	v_cndmask_b32_e32 v34, v34, v9, vcc
	v_cndmask_b32_e64 v35, v35, v6, s[8:9]
	v_cmp_eq_u32_e64 s[6:7], 4, v28
	v_cndmask_b32_e64 v34, v34, v11, s[6:7]
	v_cndmask_b32_e32 v35, v35, v8, vcc
	v_cmp_eq_u32_e32 vcc, 5, v28
	v_cndmask_b32_e32 v34, v34, v13, vcc
	v_cndmask_b32_e64 v35, v35, v10, s[6:7]
	v_cmp_eq_u32_e64 s[6:7], 6, v28
	v_cndmask_b32_e64 v34, v34, v15, s[6:7]
	v_cndmask_b32_e32 v35, v35, v12, vcc
	v_cmp_eq_u32_e32 vcc, 7, v28
	v_cndmask_b32_e32 v34, v34, v17, vcc
	v_cndmask_b32_e64 v35, v35, v14, s[6:7]
	v_cmp_eq_u32_e64 s[6:7], 8, v28
	ds_read_b64 v[32:33], v31
	v_cndmask_b32_e64 v34, v34, v19, s[6:7]
	v_cndmask_b32_e32 v35, v35, v16, vcc
	v_cmp_eq_u32_e32 vcc, 9, v28
	v_cndmask_b32_e32 v34, v34, v21, vcc
	v_cndmask_b32_e64 v35, v35, v18, s[6:7]
	v_cmp_eq_u32_e64 s[6:7], 10, v28
	v_cndmask_b32_e64 v34, v34, v23, s[6:7]
	v_cndmask_b32_e32 v36, v35, v20, vcc
	v_cmp_eq_u32_e32 vcc, 11, v28
	s_waitcnt vmcnt(0)
	v_cndmask_b32_e32 v35, v34, v25, vcc
	v_cndmask_b32_e64 v34, v36, v22, s[6:7]
	v_cndmask_b32_e32 v34, v34, v24, vcc
	v_add_u32_e32 v31, 8, v31
	s_waitcnt lgkmcnt(0)
	v_fmac_f64_e32 v[26:27], v[34:35], v[32:33]
	s_andn2_b64 exec, exec, s[12:13]
	s_cbranch_execnz .LBB75_191
; %bb.192:
	s_or_b64 exec, exec, s[12:13]
.LBB75_193:
	s_or_b64 exec, exec, s[10:11]
	v_mov_b32_e32 v10, 0
	ds_read_b64 v[10:11], v10 offset:32
	s_waitcnt lgkmcnt(0)
	v_mul_f64 v[10:11], v[26:27], v[10:11]
.LBB75_194:
	s_or_b64 exec, exec, s[26:27]
	v_cmp_gt_u32_e64 s[6:7], 5, v0
	s_waitcnt vmcnt(7)
	ds_write_b64 v85, v[12:13]
	s_waitcnt lgkmcnt(0)
	; wave barrier
	s_waitcnt lgkmcnt(0)
	s_and_saveexec_b64 s[28:29], s[6:7]
	s_cbranch_execz .LBB75_204
; %bb.195:
	s_and_b64 vcc, exec, s[0:1]
	s_cbranch_vccnz .LBB75_197
; %bb.196:
	v_cmp_eq_u32_e32 vcc, 1, v0
	s_waitcnt vmcnt(1)
	v_cndmask_b32_e32 v26, v3, v5, vcc
	v_cmp_eq_u32_e64 s[8:9], 2, v0
	v_cndmask_b32_e64 v26, v26, v7, s[8:9]
	v_cmp_eq_u32_e64 s[10:11], 3, v0
	v_cndmask_b32_e64 v26, v26, v9, s[10:11]
	;; [unrolled: 2-line block ×9, first 2 shown]
	v_cmp_eq_u32_e64 s[26:27], 11, v0
	s_waitcnt vmcnt(0)
	v_cndmask_b32_e64 v27, v26, v25, s[26:27]
	v_cndmask_b32_e32 v26, v2, v4, vcc
	v_cndmask_b32_e64 v26, v26, v6, s[8:9]
	v_cndmask_b32_e64 v26, v26, v8, s[10:11]
	;; [unrolled: 1-line block ×6, first 2 shown]
	ds_read_b64 v[28:29], v85
	v_cndmask_b32_e64 v26, v26, v18, s[20:21]
	v_cndmask_b32_e64 v26, v26, v20, s[22:23]
	;; [unrolled: 1-line block ×4, first 2 shown]
	s_waitcnt lgkmcnt(0)
	v_mul_f64 v[26:27], v[26:27], v[28:29]
	s_cbranch_execz .LBB75_198
	s_branch .LBB75_199
.LBB75_197:
                                        ; implicit-def: $vgpr26_vgpr27
.LBB75_198:
	ds_read_b64 v[26:27], v85
.LBB75_199:
	v_cmp_ne_u32_e32 vcc, 4, v0
	s_and_saveexec_b64 s[12:13], vcc
	s_cbranch_execz .LBB75_203
; %bb.200:
	v_mov_b32_e32 v28, 0x68
	v_lshl_add_u32 v31, v0, 3, v28
	s_mov_b64 s[14:15], 0
	v_pk_mov_b32 v[28:29], v[0:1], v[0:1] op_sel:[0,1]
.LBB75_201:                             ; =>This Inner Loop Header: Depth=1
	v_add_co_u32_e32 v28, vcc, 1, v28
	v_addc_co_u32_e32 v29, vcc, 0, v29, vcc
	v_cmp_eq_u32_e32 vcc, 1, v28
	s_waitcnt vmcnt(1)
	v_cndmask_b32_e32 v34, v3, v5, vcc
	v_cmp_eq_u32_e64 s[10:11], 2, v28
	v_cmp_lt_u32_e64 s[8:9], 3, v28
	v_cndmask_b32_e64 v34, v34, v7, s[10:11]
	v_cndmask_b32_e32 v35, v2, v4, vcc
	v_cmp_eq_u32_e32 vcc, 3, v28
	s_or_b64 s[14:15], s[8:9], s[14:15]
	v_cndmask_b32_e32 v34, v34, v9, vcc
	v_cndmask_b32_e64 v35, v35, v6, s[10:11]
	v_cmp_eq_u32_e64 s[8:9], 4, v28
	v_cndmask_b32_e64 v34, v34, v11, s[8:9]
	v_cndmask_b32_e32 v35, v35, v8, vcc
	v_cmp_eq_u32_e32 vcc, 5, v28
	v_cndmask_b32_e32 v34, v34, v13, vcc
	v_cndmask_b32_e64 v35, v35, v10, s[8:9]
	v_cmp_eq_u32_e64 s[8:9], 6, v28
	v_cndmask_b32_e64 v34, v34, v15, s[8:9]
	v_cndmask_b32_e32 v35, v35, v12, vcc
	v_cmp_eq_u32_e32 vcc, 7, v28
	v_cndmask_b32_e32 v34, v34, v17, vcc
	v_cndmask_b32_e64 v35, v35, v14, s[8:9]
	v_cmp_eq_u32_e64 s[8:9], 8, v28
	ds_read_b64 v[32:33], v31
	v_cndmask_b32_e64 v34, v34, v19, s[8:9]
	v_cndmask_b32_e32 v35, v35, v16, vcc
	v_cmp_eq_u32_e32 vcc, 9, v28
	v_cndmask_b32_e32 v34, v34, v21, vcc
	v_cndmask_b32_e64 v35, v35, v18, s[8:9]
	v_cmp_eq_u32_e64 s[8:9], 10, v28
	v_cndmask_b32_e64 v34, v34, v23, s[8:9]
	v_cndmask_b32_e32 v36, v35, v20, vcc
	v_cmp_eq_u32_e32 vcc, 11, v28
	s_waitcnt vmcnt(0)
	v_cndmask_b32_e32 v35, v34, v25, vcc
	v_cndmask_b32_e64 v34, v36, v22, s[8:9]
	v_cndmask_b32_e32 v34, v34, v24, vcc
	v_add_u32_e32 v31, 8, v31
	s_waitcnt lgkmcnt(0)
	v_fmac_f64_e32 v[26:27], v[34:35], v[32:33]
	s_andn2_b64 exec, exec, s[14:15]
	s_cbranch_execnz .LBB75_201
; %bb.202:
	s_or_b64 exec, exec, s[14:15]
.LBB75_203:
	s_or_b64 exec, exec, s[12:13]
	v_mov_b32_e32 v12, 0
	ds_read_b64 v[12:13], v12 offset:40
	s_waitcnt lgkmcnt(0)
	v_mul_f64 v[12:13], v[26:27], v[12:13]
.LBB75_204:
	s_or_b64 exec, exec, s[28:29]
	v_cmp_gt_u32_e32 vcc, 6, v0
	s_waitcnt vmcnt(6)
	ds_write_b64 v85, v[14:15]
	s_waitcnt lgkmcnt(0)
	; wave barrier
	s_waitcnt lgkmcnt(0)
	s_and_saveexec_b64 s[28:29], vcc
	s_cbranch_execz .LBB75_214
; %bb.205:
	s_and_b64 vcc, exec, s[0:1]
	s_cbranch_vccnz .LBB75_207
; %bb.206:
	v_cmp_eq_u32_e32 vcc, 1, v0
	s_waitcnt vmcnt(1)
	v_cndmask_b32_e32 v26, v3, v5, vcc
	v_cmp_eq_u32_e64 s[8:9], 2, v0
	v_cndmask_b32_e64 v26, v26, v7, s[8:9]
	v_cmp_eq_u32_e64 s[10:11], 3, v0
	v_cndmask_b32_e64 v26, v26, v9, s[10:11]
	;; [unrolled: 2-line block ×9, first 2 shown]
	v_cmp_eq_u32_e64 s[26:27], 11, v0
	s_waitcnt vmcnt(0)
	v_cndmask_b32_e64 v27, v26, v25, s[26:27]
	v_cndmask_b32_e32 v26, v2, v4, vcc
	v_cndmask_b32_e64 v26, v26, v6, s[8:9]
	v_cndmask_b32_e64 v26, v26, v8, s[10:11]
	;; [unrolled: 1-line block ×6, first 2 shown]
	ds_read_b64 v[28:29], v85
	v_cndmask_b32_e64 v26, v26, v18, s[20:21]
	v_cndmask_b32_e64 v26, v26, v20, s[22:23]
	;; [unrolled: 1-line block ×4, first 2 shown]
	s_waitcnt lgkmcnt(0)
	v_mul_f64 v[26:27], v[26:27], v[28:29]
	s_cbranch_execz .LBB75_208
	s_branch .LBB75_209
.LBB75_207:
                                        ; implicit-def: $vgpr26_vgpr27
.LBB75_208:
	ds_read_b64 v[26:27], v85
.LBB75_209:
	v_cmp_ne_u32_e32 vcc, 5, v0
	s_and_saveexec_b64 s[12:13], vcc
	s_cbranch_execz .LBB75_213
; %bb.210:
	v_mov_b32_e32 v28, 0x68
	v_lshl_add_u32 v31, v0, 3, v28
	s_mov_b64 s[14:15], 0
	v_pk_mov_b32 v[28:29], v[0:1], v[0:1] op_sel:[0,1]
.LBB75_211:                             ; =>This Inner Loop Header: Depth=1
	v_add_co_u32_e32 v28, vcc, 1, v28
	v_addc_co_u32_e32 v29, vcc, 0, v29, vcc
	v_cmp_eq_u32_e32 vcc, 1, v28
	s_waitcnt vmcnt(1)
	v_cndmask_b32_e32 v34, v3, v5, vcc
	v_cmp_eq_u32_e64 s[10:11], 2, v28
	v_cmp_lt_u32_e64 s[8:9], 4, v28
	v_cndmask_b32_e64 v34, v34, v7, s[10:11]
	v_cndmask_b32_e32 v35, v2, v4, vcc
	v_cmp_eq_u32_e32 vcc, 3, v28
	s_or_b64 s[14:15], s[8:9], s[14:15]
	v_cndmask_b32_e32 v34, v34, v9, vcc
	v_cndmask_b32_e64 v35, v35, v6, s[10:11]
	v_cmp_eq_u32_e64 s[8:9], 4, v28
	v_cndmask_b32_e64 v34, v34, v11, s[8:9]
	v_cndmask_b32_e32 v35, v35, v8, vcc
	v_cmp_eq_u32_e32 vcc, 5, v28
	v_cndmask_b32_e32 v34, v34, v13, vcc
	v_cndmask_b32_e64 v35, v35, v10, s[8:9]
	v_cmp_eq_u32_e64 s[8:9], 6, v28
	v_cndmask_b32_e64 v34, v34, v15, s[8:9]
	v_cndmask_b32_e32 v35, v35, v12, vcc
	v_cmp_eq_u32_e32 vcc, 7, v28
	v_cndmask_b32_e32 v34, v34, v17, vcc
	v_cndmask_b32_e64 v35, v35, v14, s[8:9]
	v_cmp_eq_u32_e64 s[8:9], 8, v28
	ds_read_b64 v[32:33], v31
	v_cndmask_b32_e64 v34, v34, v19, s[8:9]
	v_cndmask_b32_e32 v35, v35, v16, vcc
	v_cmp_eq_u32_e32 vcc, 9, v28
	v_cndmask_b32_e32 v34, v34, v21, vcc
	v_cndmask_b32_e64 v35, v35, v18, s[8:9]
	v_cmp_eq_u32_e64 s[8:9], 10, v28
	v_cndmask_b32_e64 v34, v34, v23, s[8:9]
	v_cndmask_b32_e32 v36, v35, v20, vcc
	v_cmp_eq_u32_e32 vcc, 11, v28
	s_waitcnt vmcnt(0)
	v_cndmask_b32_e32 v35, v34, v25, vcc
	v_cndmask_b32_e64 v34, v36, v22, s[8:9]
	v_cndmask_b32_e32 v34, v34, v24, vcc
	v_add_u32_e32 v31, 8, v31
	s_waitcnt lgkmcnt(0)
	v_fmac_f64_e32 v[26:27], v[34:35], v[32:33]
	s_andn2_b64 exec, exec, s[14:15]
	s_cbranch_execnz .LBB75_211
; %bb.212:
	s_or_b64 exec, exec, s[14:15]
.LBB75_213:
	s_or_b64 exec, exec, s[12:13]
	v_mov_b32_e32 v14, 0
	ds_read_b64 v[14:15], v14 offset:48
	s_waitcnt lgkmcnt(0)
	v_mul_f64 v[14:15], v[26:27], v[14:15]
.LBB75_214:
	s_or_b64 exec, exec, s[28:29]
	v_cmp_gt_u32_e64 s[8:9], 7, v0
	s_waitcnt vmcnt(5)
	ds_write_b64 v85, v[16:17]
	s_waitcnt lgkmcnt(0)
	; wave barrier
	s_waitcnt lgkmcnt(0)
	s_and_saveexec_b64 s[30:31], s[8:9]
	s_cbranch_execz .LBB75_224
; %bb.215:
	s_and_b64 vcc, exec, s[0:1]
	s_cbranch_vccnz .LBB75_217
; %bb.216:
	v_cmp_eq_u32_e32 vcc, 1, v0
	s_waitcnt vmcnt(1)
	v_cndmask_b32_e32 v26, v3, v5, vcc
	v_cmp_eq_u32_e64 s[10:11], 2, v0
	v_cndmask_b32_e64 v26, v26, v7, s[10:11]
	v_cmp_eq_u32_e64 s[12:13], 3, v0
	v_cndmask_b32_e64 v26, v26, v9, s[12:13]
	;; [unrolled: 2-line block ×9, first 2 shown]
	v_cmp_eq_u32_e64 s[28:29], 11, v0
	s_waitcnt vmcnt(0)
	v_cndmask_b32_e64 v27, v26, v25, s[28:29]
	v_cndmask_b32_e32 v26, v2, v4, vcc
	v_cndmask_b32_e64 v26, v26, v6, s[10:11]
	v_cndmask_b32_e64 v26, v26, v8, s[12:13]
	;; [unrolled: 1-line block ×6, first 2 shown]
	ds_read_b64 v[28:29], v85
	v_cndmask_b32_e64 v26, v26, v18, s[22:23]
	v_cndmask_b32_e64 v26, v26, v20, s[24:25]
	;; [unrolled: 1-line block ×4, first 2 shown]
	s_waitcnt lgkmcnt(0)
	v_mul_f64 v[26:27], v[26:27], v[28:29]
	s_cbranch_execz .LBB75_218
	s_branch .LBB75_219
.LBB75_217:
                                        ; implicit-def: $vgpr26_vgpr27
.LBB75_218:
	ds_read_b64 v[26:27], v85
.LBB75_219:
	v_cmp_ne_u32_e32 vcc, 6, v0
	s_and_saveexec_b64 s[14:15], vcc
	s_cbranch_execz .LBB75_223
; %bb.220:
	v_mov_b32_e32 v28, 0x68
	v_lshl_add_u32 v31, v0, 3, v28
	s_mov_b64 s[16:17], 0
	v_pk_mov_b32 v[28:29], v[0:1], v[0:1] op_sel:[0,1]
.LBB75_221:                             ; =>This Inner Loop Header: Depth=1
	v_add_co_u32_e32 v28, vcc, 1, v28
	v_addc_co_u32_e32 v29, vcc, 0, v29, vcc
	v_cmp_eq_u32_e32 vcc, 1, v28
	s_waitcnt vmcnt(1)
	v_cndmask_b32_e32 v34, v3, v5, vcc
	v_cmp_eq_u32_e64 s[12:13], 2, v28
	v_cmp_lt_u32_e64 s[10:11], 5, v28
	v_cndmask_b32_e64 v34, v34, v7, s[12:13]
	v_cndmask_b32_e32 v35, v2, v4, vcc
	v_cmp_eq_u32_e32 vcc, 3, v28
	s_or_b64 s[16:17], s[10:11], s[16:17]
	v_cndmask_b32_e32 v34, v34, v9, vcc
	v_cndmask_b32_e64 v35, v35, v6, s[12:13]
	v_cmp_eq_u32_e64 s[10:11], 4, v28
	v_cndmask_b32_e64 v34, v34, v11, s[10:11]
	v_cndmask_b32_e32 v35, v35, v8, vcc
	v_cmp_eq_u32_e32 vcc, 5, v28
	v_cndmask_b32_e32 v34, v34, v13, vcc
	v_cndmask_b32_e64 v35, v35, v10, s[10:11]
	v_cmp_eq_u32_e64 s[10:11], 6, v28
	v_cndmask_b32_e64 v34, v34, v15, s[10:11]
	v_cndmask_b32_e32 v35, v35, v12, vcc
	v_cmp_eq_u32_e32 vcc, 7, v28
	v_cndmask_b32_e32 v34, v34, v17, vcc
	v_cndmask_b32_e64 v35, v35, v14, s[10:11]
	v_cmp_eq_u32_e64 s[10:11], 8, v28
	ds_read_b64 v[32:33], v31
	v_cndmask_b32_e64 v34, v34, v19, s[10:11]
	v_cndmask_b32_e32 v35, v35, v16, vcc
	v_cmp_eq_u32_e32 vcc, 9, v28
	v_cndmask_b32_e32 v34, v34, v21, vcc
	v_cndmask_b32_e64 v35, v35, v18, s[10:11]
	v_cmp_eq_u32_e64 s[10:11], 10, v28
	v_cndmask_b32_e64 v34, v34, v23, s[10:11]
	v_cndmask_b32_e32 v36, v35, v20, vcc
	v_cmp_eq_u32_e32 vcc, 11, v28
	s_waitcnt vmcnt(0)
	v_cndmask_b32_e32 v35, v34, v25, vcc
	v_cndmask_b32_e64 v34, v36, v22, s[10:11]
	v_cndmask_b32_e32 v34, v34, v24, vcc
	v_add_u32_e32 v31, 8, v31
	s_waitcnt lgkmcnt(0)
	v_fmac_f64_e32 v[26:27], v[34:35], v[32:33]
	s_andn2_b64 exec, exec, s[16:17]
	s_cbranch_execnz .LBB75_221
; %bb.222:
	s_or_b64 exec, exec, s[16:17]
.LBB75_223:
	s_or_b64 exec, exec, s[14:15]
	v_mov_b32_e32 v16, 0
	ds_read_b64 v[16:17], v16 offset:56
	s_waitcnt lgkmcnt(0)
	v_mul_f64 v[16:17], v[26:27], v[16:17]
.LBB75_224:
	s_or_b64 exec, exec, s[30:31]
	v_cmp_gt_u32_e32 vcc, 8, v0
	s_waitcnt vmcnt(4)
	ds_write_b64 v85, v[18:19]
	s_waitcnt lgkmcnt(0)
	; wave barrier
	s_waitcnt lgkmcnt(0)
	s_and_saveexec_b64 s[30:31], vcc
	s_cbranch_execz .LBB75_234
; %bb.225:
	s_and_b64 vcc, exec, s[0:1]
	s_cbranch_vccnz .LBB75_227
; %bb.226:
	v_cmp_eq_u32_e32 vcc, 1, v0
	s_waitcnt vmcnt(1)
	v_cndmask_b32_e32 v26, v3, v5, vcc
	v_cmp_eq_u32_e64 s[10:11], 2, v0
	v_cndmask_b32_e64 v26, v26, v7, s[10:11]
	v_cmp_eq_u32_e64 s[12:13], 3, v0
	v_cndmask_b32_e64 v26, v26, v9, s[12:13]
	;; [unrolled: 2-line block ×9, first 2 shown]
	v_cmp_eq_u32_e64 s[28:29], 11, v0
	s_waitcnt vmcnt(0)
	v_cndmask_b32_e64 v27, v26, v25, s[28:29]
	v_cndmask_b32_e32 v26, v2, v4, vcc
	v_cndmask_b32_e64 v26, v26, v6, s[10:11]
	v_cndmask_b32_e64 v26, v26, v8, s[12:13]
	;; [unrolled: 1-line block ×6, first 2 shown]
	ds_read_b64 v[28:29], v85
	v_cndmask_b32_e64 v26, v26, v18, s[22:23]
	v_cndmask_b32_e64 v26, v26, v20, s[24:25]
	;; [unrolled: 1-line block ×4, first 2 shown]
	s_waitcnt lgkmcnt(0)
	v_mul_f64 v[26:27], v[26:27], v[28:29]
	s_cbranch_execz .LBB75_228
	s_branch .LBB75_229
.LBB75_227:
                                        ; implicit-def: $vgpr26_vgpr27
.LBB75_228:
	ds_read_b64 v[26:27], v85
.LBB75_229:
	v_cmp_ne_u32_e32 vcc, 7, v0
	s_and_saveexec_b64 s[14:15], vcc
	s_cbranch_execz .LBB75_233
; %bb.230:
	v_mov_b32_e32 v28, 0x68
	v_lshl_add_u32 v31, v0, 3, v28
	s_mov_b64 s[16:17], 0
	v_pk_mov_b32 v[28:29], v[0:1], v[0:1] op_sel:[0,1]
.LBB75_231:                             ; =>This Inner Loop Header: Depth=1
	v_add_co_u32_e32 v28, vcc, 1, v28
	v_addc_co_u32_e32 v29, vcc, 0, v29, vcc
	v_cmp_eq_u32_e32 vcc, 1, v28
	s_waitcnt vmcnt(1)
	v_cndmask_b32_e32 v34, v3, v5, vcc
	v_cmp_eq_u32_e64 s[12:13], 2, v28
	v_cmp_lt_u32_e64 s[10:11], 6, v28
	v_cndmask_b32_e64 v34, v34, v7, s[12:13]
	v_cndmask_b32_e32 v35, v2, v4, vcc
	v_cmp_eq_u32_e32 vcc, 3, v28
	s_or_b64 s[16:17], s[10:11], s[16:17]
	v_cndmask_b32_e32 v34, v34, v9, vcc
	v_cndmask_b32_e64 v35, v35, v6, s[12:13]
	v_cmp_eq_u32_e64 s[10:11], 4, v28
	v_cndmask_b32_e64 v34, v34, v11, s[10:11]
	v_cndmask_b32_e32 v35, v35, v8, vcc
	v_cmp_eq_u32_e32 vcc, 5, v28
	v_cndmask_b32_e32 v34, v34, v13, vcc
	v_cndmask_b32_e64 v35, v35, v10, s[10:11]
	v_cmp_eq_u32_e64 s[10:11], 6, v28
	v_cndmask_b32_e64 v34, v34, v15, s[10:11]
	v_cndmask_b32_e32 v35, v35, v12, vcc
	v_cmp_eq_u32_e32 vcc, 7, v28
	v_cndmask_b32_e32 v34, v34, v17, vcc
	v_cndmask_b32_e64 v35, v35, v14, s[10:11]
	v_cmp_eq_u32_e64 s[10:11], 8, v28
	ds_read_b64 v[32:33], v31
	v_cndmask_b32_e64 v34, v34, v19, s[10:11]
	v_cndmask_b32_e32 v35, v35, v16, vcc
	v_cmp_eq_u32_e32 vcc, 9, v28
	v_cndmask_b32_e32 v34, v34, v21, vcc
	v_cndmask_b32_e64 v35, v35, v18, s[10:11]
	v_cmp_eq_u32_e64 s[10:11], 10, v28
	v_cndmask_b32_e64 v34, v34, v23, s[10:11]
	v_cndmask_b32_e32 v36, v35, v20, vcc
	v_cmp_eq_u32_e32 vcc, 11, v28
	s_waitcnt vmcnt(0)
	v_cndmask_b32_e32 v35, v34, v25, vcc
	v_cndmask_b32_e64 v34, v36, v22, s[10:11]
	v_cndmask_b32_e32 v34, v34, v24, vcc
	v_add_u32_e32 v31, 8, v31
	s_waitcnt lgkmcnt(0)
	v_fmac_f64_e32 v[26:27], v[34:35], v[32:33]
	s_andn2_b64 exec, exec, s[16:17]
	s_cbranch_execnz .LBB75_231
; %bb.232:
	s_or_b64 exec, exec, s[16:17]
.LBB75_233:
	s_or_b64 exec, exec, s[14:15]
	v_mov_b32_e32 v18, 0
	ds_read_b64 v[18:19], v18 offset:64
	s_waitcnt lgkmcnt(0)
	v_mul_f64 v[18:19], v[26:27], v[18:19]
.LBB75_234:
	s_or_b64 exec, exec, s[30:31]
	v_cmp_gt_u32_e32 vcc, 9, v0
	s_waitcnt vmcnt(3)
	ds_write_b64 v85, v[20:21]
	s_waitcnt lgkmcnt(0)
	; wave barrier
	s_waitcnt lgkmcnt(0)
	s_and_saveexec_b64 s[30:31], vcc
	s_cbranch_execz .LBB75_256
; %bb.235:
	s_and_b64 vcc, exec, s[0:1]
	s_cbranch_vccnz .LBB75_237
; %bb.236:
	v_cmp_eq_u32_e32 vcc, 1, v0
	s_waitcnt vmcnt(1)
	v_cndmask_b32_e32 v26, v3, v5, vcc
	v_cmp_eq_u32_e64 s[10:11], 2, v0
	v_cndmask_b32_e64 v26, v26, v7, s[10:11]
	v_cmp_eq_u32_e64 s[12:13], 3, v0
	v_cndmask_b32_e64 v26, v26, v9, s[12:13]
	;; [unrolled: 2-line block ×9, first 2 shown]
	v_cmp_eq_u32_e64 s[28:29], 11, v0
	s_waitcnt vmcnt(0)
	v_cndmask_b32_e64 v27, v26, v25, s[28:29]
	v_cndmask_b32_e32 v26, v2, v4, vcc
	v_cndmask_b32_e64 v26, v26, v6, s[10:11]
	v_cndmask_b32_e64 v26, v26, v8, s[12:13]
	;; [unrolled: 1-line block ×6, first 2 shown]
	ds_read_b64 v[28:29], v85
	v_cndmask_b32_e64 v26, v26, v18, s[22:23]
	v_cndmask_b32_e64 v26, v26, v20, s[24:25]
	;; [unrolled: 1-line block ×4, first 2 shown]
	s_waitcnt lgkmcnt(0)
	v_mul_f64 v[26:27], v[26:27], v[28:29]
	s_cbranch_execz .LBB75_238
	s_branch .LBB75_239
.LBB75_237:
                                        ; implicit-def: $vgpr26_vgpr27
.LBB75_238:
	ds_read_b64 v[26:27], v85
.LBB75_239:
	v_cmp_ne_u32_e32 vcc, 8, v0
	s_and_saveexec_b64 s[34:35], vcc
	s_cbranch_execz .LBB75_255
; %bb.240:
	v_cmp_eq_u32_e32 vcc, 1, v30
	s_waitcnt vmcnt(1)
	v_cndmask_b32_e32 v28, v3, v5, vcc
	v_cmp_eq_u32_e64 s[10:11], 2, v30
	v_cndmask_b32_e64 v28, v28, v7, s[10:11]
	v_cmp_eq_u32_e64 s[12:13], 3, v30
	v_cndmask_b32_e64 v28, v28, v9, s[12:13]
	;; [unrolled: 2-line block ×9, first 2 shown]
	v_cmp_eq_u32_e64 s[28:29], 11, v30
	s_waitcnt vmcnt(0)
	v_cndmask_b32_e64 v29, v28, v25, s[28:29]
	v_cndmask_b32_e32 v28, v2, v4, vcc
	v_cndmask_b32_e64 v28, v28, v6, s[10:11]
	v_cndmask_b32_e64 v28, v28, v8, s[12:13]
	;; [unrolled: 1-line block ×6, first 2 shown]
	ds_read_b64 v[30:31], v85 offset:8
	v_cndmask_b32_e64 v28, v28, v18, s[22:23]
	v_cndmask_b32_e64 v28, v28, v20, s[24:25]
	;; [unrolled: 1-line block ×4, first 2 shown]
	s_waitcnt lgkmcnt(0)
	v_fmac_f64_e32 v[26:27], v[28:29], v[30:31]
	s_and_saveexec_b64 s[28:29], s[8:9]
	s_cbranch_execz .LBB75_254
; %bb.241:
	v_add_u32_e32 v28, 2, v0
	v_cmp_eq_u32_e32 vcc, 1, v28
	v_cndmask_b32_e32 v29, v3, v5, vcc
	v_cmp_eq_u32_e64 s[8:9], 2, v28
	v_cmp_eq_u32_e64 s[10:11], 3, v28
	;; [unrolled: 1-line block ×10, first 2 shown]
	v_cndmask_b32_e32 v28, v2, v4, vcc
	v_cndmask_b32_e64 v29, v29, v7, s[8:9]
	v_cndmask_b32_e64 v28, v28, v6, s[8:9]
	;; [unrolled: 1-line block ×12, first 2 shown]
	ds_read_b64 v[30:31], v85 offset:16
	v_cndmask_b32_e64 v29, v29, v19, s[20:21]
	v_cndmask_b32_e64 v28, v28, v18, s[20:21]
	v_cndmask_b32_e64 v29, v29, v21, s[22:23]
	v_cndmask_b32_e64 v28, v28, v20, s[22:23]
	v_cndmask_b32_e64 v29, v29, v23, s[24:25]
	v_cndmask_b32_e64 v28, v28, v22, s[24:25]
	v_cndmask_b32_e64 v29, v29, v25, s[26:27]
	v_cndmask_b32_e64 v28, v28, v24, s[26:27]
	s_waitcnt lgkmcnt(0)
	v_fmac_f64_e32 v[26:27], v[28:29], v[30:31]
	v_cmp_ne_u32_e32 vcc, 6, v0
	s_and_saveexec_b64 s[36:37], vcc
	s_cbranch_execz .LBB75_253
; %bb.242:
	v_add_u32_e32 v28, 3, v0
	v_cmp_eq_u32_e32 vcc, 1, v28
	v_cndmask_b32_e32 v29, v3, v5, vcc
	v_cmp_eq_u32_e64 s[8:9], 2, v28
	v_cmp_eq_u32_e64 s[10:11], 3, v28
	;; [unrolled: 1-line block ×10, first 2 shown]
	v_cndmask_b32_e32 v28, v2, v4, vcc
	v_cndmask_b32_e64 v29, v29, v7, s[8:9]
	v_cndmask_b32_e64 v28, v28, v6, s[8:9]
	v_cndmask_b32_e64 v29, v29, v9, s[10:11]
	v_cndmask_b32_e64 v28, v28, v8, s[10:11]
	v_cndmask_b32_e64 v29, v29, v11, s[12:13]
	v_cndmask_b32_e64 v28, v28, v10, s[12:13]
	v_cndmask_b32_e64 v29, v29, v13, s[14:15]
	v_cndmask_b32_e64 v28, v28, v12, s[14:15]
	v_cndmask_b32_e64 v29, v29, v15, s[16:17]
	v_cndmask_b32_e64 v28, v28, v14, s[16:17]
	v_cndmask_b32_e64 v29, v29, v17, s[18:19]
	v_cndmask_b32_e64 v28, v28, v16, s[18:19]
	ds_read_b64 v[30:31], v85 offset:24
	v_cndmask_b32_e64 v29, v29, v19, s[20:21]
	v_cndmask_b32_e64 v28, v28, v18, s[20:21]
	;; [unrolled: 1-line block ×8, first 2 shown]
	s_waitcnt lgkmcnt(0)
	v_fmac_f64_e32 v[26:27], v[28:29], v[30:31]
	s_and_saveexec_b64 s[26:27], s[6:7]
	s_cbranch_execz .LBB75_252
; %bb.243:
	v_add_u32_e32 v28, 4, v0
	v_cmp_eq_u32_e32 vcc, 1, v28
	v_cndmask_b32_e32 v29, v3, v5, vcc
	v_cmp_eq_u32_e64 s[6:7], 2, v28
	v_cmp_eq_u32_e64 s[8:9], 3, v28
	;; [unrolled: 1-line block ×10, first 2 shown]
	v_cndmask_b32_e32 v28, v2, v4, vcc
	v_cndmask_b32_e64 v29, v29, v7, s[6:7]
	v_cndmask_b32_e64 v28, v28, v6, s[6:7]
	;; [unrolled: 1-line block ×12, first 2 shown]
	ds_read_b64 v[30:31], v85 offset:32
	v_cndmask_b32_e64 v29, v29, v19, s[18:19]
	v_cndmask_b32_e64 v28, v28, v18, s[18:19]
	;; [unrolled: 1-line block ×8, first 2 shown]
	s_waitcnt lgkmcnt(0)
	v_fmac_f64_e32 v[26:27], v[28:29], v[30:31]
	v_cmp_ne_u32_e32 vcc, 4, v0
	s_and_saveexec_b64 s[38:39], vcc
	s_cbranch_execz .LBB75_251
; %bb.244:
	v_add_u32_e32 v28, 5, v0
	v_cmp_eq_u32_e32 vcc, 1, v28
	v_cndmask_b32_e32 v29, v3, v5, vcc
	v_cmp_eq_u32_e64 s[6:7], 2, v28
	v_cmp_eq_u32_e64 s[8:9], 3, v28
	;; [unrolled: 1-line block ×10, first 2 shown]
	v_cndmask_b32_e32 v28, v2, v4, vcc
	v_cndmask_b32_e64 v29, v29, v7, s[6:7]
	v_cndmask_b32_e64 v28, v28, v6, s[6:7]
	;; [unrolled: 1-line block ×12, first 2 shown]
	ds_read_b64 v[30:31], v85 offset:40
	v_cndmask_b32_e64 v29, v29, v19, s[18:19]
	v_cndmask_b32_e64 v28, v28, v18, s[18:19]
	;; [unrolled: 1-line block ×8, first 2 shown]
	s_waitcnt lgkmcnt(0)
	v_fmac_f64_e32 v[26:27], v[28:29], v[30:31]
	s_and_saveexec_b64 s[24:25], s[4:5]
	s_cbranch_execz .LBB75_250
; %bb.245:
	v_add_u32_e32 v28, 6, v0
	v_cmp_eq_u32_e32 vcc, 1, v28
	v_cndmask_b32_e32 v29, v3, v5, vcc
	v_cmp_eq_u32_e64 s[4:5], 2, v28
	v_cmp_eq_u32_e64 s[6:7], 3, v28
	;; [unrolled: 1-line block ×10, first 2 shown]
	v_cndmask_b32_e32 v28, v2, v4, vcc
	v_cndmask_b32_e64 v29, v29, v7, s[4:5]
	v_cndmask_b32_e64 v28, v28, v6, s[4:5]
	;; [unrolled: 1-line block ×12, first 2 shown]
	ds_read_b64 v[30:31], v85 offset:48
	v_cndmask_b32_e64 v29, v29, v19, s[16:17]
	v_cndmask_b32_e64 v28, v28, v18, s[16:17]
	v_cndmask_b32_e64 v29, v29, v21, s[18:19]
	v_cndmask_b32_e64 v28, v28, v20, s[18:19]
	v_cndmask_b32_e64 v29, v29, v23, s[20:21]
	v_cndmask_b32_e64 v28, v28, v22, s[20:21]
	v_cndmask_b32_e64 v29, v29, v25, s[22:23]
	v_cndmask_b32_e64 v28, v28, v24, s[22:23]
	s_waitcnt lgkmcnt(0)
	v_fmac_f64_e32 v[26:27], v[28:29], v[30:31]
	v_cmp_ne_u32_e32 vcc, 2, v0
	s_and_saveexec_b64 s[40:41], vcc
	s_cbranch_execz .LBB75_249
; %bb.246:
	v_add_u32_e32 v28, 7, v0
	v_cmp_eq_u32_e32 vcc, 1, v28
	v_cndmask_b32_e32 v29, v3, v5, vcc
	v_cmp_eq_u32_e64 s[4:5], 2, v28
	v_cndmask_b32_e64 v29, v29, v7, s[4:5]
	v_cmp_eq_u32_e64 s[6:7], 3, v28
	v_cndmask_b32_e64 v29, v29, v9, s[6:7]
	v_cmp_eq_u32_e64 s[8:9], 4, v28
	v_cmp_eq_u32_e64 s[10:11], 5, v28
	;; [unrolled: 1-line block ×8, first 2 shown]
	v_cndmask_b32_e32 v28, v2, v4, vcc
	v_cndmask_b32_e64 v29, v29, v11, s[8:9]
	v_cndmask_b32_e64 v28, v28, v6, s[4:5]
	;; [unrolled: 1-line block ×12, first 2 shown]
	ds_read_b64 v[28:29], v85 offset:56
	v_cndmask_b32_e64 v30, v30, v18, s[16:17]
	v_cndmask_b32_e64 v20, v30, v20, s[18:19]
	;; [unrolled: 1-line block ×6, first 2 shown]
	s_waitcnt lgkmcnt(0)
	v_fmac_f64_e32 v[26:27], v[20:21], v[28:29]
	s_and_saveexec_b64 s[4:5], s[2:3]
	s_cbranch_execz .LBB75_248
; %bb.247:
	ds_read_b64 v[20:21], v85 offset:64
	s_waitcnt lgkmcnt(0)
	v_fmac_f64_e32 v[26:27], v[18:19], v[20:21]
.LBB75_248:
	s_or_b64 exec, exec, s[4:5]
.LBB75_249:
	s_or_b64 exec, exec, s[40:41]
.LBB75_250:
	s_or_b64 exec, exec, s[24:25]
.LBB75_251:
	s_or_b64 exec, exec, s[38:39]
.LBB75_252:
	s_or_b64 exec, exec, s[26:27]
.LBB75_253:
	s_or_b64 exec, exec, s[36:37]
.LBB75_254:
	s_or_b64 exec, exec, s[28:29]
.LBB75_255:
	s_or_b64 exec, exec, s[34:35]
	v_mov_b32_e32 v20, 0
	ds_read_b64 v[20:21], v20 offset:72
	s_waitcnt lgkmcnt(0)
	v_mul_f64 v[20:21], v[26:27], v[20:21]
.LBB75_256:
	s_or_b64 exec, exec, s[30:31]
	v_cmp_gt_u32_e64 s[2:3], 10, v0
	s_waitcnt vmcnt(2)
	ds_write_b64 v85, v[22:23]
	s_waitcnt lgkmcnt(0)
	; wave barrier
	s_waitcnt lgkmcnt(0)
	s_and_saveexec_b64 s[24:25], s[2:3]
	s_cbranch_execz .LBB75_266
; %bb.257:
	s_and_b64 vcc, exec, s[0:1]
	s_cbranch_vccnz .LBB75_259
; %bb.258:
	v_cmp_eq_u32_e32 vcc, 1, v0
	s_waitcnt vmcnt(1)
	v_cndmask_b32_e32 v26, v3, v5, vcc
	v_cmp_eq_u32_e64 s[4:5], 2, v0
	v_cndmask_b32_e64 v26, v26, v7, s[4:5]
	v_cmp_eq_u32_e64 s[6:7], 3, v0
	v_cndmask_b32_e64 v26, v26, v9, s[6:7]
	;; [unrolled: 2-line block ×9, first 2 shown]
	v_cmp_eq_u32_e64 s[22:23], 11, v0
	s_waitcnt vmcnt(0)
	v_cndmask_b32_e64 v27, v26, v25, s[22:23]
	v_cndmask_b32_e32 v26, v2, v4, vcc
	v_cndmask_b32_e64 v26, v26, v6, s[4:5]
	v_cndmask_b32_e64 v26, v26, v8, s[6:7]
	;; [unrolled: 1-line block ×6, first 2 shown]
	ds_read_b64 v[28:29], v85
	v_cndmask_b32_e64 v26, v26, v18, s[16:17]
	v_cndmask_b32_e64 v26, v26, v20, s[18:19]
	;; [unrolled: 1-line block ×4, first 2 shown]
	s_waitcnt lgkmcnt(0)
	v_mul_f64 v[26:27], v[26:27], v[28:29]
	s_cbranch_execz .LBB75_260
	s_branch .LBB75_261
.LBB75_259:
                                        ; implicit-def: $vgpr26_vgpr27
.LBB75_260:
	ds_read_b64 v[26:27], v85
.LBB75_261:
	v_cmp_ne_u32_e32 vcc, 9, v0
	s_and_saveexec_b64 s[8:9], vcc
	s_cbranch_execz .LBB75_265
; %bb.262:
	v_mov_b32_e32 v28, 0x68
	v_lshl_add_u32 v30, v0, 3, v28
	s_mov_b64 s[10:11], 0
	v_pk_mov_b32 v[28:29], v[0:1], v[0:1] op_sel:[0,1]
.LBB75_263:                             ; =>This Inner Loop Header: Depth=1
	v_add_co_u32_e32 v28, vcc, 1, v28
	v_addc_co_u32_e32 v29, vcc, 0, v29, vcc
	v_cmp_eq_u32_e32 vcc, 1, v28
	s_waitcnt vmcnt(1)
	v_cndmask_b32_e32 v31, v3, v5, vcc
	v_cmp_eq_u32_e64 s[6:7], 2, v28
	v_cmp_lt_u32_e64 s[4:5], 8, v28
	v_cndmask_b32_e64 v31, v31, v7, s[6:7]
	v_cndmask_b32_e32 v34, v2, v4, vcc
	v_cmp_eq_u32_e32 vcc, 3, v28
	s_or_b64 s[10:11], s[4:5], s[10:11]
	v_cndmask_b32_e32 v31, v31, v9, vcc
	v_cndmask_b32_e64 v34, v34, v6, s[6:7]
	v_cmp_eq_u32_e64 s[4:5], 4, v28
	v_cndmask_b32_e64 v31, v31, v11, s[4:5]
	v_cndmask_b32_e32 v34, v34, v8, vcc
	v_cmp_eq_u32_e32 vcc, 5, v28
	v_cndmask_b32_e32 v31, v31, v13, vcc
	v_cndmask_b32_e64 v34, v34, v10, s[4:5]
	v_cmp_eq_u32_e64 s[4:5], 6, v28
	v_cndmask_b32_e64 v31, v31, v15, s[4:5]
	v_cndmask_b32_e32 v34, v34, v12, vcc
	v_cmp_eq_u32_e32 vcc, 7, v28
	v_cndmask_b32_e32 v31, v31, v17, vcc
	v_cndmask_b32_e64 v34, v34, v14, s[4:5]
	v_cmp_eq_u32_e64 s[4:5], 8, v28
	ds_read_b64 v[32:33], v30
	v_cndmask_b32_e64 v31, v31, v19, s[4:5]
	v_cndmask_b32_e32 v34, v34, v16, vcc
	v_cmp_eq_u32_e32 vcc, 9, v28
	v_cndmask_b32_e32 v31, v31, v21, vcc
	v_cndmask_b32_e64 v34, v34, v18, s[4:5]
	v_cmp_eq_u32_e64 s[4:5], 10, v28
	v_cndmask_b32_e64 v31, v31, v23, s[4:5]
	v_cndmask_b32_e32 v34, v34, v20, vcc
	v_cmp_eq_u32_e32 vcc, 11, v28
	s_waitcnt vmcnt(0)
	v_cndmask_b32_e32 v35, v31, v25, vcc
	v_cndmask_b32_e64 v31, v34, v22, s[4:5]
	v_cndmask_b32_e32 v34, v31, v24, vcc
	v_add_u32_e32 v30, 8, v30
	s_waitcnt lgkmcnt(0)
	v_fmac_f64_e32 v[26:27], v[34:35], v[32:33]
	s_andn2_b64 exec, exec, s[10:11]
	s_cbranch_execnz .LBB75_263
; %bb.264:
	s_or_b64 exec, exec, s[10:11]
.LBB75_265:
	s_or_b64 exec, exec, s[8:9]
	v_mov_b32_e32 v22, 0
	ds_read_b64 v[22:23], v22 offset:80
	s_waitcnt lgkmcnt(0)
	v_mul_f64 v[22:23], v[26:27], v[22:23]
.LBB75_266:
	s_or_b64 exec, exec, s[24:25]
	v_cmp_ne_u32_e32 vcc, 11, v0
	s_waitcnt vmcnt(0)
	ds_write_b64 v85, v[24:25]
	s_waitcnt lgkmcnt(0)
	; wave barrier
	s_waitcnt lgkmcnt(0)
	s_and_saveexec_b64 s[22:23], vcc
	s_cbranch_execz .LBB75_276
; %bb.267:
	s_and_b64 vcc, exec, s[0:1]
	s_cbranch_vccnz .LBB75_269
; %bb.268:
	v_cmp_eq_u32_e32 vcc, 1, v0
	v_cndmask_b32_e32 v26, v3, v5, vcc
	v_cmp_eq_u32_e64 s[0:1], 2, v0
	v_cndmask_b32_e64 v26, v26, v7, s[0:1]
	v_cmp_eq_u32_e64 s[4:5], 3, v0
	v_cndmask_b32_e64 v26, v26, v9, s[4:5]
	;; [unrolled: 2-line block ×10, first 2 shown]
	v_cndmask_b32_e32 v26, v2, v4, vcc
	v_cndmask_b32_e64 v26, v26, v6, s[0:1]
	v_cndmask_b32_e64 v26, v26, v8, s[4:5]
	;; [unrolled: 1-line block ×6, first 2 shown]
	ds_read_b64 v[28:29], v85
	v_cndmask_b32_e64 v26, v26, v18, s[14:15]
	v_cndmask_b32_e64 v26, v26, v20, s[16:17]
	v_cndmask_b32_e64 v26, v26, v22, s[18:19]
	v_cndmask_b32_e64 v26, v26, v24, s[20:21]
	s_waitcnt lgkmcnt(0)
	v_mul_f64 v[26:27], v[26:27], v[28:29]
	s_cbranch_execz .LBB75_270
	s_branch .LBB75_271
.LBB75_269:
                                        ; implicit-def: $vgpr26_vgpr27
.LBB75_270:
	ds_read_b64 v[26:27], v85
.LBB75_271:
	s_and_saveexec_b64 s[4:5], s[2:3]
	s_cbranch_execz .LBB75_275
; %bb.272:
	v_mov_b32_e32 v28, 0x68
	v_lshl_add_u32 v28, v0, 3, v28
	s_mov_b64 s[6:7], 0
.LBB75_273:                             ; =>This Inner Loop Header: Depth=1
	v_add_co_u32_e32 v0, vcc, 1, v0
	v_addc_co_u32_e32 v1, vcc, 0, v1, vcc
	v_cmp_eq_u32_e32 vcc, 1, v0
	v_cndmask_b32_e32 v29, v3, v5, vcc
	v_cmp_eq_u32_e64 s[2:3], 2, v0
	v_cmp_lt_u32_e64 s[0:1], 9, v0
	v_cndmask_b32_e64 v29, v29, v7, s[2:3]
	v_cndmask_b32_e32 v32, v2, v4, vcc
	v_cmp_eq_u32_e32 vcc, 3, v0
	s_or_b64 s[6:7], s[0:1], s[6:7]
	v_cndmask_b32_e32 v29, v29, v9, vcc
	v_cndmask_b32_e64 v32, v32, v6, s[2:3]
	v_cmp_eq_u32_e64 s[0:1], 4, v0
	v_cndmask_b32_e64 v29, v29, v11, s[0:1]
	v_cndmask_b32_e32 v32, v32, v8, vcc
	v_cmp_eq_u32_e32 vcc, 5, v0
	v_cndmask_b32_e32 v29, v29, v13, vcc
	v_cndmask_b32_e64 v32, v32, v10, s[0:1]
	v_cmp_eq_u32_e64 s[0:1], 6, v0
	v_cndmask_b32_e64 v29, v29, v15, s[0:1]
	v_cndmask_b32_e32 v32, v32, v12, vcc
	v_cmp_eq_u32_e32 vcc, 7, v0
	v_cndmask_b32_e32 v29, v29, v17, vcc
	v_cndmask_b32_e64 v32, v32, v14, s[0:1]
	v_cmp_eq_u32_e64 s[0:1], 8, v0
	ds_read_b64 v[30:31], v28
	v_cndmask_b32_e64 v29, v29, v19, s[0:1]
	v_cndmask_b32_e32 v32, v32, v16, vcc
	v_cmp_eq_u32_e32 vcc, 9, v0
	v_cndmask_b32_e32 v29, v29, v21, vcc
	v_cndmask_b32_e64 v32, v32, v18, s[0:1]
	v_cmp_eq_u32_e64 s[0:1], 10, v0
	v_cndmask_b32_e64 v29, v29, v23, s[0:1]
	v_cndmask_b32_e32 v32, v32, v20, vcc
	v_cmp_eq_u32_e32 vcc, 11, v0
	v_cndmask_b32_e32 v33, v29, v25, vcc
	v_cndmask_b32_e64 v29, v32, v22, s[0:1]
	v_cndmask_b32_e32 v32, v29, v24, vcc
	v_add_u32_e32 v28, 8, v28
	s_waitcnt lgkmcnt(0)
	v_fmac_f64_e32 v[26:27], v[32:33], v[30:31]
	s_andn2_b64 exec, exec, s[6:7]
	s_cbranch_execnz .LBB75_273
; %bb.274:
	s_or_b64 exec, exec, s[6:7]
.LBB75_275:
	s_or_b64 exec, exec, s[4:5]
	v_mov_b32_e32 v0, 0
	ds_read_b64 v[0:1], v0 offset:88
	s_waitcnt lgkmcnt(0)
	v_mul_f64 v[24:25], v[26:27], v[0:1]
.LBB75_276:
	s_or_b64 exec, exec, s[22:23]
	v_pk_mov_b32 v[56:57], v[32:33], v[32:33] op_sel:[0,1]
	v_pk_mov_b32 v[54:55], v[30:31], v[30:31] op_sel:[0,1]
	;; [unrolled: 1-line block ×16, first 2 shown]
.LBB75_277:
	global_store_dwordx2 v[58:59], v[26:27], off
	global_store_dwordx2 v[60:61], v[28:29], off
	;; [unrolled: 1-line block ×12, first 2 shown]
.LBB75_278:
	s_endpgm
	.section	.rodata,"a",@progbits
	.p2align	6, 0x0
	.amdhsa_kernel _ZN9rocsolver6v33100L18trti2_kernel_smallILi12EdPKPdEEv13rocblas_fill_17rocblas_diagonal_T1_iil
		.amdhsa_group_segment_fixed_size 192
		.amdhsa_private_segment_fixed_size 0
		.amdhsa_kernarg_size 32
		.amdhsa_user_sgpr_count 6
		.amdhsa_user_sgpr_private_segment_buffer 1
		.amdhsa_user_sgpr_dispatch_ptr 0
		.amdhsa_user_sgpr_queue_ptr 0
		.amdhsa_user_sgpr_kernarg_segment_ptr 1
		.amdhsa_user_sgpr_dispatch_id 0
		.amdhsa_user_sgpr_flat_scratch_init 0
		.amdhsa_user_sgpr_kernarg_preload_length 0
		.amdhsa_user_sgpr_kernarg_preload_offset 0
		.amdhsa_user_sgpr_private_segment_size 0
		.amdhsa_uses_dynamic_stack 0
		.amdhsa_system_sgpr_private_segment_wavefront_offset 0
		.amdhsa_system_sgpr_workgroup_id_x 1
		.amdhsa_system_sgpr_workgroup_id_y 0
		.amdhsa_system_sgpr_workgroup_id_z 0
		.amdhsa_system_sgpr_workgroup_info 0
		.amdhsa_system_vgpr_workitem_id 0
		.amdhsa_next_free_vgpr 110
		.amdhsa_next_free_sgpr 42
		.amdhsa_accum_offset 112
		.amdhsa_reserve_vcc 1
		.amdhsa_reserve_flat_scratch 0
		.amdhsa_float_round_mode_32 0
		.amdhsa_float_round_mode_16_64 0
		.amdhsa_float_denorm_mode_32 3
		.amdhsa_float_denorm_mode_16_64 3
		.amdhsa_dx10_clamp 1
		.amdhsa_ieee_mode 1
		.amdhsa_fp16_overflow 0
		.amdhsa_tg_split 0
		.amdhsa_exception_fp_ieee_invalid_op 0
		.amdhsa_exception_fp_denorm_src 0
		.amdhsa_exception_fp_ieee_div_zero 0
		.amdhsa_exception_fp_ieee_overflow 0
		.amdhsa_exception_fp_ieee_underflow 0
		.amdhsa_exception_fp_ieee_inexact 0
		.amdhsa_exception_int_div_zero 0
	.end_amdhsa_kernel
	.section	.text._ZN9rocsolver6v33100L18trti2_kernel_smallILi12EdPKPdEEv13rocblas_fill_17rocblas_diagonal_T1_iil,"axG",@progbits,_ZN9rocsolver6v33100L18trti2_kernel_smallILi12EdPKPdEEv13rocblas_fill_17rocblas_diagonal_T1_iil,comdat
.Lfunc_end75:
	.size	_ZN9rocsolver6v33100L18trti2_kernel_smallILi12EdPKPdEEv13rocblas_fill_17rocblas_diagonal_T1_iil, .Lfunc_end75-_ZN9rocsolver6v33100L18trti2_kernel_smallILi12EdPKPdEEv13rocblas_fill_17rocblas_diagonal_T1_iil
                                        ; -- End function
	.section	.AMDGPU.csdata,"",@progbits
; Kernel info:
; codeLenInByte = 20940
; NumSgprs: 46
; NumVgprs: 110
; NumAgprs: 0
; TotalNumVgprs: 110
; ScratchSize: 0
; MemoryBound: 0
; FloatMode: 240
; IeeeMode: 1
; LDSByteSize: 192 bytes/workgroup (compile time only)
; SGPRBlocks: 5
; VGPRBlocks: 13
; NumSGPRsForWavesPerEU: 46
; NumVGPRsForWavesPerEU: 110
; AccumOffset: 112
; Occupancy: 4
; WaveLimiterHint : 1
; COMPUTE_PGM_RSRC2:SCRATCH_EN: 0
; COMPUTE_PGM_RSRC2:USER_SGPR: 6
; COMPUTE_PGM_RSRC2:TRAP_HANDLER: 0
; COMPUTE_PGM_RSRC2:TGID_X_EN: 1
; COMPUTE_PGM_RSRC2:TGID_Y_EN: 0
; COMPUTE_PGM_RSRC2:TGID_Z_EN: 0
; COMPUTE_PGM_RSRC2:TIDIG_COMP_CNT: 0
; COMPUTE_PGM_RSRC3_GFX90A:ACCUM_OFFSET: 27
; COMPUTE_PGM_RSRC3_GFX90A:TG_SPLIT: 0
	.section	.text._ZN9rocsolver6v33100L18trti2_kernel_smallILi13EdPKPdEEv13rocblas_fill_17rocblas_diagonal_T1_iil,"axG",@progbits,_ZN9rocsolver6v33100L18trti2_kernel_smallILi13EdPKPdEEv13rocblas_fill_17rocblas_diagonal_T1_iil,comdat
	.globl	_ZN9rocsolver6v33100L18trti2_kernel_smallILi13EdPKPdEEv13rocblas_fill_17rocblas_diagonal_T1_iil ; -- Begin function _ZN9rocsolver6v33100L18trti2_kernel_smallILi13EdPKPdEEv13rocblas_fill_17rocblas_diagonal_T1_iil
	.p2align	8
	.type	_ZN9rocsolver6v33100L18trti2_kernel_smallILi13EdPKPdEEv13rocblas_fill_17rocblas_diagonal_T1_iil,@function
_ZN9rocsolver6v33100L18trti2_kernel_smallILi13EdPKPdEEv13rocblas_fill_17rocblas_diagonal_T1_iil: ; @_ZN9rocsolver6v33100L18trti2_kernel_smallILi13EdPKPdEEv13rocblas_fill_17rocblas_diagonal_T1_iil
; %bb.0:
	v_cmp_gt_u32_e32 vcc, 13, v0
	s_and_saveexec_b64 s[0:1], vcc
	s_cbranch_execz .LBB76_304
; %bb.1:
	s_load_dwordx2 s[0:1], s[4:5], 0x10
	s_load_dwordx4 s[28:31], s[4:5], 0x0
	s_ashr_i32 s7, s6, 31
	s_lshl_b64 s[2:3], s[6:7], 3
	v_lshlrev_b32_e32 v30, 3, v0
	s_waitcnt lgkmcnt(0)
	s_ashr_i32 s5, s0, 31
	s_add_u32 s2, s30, s2
	s_addc_u32 s3, s31, s3
	s_load_dwordx2 s[2:3], s[2:3], 0x0
	s_mov_b32 s4, s0
	s_lshl_b64 s[4:5], s[4:5], 3
	v_mov_b32_e32 v28, 0
	v_mov_b32_e32 v29, 0xbff00000
	s_waitcnt lgkmcnt(0)
	s_add_u32 s2, s2, s4
	s_addc_u32 s3, s3, s5
	v_mov_b32_e32 v1, s3
	v_add_co_u32_e32 v60, vcc, s2, v30
	s_ashr_i32 s5, s1, 31
	s_mov_b32 s4, s1
	s_add_i32 s0, s1, s1
	v_addc_co_u32_e32 v61, vcc, 0, v1, vcc
	s_lshl_b64 s[4:5], s[4:5], 3
	v_add_u32_e32 v2, s0, v0
	v_mov_b32_e32 v1, s5
	v_add_co_u32_e32 v62, vcc, s4, v60
	v_ashrrev_i32_e32 v3, 31, v2
	v_addc_co_u32_e32 v63, vcc, v61, v1, vcc
	v_lshlrev_b64 v[4:5], 3, v[2:3]
	v_add_u32_e32 v2, s1, v2
	v_mov_b32_e32 v1, s3
	v_add_co_u32_e32 v64, vcc, s2, v4
	v_ashrrev_i32_e32 v3, 31, v2
	v_addc_co_u32_e32 v65, vcc, v1, v5, vcc
	v_lshlrev_b64 v[4:5], 3, v[2:3]
	v_add_u32_e32 v2, s1, v2
	v_add_co_u32_e32 v66, vcc, s2, v4
	v_ashrrev_i32_e32 v3, 31, v2
	v_addc_co_u32_e32 v67, vcc, v1, v5, vcc
	v_lshlrev_b64 v[4:5], 3, v[2:3]
	v_add_u32_e32 v2, s1, v2
	;; [unrolled: 5-line block ×9, first 2 shown]
	v_add_co_u32_e32 v82, vcc, s2, v4
	v_ashrrev_i32_e32 v3, 31, v2
	v_addc_co_u32_e32 v83, vcc, v1, v5, vcc
	v_lshlrev_b64 v[2:3], 3, v[2:3]
	v_add_co_u32_e32 v84, vcc, s2, v2
	v_addc_co_u32_e32 v85, vcc, v1, v3, vcc
	global_load_dwordx2 v[2:3], v30, s[2:3]
	global_load_dwordx2 v[4:5], v[62:63], off
	global_load_dwordx2 v[6:7], v[64:65], off
	;; [unrolled: 1-line block ×12, first 2 shown]
	s_cmpk_lg_i32 s29, 0x84
	v_mov_b32_e32 v1, 0
	s_cselect_b64 s[26:27], -1, 0
	s_cmpk_eq_i32 s29, 0x84
	v_cmp_eq_u32_e64 s[0:1], 0, v0
	s_cbranch_scc1 .LBB76_3
; %bb.2:
	v_cmp_eq_u32_e64 s[2:3], 1, v0
	s_waitcnt vmcnt(11)
	v_cndmask_b32_e64 v28, v3, v5, s[2:3]
	v_cmp_eq_u32_e64 s[4:5], 2, v0
	s_waitcnt vmcnt(10)
	v_cndmask_b32_e64 v28, v28, v7, s[4:5]
	;; [unrolled: 3-line block ×12, first 2 shown]
	v_cndmask_b32_e64 v28, v2, v4, s[2:3]
	v_cndmask_b32_e64 v28, v28, v6, s[4:5]
	;; [unrolled: 1-line block ×12, first 2 shown]
	v_div_scale_f64 v[32:33], s[30:31], v[28:29], v[28:29], 1.0
	v_rcp_f64_e32 v[34:35], v[32:33]
	v_fma_f64 v[36:37], -v[32:33], v[34:35], 1.0
	v_fmac_f64_e32 v[34:35], v[34:35], v[36:37]
	v_fma_f64 v[36:37], -v[32:33], v[34:35], 1.0
	v_fmac_f64_e32 v[34:35], v[34:35], v[36:37]
	v_div_scale_f64 v[36:37], vcc, 1.0, v[28:29], 1.0
	v_mul_f64 v[38:39], v[36:37], v[34:35]
	v_fma_f64 v[32:33], -v[32:33], v[38:39], v[36:37]
	s_nop 1
	v_div_fmas_f64 v[32:33], v[32:33], v[34:35], v[38:39]
	v_div_fixup_f64 v[28:29], v[32:33], v[28:29], 1.0
	v_cndmask_b32_e64 v27, v27, v29, s[24:25]
	v_cndmask_b32_e64 v26, v26, v28, s[24:25]
	;; [unrolled: 1-line block ×26, first 2 shown]
	v_xor_b32_e32 v29, 0x80000000, v29
.LBB76_3:
	s_cmpk_eq_i32 s28, 0x79
	v_add_u32_e32 v89, 0x70, v30
	ds_write_b64 v30, v[28:29]
	s_cbranch_scc1 .LBB76_7
; %bb.4:
	s_waitcnt vmcnt(0)
	v_pk_mov_b32 v[58:59], v[32:33], v[32:33] op_sel:[0,1]
	v_cmp_eq_u32_e64 s[0:1], 12, v0
	v_pk_mov_b32 v[56:57], v[30:31], v[30:31] op_sel:[0,1]
	v_pk_mov_b32 v[54:55], v[28:29], v[28:29] op_sel:[0,1]
	;; [unrolled: 1-line block ×15, first 2 shown]
	ds_write_b64 v89, v[24:25]
	s_waitcnt lgkmcnt(0)
	; wave barrier
	s_waitcnt lgkmcnt(0)
	s_and_saveexec_b64 s[24:25], s[0:1]
	s_cbranch_execz .LBB76_11
; %bb.5:
	s_and_b64 vcc, exec, s[26:27]
	s_cbranch_vccz .LBB76_8
; %bb.6:
	v_cmp_eq_u32_e32 vcc, 1, v0
	v_cndmask_b32_e32 v28, v3, v5, vcc
	v_cmp_eq_u32_e64 s[2:3], 2, v0
	v_cndmask_b32_e64 v28, v28, v7, s[2:3]
	v_cmp_eq_u32_e64 s[4:5], 3, v0
	v_cndmask_b32_e64 v28, v28, v9, s[4:5]
	;; [unrolled: 2-line block ×11, first 2 shown]
	v_cndmask_b32_e32 v28, v2, v4, vcc
	v_cndmask_b32_e64 v28, v28, v6, s[2:3]
	v_cndmask_b32_e64 v28, v28, v8, s[4:5]
	;; [unrolled: 1-line block ×7, first 2 shown]
	ds_read_b64 v[30:31], v89
	v_cndmask_b32_e64 v28, v28, v20, s[16:17]
	v_cndmask_b32_e64 v28, v28, v22, s[18:19]
	;; [unrolled: 1-line block ×4, first 2 shown]
	s_waitcnt lgkmcnt(0)
	v_mul_f64 v[32:33], v[28:29], v[30:31]
	s_cbranch_execz .LBB76_9
	s_branch .LBB76_10
.LBB76_7:
                                        ; implicit-def: $vgpr28_vgpr29_vgpr30_vgpr31_vgpr32_vgpr33_vgpr34_vgpr35_vgpr36_vgpr37_vgpr38_vgpr39_vgpr40_vgpr41_vgpr42_vgpr43_vgpr44_vgpr45_vgpr46_vgpr47_vgpr48_vgpr49_vgpr50_vgpr51_vgpr52_vgpr53_vgpr54_vgpr55_vgpr56_vgpr57_vgpr58_vgpr59
	s_cbranch_execnz .LBB76_178
	s_branch .LBB76_303
.LBB76_8:
                                        ; implicit-def: $vgpr32_vgpr33
.LBB76_9:
	ds_read_b64 v[32:33], v89
.LBB76_10:
	v_mov_b32_e32 v28, 0
	ds_read_b64 v[34:35], v28 offset:88
	v_mov_b32_e32 v28, v2
	v_mov_b32_e32 v29, v3
	;; [unrolled: 1-line block ×4, first 2 shown]
	s_waitcnt lgkmcnt(0)
	v_mul_f64 v[50:51], v[32:33], v[34:35]
	v_mov_b32_e32 v32, v6
	v_mov_b32_e32 v33, v7
	v_mov_b32_e32 v34, v8
	v_mov_b32_e32 v35, v9
	v_mov_b32_e32 v36, v10
	v_mov_b32_e32 v37, v11
	v_mov_b32_e32 v38, v12
	v_mov_b32_e32 v39, v13
	v_mov_b32_e32 v40, v14
	v_mov_b32_e32 v41, v15
	v_mov_b32_e32 v42, v16
	v_mov_b32_e32 v43, v17
	v_mov_b32_e32 v44, v18
	v_mov_b32_e32 v45, v19
	v_mov_b32_e32 v46, v20
	v_mov_b32_e32 v47, v21
	v_mov_b32_e32 v48, v22
	v_mov_b32_e32 v49, v23
	v_mov_b32_e32 v52, v26
	v_mov_b32_e32 v53, v27
.LBB76_11:
	s_or_b64 exec, exec, s[24:25]
	v_cmp_lt_u32_e64 s[2:3], 10, v0
	ds_write_b64 v89, v[48:49]
	s_waitcnt lgkmcnt(0)
	; wave barrier
	s_waitcnt lgkmcnt(0)
	s_and_saveexec_b64 s[28:29], s[2:3]
	s_cbranch_execz .LBB76_17
; %bb.12:
	s_andn2_b64 vcc, exec, s[26:27]
	s_cbranch_vccnz .LBB76_14
; %bb.13:
	v_cmp_eq_u32_e32 vcc, 1, v0
	v_cndmask_b32_e32 v54, v29, v31, vcc
	v_cmp_eq_u32_e64 s[4:5], 2, v0
	v_cndmask_b32_e64 v54, v54, v33, s[4:5]
	v_cmp_eq_u32_e64 s[6:7], 3, v0
	v_cndmask_b32_e64 v54, v54, v35, s[6:7]
	;; [unrolled: 2-line block ×9, first 2 shown]
	v_cndmask_b32_e32 v54, v28, v30, vcc
	v_cndmask_b32_e64 v54, v54, v32, s[4:5]
	v_cndmask_b32_e64 v54, v54, v34, s[6:7]
	v_cndmask_b32_e64 v54, v54, v36, s[8:9]
	v_cndmask_b32_e64 v54, v54, v38, s[10:11]
	v_cndmask_b32_e64 v54, v54, v40, s[12:13]
	v_cndmask_b32_e64 v54, v54, v42, s[14:15]
	v_cndmask_b32_e64 v56, v54, v44, s[16:17]
	ds_read_b64 v[54:55], v89
	v_cndmask_b32_e64 v56, v56, v46, s[18:19]
	v_cmp_eq_u32_e64 s[22:23], 11, v0
	v_cndmask_b32_e64 v48, v56, v48, s[20:21]
	v_cndmask_b32_e64 v49, v49, v51, s[22:23]
	v_cmp_eq_u32_e64 s[24:25], 12, v0
	v_cndmask_b32_e64 v48, v48, v50, s[22:23]
	v_cndmask_b32_e64 v49, v49, v53, s[24:25]
	;; [unrolled: 1-line block ×3, first 2 shown]
	s_waitcnt lgkmcnt(0)
	v_mul_f64 v[48:49], v[48:49], v[54:55]
	s_cbranch_execz .LBB76_15
	s_branch .LBB76_16
.LBB76_14:
                                        ; implicit-def: $vgpr48_vgpr49
.LBB76_15:
	ds_read_b64 v[48:49], v89
.LBB76_16:
	v_mov_b32_e32 v54, 0
	ds_read2_b64 v[54:57], v54 offset0:10 offset1:25
	s_waitcnt lgkmcnt(0)
	v_fma_f64 v[56:57], v[50:51], v[56:57], v[48:49]
	v_cndmask_b32_e64 v49, v49, v57, s[0:1]
	v_cndmask_b32_e64 v48, v48, v56, s[0:1]
	v_mul_f64 v[48:49], v[48:49], v[54:55]
.LBB76_17:
	s_or_b64 exec, exec, s[28:29]
	v_cmp_lt_u32_e64 s[0:1], 9, v0
	ds_write_b64 v89, v[46:47]
	s_waitcnt lgkmcnt(0)
	; wave barrier
	s_waitcnt lgkmcnt(0)
	s_and_saveexec_b64 s[28:29], s[0:1]
	s_cbranch_execz .LBB76_33
; %bb.18:
	s_andn2_b64 vcc, exec, s[26:27]
	s_cbranch_vccnz .LBB76_20
; %bb.19:
	v_cmp_eq_u32_e32 vcc, 1, v0
	v_cndmask_b32_e32 v86, v29, v31, vcc
	v_cmp_eq_u32_e64 s[4:5], 2, v0
	v_cndmask_b32_e64 v86, v86, v33, s[4:5]
	v_cmp_eq_u32_e64 s[6:7], 3, v0
	v_cndmask_b32_e64 v86, v86, v35, s[6:7]
	;; [unrolled: 2-line block ×11, first 2 shown]
	v_cndmask_b32_e32 v86, v28, v30, vcc
	v_cndmask_b32_e64 v86, v86, v32, s[4:5]
	v_cndmask_b32_e64 v86, v86, v34, s[6:7]
	;; [unrolled: 1-line block ×7, first 2 shown]
	ds_read_b64 v[90:91], v89
	v_cndmask_b32_e64 v86, v86, v46, s[18:19]
	v_cndmask_b32_e64 v86, v86, v48, s[20:21]
	;; [unrolled: 1-line block ×4, first 2 shown]
	s_waitcnt lgkmcnt(0)
	v_mul_f64 v[86:87], v[86:87], v[90:91]
	s_cbranch_execz .LBB76_21
	s_branch .LBB76_22
.LBB76_20:
                                        ; implicit-def: $vgpr86_vgpr87
.LBB76_21:
	ds_read_b64 v[86:87], v89
.LBB76_22:
	s_and_saveexec_b64 s[6:7], s[2:3]
	s_cbranch_execz .LBB76_32
; %bb.23:
	v_add_u32_e32 v88, -11, v0
	v_add_u32_e32 v91, -10, v0
	v_cmp_lt_u32_e32 vcc, 6, v88
	v_mov_b32_e32 v88, 10
	s_and_saveexec_b64 s[2:3], vcc
	s_cbranch_execz .LBB76_27
; %bb.24:
	v_and_b32_e32 v88, -8, v91
	v_sub_u32_e32 v90, 0, v88
	s_mov_b64 s[4:5], 17
	s_movk_i32 s10, 0xc0
	s_mov_b64 s[8:9], 0
.LBB76_25:                              ; =>This Inner Loop Header: Depth=1
	s_lshl_b32 s11, s4, 1
	s_add_i32 s12, s11, -13
	s_add_i32 s13, s11, -14
	s_set_gpr_idx_on s12, gpr_idx(SRC0)
	v_mov_b32_e32 v109, v28
	s_set_gpr_idx_off
	v_mov_b32_e32 v88, s10
	s_add_i32 s14, s11, -11
	s_set_gpr_idx_on s13, gpr_idx(SRC0)
	v_mov_b32_e32 v108, v28
	s_set_gpr_idx_off
	s_add_i32 s15, s11, -12
	ds_read_b128 v[92:95], v88
	ds_read_b128 v[96:99], v88 offset:16
	ds_read_b128 v[100:103], v88 offset:32
	;; [unrolled: 1-line block ×3, first 2 shown]
	s_set_gpr_idx_on s14, gpr_idx(SRC0)
	v_mov_b32_e32 v111, v28
	s_set_gpr_idx_off
	s_add_i32 s16, s11, -9
	s_set_gpr_idx_on s15, gpr_idx(SRC0)
	v_mov_b32_e32 v110, v28
	s_set_gpr_idx_off
	s_add_i32 s17, s11, -10
	;; [unrolled: 4-line block ×4, first 2 shown]
	s_waitcnt lgkmcnt(3)
	v_fmac_f64_e32 v[86:87], v[108:109], v[92:93]
	s_set_gpr_idx_on s18, gpr_idx(SRC0)
	v_mov_b32_e32 v93, v28
	s_set_gpr_idx_off
	s_add_i32 s20, s11, -5
	v_fmac_f64_e32 v[86:87], v[110:111], v[94:95]
	s_set_gpr_idx_on s19, gpr_idx(SRC0)
	v_mov_b32_e32 v92, v28
	s_set_gpr_idx_off
	s_add_i32 s21, s11, -6
	s_waitcnt lgkmcnt(2)
	v_fmac_f64_e32 v[86:87], v[112:113], v[96:97]
	s_set_gpr_idx_on s20, gpr_idx(SRC0)
	v_mov_b32_e32 v95, v28
	s_set_gpr_idx_off
	s_add_i32 s22, s11, -3
	v_fmac_f64_e32 v[86:87], v[92:93], v[98:99]
	s_set_gpr_idx_on s21, gpr_idx(SRC0)
	v_mov_b32_e32 v94, v28
	s_set_gpr_idx_off
	s_add_i32 s23, s11, -4
	s_waitcnt lgkmcnt(1)
	v_fmac_f64_e32 v[86:87], v[94:95], v[100:101]
	s_set_gpr_idx_on s22, gpr_idx(SRC0)
	v_mov_b32_e32 v93, v28
	s_set_gpr_idx_off
	s_add_i32 s24, s11, -1
	s_set_gpr_idx_on s23, gpr_idx(SRC0)
	v_mov_b32_e32 v92, v28
	s_set_gpr_idx_off
	s_add_i32 s25, s11, -2
	v_fmac_f64_e32 v[86:87], v[92:93], v[102:103]
	s_set_gpr_idx_on s24, gpr_idx(SRC0)
	v_mov_b32_e32 v93, v28
	s_set_gpr_idx_off
	s_add_u32 s4, s4, 8
	s_set_gpr_idx_on s25, gpr_idx(SRC0)
	v_mov_b32_e32 v92, v28
	s_set_gpr_idx_off
	v_add_u32_e32 v88, s4, v90
	s_waitcnt lgkmcnt(0)
	v_fmac_f64_e32 v[86:87], v[92:93], v[104:105]
	s_set_gpr_idx_on s11, gpr_idx(SRC0)
	v_mov_b32_e32 v93, v29
	s_set_gpr_idx_off
	s_addc_u32 s5, s5, 0
	s_add_i32 s10, s10, 64
	s_add_i32 s12, s4, -7
	v_cmp_eq_u32_e32 vcc, 17, v88
	s_set_gpr_idx_on s11, gpr_idx(SRC0)
	v_mov_b32_e32 v92, v28
	s_set_gpr_idx_off
	v_mov_b32_e32 v88, s12
	s_or_b64 s[8:9], vcc, s[8:9]
	v_fmac_f64_e32 v[86:87], v[92:93], v[106:107]
	s_andn2_b64 exec, exec, s[8:9]
	s_cbranch_execnz .LBB76_25
; %bb.26:
	s_or_b64 exec, exec, s[8:9]
.LBB76_27:
	s_or_b64 exec, exec, s[2:3]
	v_and_b32_e32 v54, 7, v91
	v_cmp_ne_u32_e32 vcc, 0, v54
	s_and_saveexec_b64 s[8:9], vcc
	s_cbranch_execz .LBB76_31
; %bb.28:
	v_mov_b32_e32 v55, 0x70
	v_lshl_add_u32 v56, v88, 3, v55
	v_mov_b32_e32 v55, 0
	s_mov_b64 s[10:11], 0
.LBB76_29:                              ; =>This Inner Loop Header: Depth=1
	v_cmp_eq_u32_e32 vcc, 1, v88
	v_cndmask_b32_e32 v57, v29, v31, vcc
	v_add_u32_e32 v54, -1, v54
	v_cmp_eq_u32_e64 s[2:3], 2, v88
	v_cndmask_b32_e64 v57, v57, v33, s[2:3]
	v_cndmask_b32_e32 v90, v28, v30, vcc
	v_cmp_eq_u32_e32 vcc, 0, v54
	v_cmp_eq_u32_e64 s[4:5], 3, v88
	v_cndmask_b32_e64 v57, v57, v35, s[4:5]
	v_cndmask_b32_e64 v90, v90, v32, s[2:3]
	s_or_b64 s[10:11], vcc, s[10:11]
	v_cmp_eq_u32_e32 vcc, 4, v88
	v_cndmask_b32_e32 v57, v57, v37, vcc
	v_cndmask_b32_e64 v90, v90, v34, s[4:5]
	v_cmp_eq_u32_e64 s[2:3], 5, v88
	v_cndmask_b32_e64 v57, v57, v39, s[2:3]
	v_cndmask_b32_e32 v90, v90, v36, vcc
	v_cmp_eq_u32_e32 vcc, 6, v88
	v_cndmask_b32_e32 v57, v57, v41, vcc
	v_cndmask_b32_e64 v90, v90, v38, s[2:3]
	v_cmp_eq_u32_e64 s[2:3], 7, v88
	v_cndmask_b32_e64 v57, v57, v43, s[2:3]
	v_cndmask_b32_e32 v90, v90, v40, vcc
	v_cmp_eq_u32_e32 vcc, 8, v88
	v_cndmask_b32_e32 v57, v57, v45, vcc
	v_cndmask_b32_e64 v90, v90, v42, s[2:3]
	v_cmp_eq_u32_e64 s[2:3], 9, v88
	ds_read_b64 v[58:59], v56
	v_cndmask_b32_e64 v57, v57, v47, s[2:3]
	v_cndmask_b32_e32 v90, v90, v44, vcc
	v_cmp_eq_u32_e32 vcc, 10, v88
	v_cndmask_b32_e32 v57, v57, v49, vcc
	v_cndmask_b32_e64 v90, v90, v46, s[2:3]
	v_cmp_eq_u32_e64 s[2:3], 11, v88
	v_cndmask_b32_e64 v57, v57, v51, s[2:3]
	v_cmp_eq_u32_e64 s[4:5], 12, v88
	v_cndmask_b32_e32 v90, v90, v48, vcc
	v_cndmask_b32_e64 v91, v57, v53, s[4:5]
	v_cndmask_b32_e64 v57, v90, v50, s[2:3]
	v_add_co_u32_e32 v88, vcc, 1, v88
	v_cndmask_b32_e64 v90, v57, v52, s[4:5]
	v_add_u32_e32 v56, 8, v56
	v_addc_co_u32_e32 v55, vcc, 0, v55, vcc
	s_waitcnt lgkmcnt(0)
	v_fmac_f64_e32 v[86:87], v[90:91], v[58:59]
	s_andn2_b64 exec, exec, s[10:11]
	s_cbranch_execnz .LBB76_29
; %bb.30:
	s_or_b64 exec, exec, s[10:11]
.LBB76_31:
	s_or_b64 exec, exec, s[8:9]
.LBB76_32:
	s_or_b64 exec, exec, s[6:7]
	v_mov_b32_e32 v46, 0
	ds_read_b64 v[46:47], v46 offset:72
	s_waitcnt lgkmcnt(0)
	v_mul_f64 v[46:47], v[86:87], v[46:47]
.LBB76_33:
	s_or_b64 exec, exec, s[28:29]
	v_cmp_lt_u32_e64 s[2:3], 8, v0
	ds_write_b64 v89, v[44:45]
	s_waitcnt lgkmcnt(0)
	; wave barrier
	s_waitcnt lgkmcnt(0)
	s_and_saveexec_b64 s[28:29], s[2:3]
	s_cbranch_execz .LBB76_49
; %bb.34:
	s_andn2_b64 vcc, exec, s[26:27]
	s_cbranch_vccnz .LBB76_36
; %bb.35:
	v_cmp_eq_u32_e32 vcc, 1, v0
	v_cndmask_b32_e32 v86, v29, v31, vcc
	v_cmp_eq_u32_e64 s[4:5], 2, v0
	v_cndmask_b32_e64 v86, v86, v33, s[4:5]
	v_cmp_eq_u32_e64 s[6:7], 3, v0
	v_cndmask_b32_e64 v86, v86, v35, s[6:7]
	;; [unrolled: 2-line block ×11, first 2 shown]
	v_cndmask_b32_e32 v86, v28, v30, vcc
	v_cndmask_b32_e64 v86, v86, v32, s[4:5]
	v_cndmask_b32_e64 v86, v86, v34, s[6:7]
	;; [unrolled: 1-line block ×7, first 2 shown]
	ds_read_b64 v[90:91], v89
	v_cndmask_b32_e64 v86, v86, v46, s[18:19]
	v_cndmask_b32_e64 v86, v86, v48, s[20:21]
	;; [unrolled: 1-line block ×4, first 2 shown]
	s_waitcnt lgkmcnt(0)
	v_mul_f64 v[86:87], v[86:87], v[90:91]
	s_cbranch_execz .LBB76_37
	s_branch .LBB76_38
.LBB76_36:
                                        ; implicit-def: $vgpr86_vgpr87
.LBB76_37:
	ds_read_b64 v[86:87], v89
.LBB76_38:
	s_and_saveexec_b64 s[6:7], s[0:1]
	s_cbranch_execz .LBB76_48
; %bb.39:
	v_add_u32_e32 v88, -10, v0
	v_add_u32_e32 v91, -9, v0
	v_cmp_lt_u32_e32 vcc, 6, v88
	v_mov_b32_e32 v88, 9
	s_and_saveexec_b64 s[0:1], vcc
	s_cbranch_execz .LBB76_43
; %bb.40:
	v_and_b32_e32 v88, -8, v91
	v_sub_u32_e32 v90, 0, v88
	s_mov_b64 s[4:5], 16
	s_movk_i32 s10, 0xb8
	s_mov_b64 s[8:9], 0
.LBB76_41:                              ; =>This Inner Loop Header: Depth=1
	s_lshl_b32 s11, s4, 1
	s_add_i32 s12, s11, -13
	v_mov_b32_e32 v106, s10
	s_add_i32 s13, s11, -14
	s_set_gpr_idx_on s12, gpr_idx(SRC0)
	v_mov_b32_e32 v101, v28
	s_set_gpr_idx_off
	s_add_i32 s14, s11, -11
	s_set_gpr_idx_on s13, gpr_idx(SRC0)
	v_mov_b32_e32 v100, v28
	s_set_gpr_idx_off
	ds_read2_b64 v[92:95], v106 offset1:1
	s_add_i32 s15, s11, -12
	s_set_gpr_idx_on s14, gpr_idx(SRC0)
	v_mov_b32_e32 v103, v28
	s_set_gpr_idx_off
	s_add_i32 s16, s11, -9
	s_set_gpr_idx_on s15, gpr_idx(SRC0)
	v_mov_b32_e32 v102, v28
	s_set_gpr_idx_off
	;; [unrolled: 4-line block ×4, first 2 shown]
	ds_read2_b64 v[96:99], v106 offset0:2 offset1:3
	s_add_i32 s19, s11, -8
	s_waitcnt lgkmcnt(1)
	v_fmac_f64_e32 v[86:87], v[100:101], v[92:93]
	s_set_gpr_idx_on s18, gpr_idx(SRC0)
	v_mov_b32_e32 v101, v28
	s_set_gpr_idx_off
	s_add_i32 s20, s11, -5
	v_fmac_f64_e32 v[86:87], v[102:103], v[94:95]
	s_set_gpr_idx_on s19, gpr_idx(SRC0)
	v_mov_b32_e32 v100, v28
	s_set_gpr_idx_off
	s_add_i32 s21, s11, -6
	s_set_gpr_idx_on s20, gpr_idx(SRC0)
	v_mov_b32_e32 v103, v28
	s_set_gpr_idx_off
	s_add_i32 s22, s11, -3
	;; [unrolled: 4-line block ×3, first 2 shown]
	ds_read2_b64 v[92:95], v106 offset0:4 offset1:5
	s_waitcnt lgkmcnt(1)
	v_fmac_f64_e32 v[86:87], v[104:105], v[96:97]
	s_set_gpr_idx_on s22, gpr_idx(SRC0)
	v_mov_b32_e32 v105, v28
	s_set_gpr_idx_off
	s_add_i32 s24, s11, -1
	v_fmac_f64_e32 v[86:87], v[100:101], v[98:99]
	s_set_gpr_idx_on s23, gpr_idx(SRC0)
	v_mov_b32_e32 v104, v28
	s_set_gpr_idx_off
	s_add_i32 s25, s11, -2
	s_set_gpr_idx_on s24, gpr_idx(SRC0)
	v_mov_b32_e32 v101, v28
	s_set_gpr_idx_off
	s_set_gpr_idx_on s25, gpr_idx(SRC0)
	v_mov_b32_e32 v100, v28
	s_set_gpr_idx_off
	ds_read2_b64 v[96:99], v106 offset0:6 offset1:7
	s_add_u32 s4, s4, 8
	s_waitcnt lgkmcnt(1)
	v_fmac_f64_e32 v[86:87], v[102:103], v[92:93]
	s_set_gpr_idx_on s11, gpr_idx(SRC0)
	v_mov_b32_e32 v93, v29
	s_set_gpr_idx_off
	v_add_u32_e32 v88, s4, v90
	v_fmac_f64_e32 v[86:87], v[104:105], v[94:95]
	s_set_gpr_idx_on s11, gpr_idx(SRC0)
	v_mov_b32_e32 v92, v28
	s_set_gpr_idx_off
	s_addc_u32 s5, s5, 0
	s_add_i32 s10, s10, 64
	s_add_i32 s12, s4, -7
	v_cmp_eq_u32_e32 vcc, 16, v88
	s_waitcnt lgkmcnt(0)
	v_fmac_f64_e32 v[86:87], v[100:101], v[96:97]
	v_mov_b32_e32 v88, s12
	s_or_b64 s[8:9], vcc, s[8:9]
	v_fmac_f64_e32 v[86:87], v[92:93], v[98:99]
	s_andn2_b64 exec, exec, s[8:9]
	s_cbranch_execnz .LBB76_41
; %bb.42:
	s_or_b64 exec, exec, s[8:9]
.LBB76_43:
	s_or_b64 exec, exec, s[0:1]
	v_and_b32_e32 v54, 7, v91
	v_cmp_ne_u32_e32 vcc, 0, v54
	s_and_saveexec_b64 s[8:9], vcc
	s_cbranch_execz .LBB76_47
; %bb.44:
	v_mov_b32_e32 v55, 0x70
	v_lshl_add_u32 v56, v88, 3, v55
	v_mov_b32_e32 v55, 0
	s_mov_b64 s[10:11], 0
.LBB76_45:                              ; =>This Inner Loop Header: Depth=1
	v_cmp_eq_u32_e32 vcc, 1, v88
	v_cndmask_b32_e32 v57, v29, v31, vcc
	v_add_u32_e32 v54, -1, v54
	v_cmp_eq_u32_e64 s[0:1], 2, v88
	v_cndmask_b32_e64 v57, v57, v33, s[0:1]
	v_cndmask_b32_e32 v90, v28, v30, vcc
	v_cmp_eq_u32_e32 vcc, 0, v54
	v_cmp_eq_u32_e64 s[4:5], 3, v88
	v_cndmask_b32_e64 v57, v57, v35, s[4:5]
	v_cndmask_b32_e64 v90, v90, v32, s[0:1]
	s_or_b64 s[10:11], vcc, s[10:11]
	v_cmp_eq_u32_e32 vcc, 4, v88
	v_cndmask_b32_e32 v57, v57, v37, vcc
	v_cndmask_b32_e64 v90, v90, v34, s[4:5]
	v_cmp_eq_u32_e64 s[0:1], 5, v88
	v_cndmask_b32_e64 v57, v57, v39, s[0:1]
	v_cndmask_b32_e32 v90, v90, v36, vcc
	v_cmp_eq_u32_e32 vcc, 6, v88
	v_cndmask_b32_e32 v57, v57, v41, vcc
	v_cndmask_b32_e64 v90, v90, v38, s[0:1]
	v_cmp_eq_u32_e64 s[0:1], 7, v88
	v_cndmask_b32_e64 v57, v57, v43, s[0:1]
	v_cndmask_b32_e32 v90, v90, v40, vcc
	v_cmp_eq_u32_e32 vcc, 8, v88
	v_cndmask_b32_e32 v57, v57, v45, vcc
	v_cndmask_b32_e64 v90, v90, v42, s[0:1]
	v_cmp_eq_u32_e64 s[0:1], 9, v88
	ds_read_b64 v[58:59], v56
	v_cndmask_b32_e64 v57, v57, v47, s[0:1]
	v_cndmask_b32_e32 v90, v90, v44, vcc
	v_cmp_eq_u32_e32 vcc, 10, v88
	v_cndmask_b32_e32 v57, v57, v49, vcc
	v_cndmask_b32_e64 v90, v90, v46, s[0:1]
	v_cmp_eq_u32_e64 s[0:1], 11, v88
	v_cndmask_b32_e64 v57, v57, v51, s[0:1]
	v_cmp_eq_u32_e64 s[4:5], 12, v88
	v_cndmask_b32_e32 v90, v90, v48, vcc
	v_cndmask_b32_e64 v91, v57, v53, s[4:5]
	v_cndmask_b32_e64 v57, v90, v50, s[0:1]
	v_add_co_u32_e32 v88, vcc, 1, v88
	v_cndmask_b32_e64 v90, v57, v52, s[4:5]
	v_add_u32_e32 v56, 8, v56
	v_addc_co_u32_e32 v55, vcc, 0, v55, vcc
	s_waitcnt lgkmcnt(0)
	v_fmac_f64_e32 v[86:87], v[90:91], v[58:59]
	s_andn2_b64 exec, exec, s[10:11]
	s_cbranch_execnz .LBB76_45
; %bb.46:
	s_or_b64 exec, exec, s[10:11]
.LBB76_47:
	s_or_b64 exec, exec, s[8:9]
.LBB76_48:
	s_or_b64 exec, exec, s[6:7]
	v_mov_b32_e32 v44, 0
	ds_read_b64 v[44:45], v44 offset:64
	s_waitcnt lgkmcnt(0)
	v_mul_f64 v[44:45], v[86:87], v[44:45]
.LBB76_49:
	s_or_b64 exec, exec, s[28:29]
	v_cmp_lt_u32_e64 s[4:5], 7, v0
	ds_write_b64 v89, v[42:43]
	s_waitcnt lgkmcnt(0)
	; wave barrier
	s_waitcnt lgkmcnt(0)
	s_and_saveexec_b64 s[28:29], s[4:5]
	s_cbranch_execz .LBB76_65
; %bb.50:
	s_andn2_b64 vcc, exec, s[26:27]
	s_cbranch_vccnz .LBB76_52
; %bb.51:
	v_cmp_eq_u32_e32 vcc, 1, v0
	v_cndmask_b32_e32 v86, v29, v31, vcc
	v_cmp_eq_u32_e64 s[0:1], 2, v0
	v_cndmask_b32_e64 v86, v86, v33, s[0:1]
	v_cmp_eq_u32_e64 s[6:7], 3, v0
	v_cndmask_b32_e64 v86, v86, v35, s[6:7]
	;; [unrolled: 2-line block ×11, first 2 shown]
	v_cndmask_b32_e32 v86, v28, v30, vcc
	v_cndmask_b32_e64 v86, v86, v32, s[0:1]
	v_cndmask_b32_e64 v86, v86, v34, s[6:7]
	;; [unrolled: 1-line block ×7, first 2 shown]
	ds_read_b64 v[90:91], v89
	v_cndmask_b32_e64 v86, v86, v46, s[18:19]
	v_cndmask_b32_e64 v86, v86, v48, s[20:21]
	;; [unrolled: 1-line block ×4, first 2 shown]
	s_waitcnt lgkmcnt(0)
	v_mul_f64 v[86:87], v[86:87], v[90:91]
	s_cbranch_execz .LBB76_53
	s_branch .LBB76_54
.LBB76_52:
                                        ; implicit-def: $vgpr86_vgpr87
.LBB76_53:
	ds_read_b64 v[86:87], v89
.LBB76_54:
	s_and_saveexec_b64 s[6:7], s[2:3]
	s_cbranch_execz .LBB76_64
; %bb.55:
	v_add_u32_e32 v88, -9, v0
	v_cmp_lt_u32_e32 vcc, 6, v88
	v_mov_b32_e32 v88, 8
	s_and_saveexec_b64 s[0:1], vcc
	s_cbranch_execz .LBB76_59
; %bb.56:
	v_and_b32_e32 v88, 8, v0
	v_sub_u32_e32 v90, 0, v88
	s_mov_b64 s[2:3], 15
	s_movk_i32 s10, 0xb0
	s_mov_b64 s[8:9], 0
.LBB76_57:                              ; =>This Inner Loop Header: Depth=1
	s_lshl_b32 s11, s2, 1
	s_add_i32 s12, s11, -13
	s_add_i32 s13, s11, -14
	s_set_gpr_idx_on s12, gpr_idx(SRC0)
	v_mov_b32_e32 v109, v28
	s_set_gpr_idx_off
	v_mov_b32_e32 v88, s10
	s_add_i32 s14, s11, -11
	s_set_gpr_idx_on s13, gpr_idx(SRC0)
	v_mov_b32_e32 v108, v28
	s_set_gpr_idx_off
	s_add_i32 s15, s11, -12
	ds_read_b128 v[92:95], v88
	ds_read_b128 v[96:99], v88 offset:16
	ds_read_b128 v[100:103], v88 offset:32
	;; [unrolled: 1-line block ×3, first 2 shown]
	s_set_gpr_idx_on s14, gpr_idx(SRC0)
	v_mov_b32_e32 v111, v28
	s_set_gpr_idx_off
	s_add_i32 s16, s11, -9
	s_set_gpr_idx_on s15, gpr_idx(SRC0)
	v_mov_b32_e32 v110, v28
	s_set_gpr_idx_off
	s_add_i32 s17, s11, -10
	;; [unrolled: 4-line block ×4, first 2 shown]
	s_waitcnt lgkmcnt(3)
	v_fmac_f64_e32 v[86:87], v[108:109], v[92:93]
	s_set_gpr_idx_on s18, gpr_idx(SRC0)
	v_mov_b32_e32 v93, v28
	s_set_gpr_idx_off
	s_add_i32 s20, s11, -5
	v_fmac_f64_e32 v[86:87], v[110:111], v[94:95]
	s_set_gpr_idx_on s19, gpr_idx(SRC0)
	v_mov_b32_e32 v92, v28
	s_set_gpr_idx_off
	s_add_i32 s21, s11, -6
	s_waitcnt lgkmcnt(2)
	v_fmac_f64_e32 v[86:87], v[112:113], v[96:97]
	s_set_gpr_idx_on s20, gpr_idx(SRC0)
	v_mov_b32_e32 v95, v28
	s_set_gpr_idx_off
	s_add_i32 s22, s11, -3
	v_fmac_f64_e32 v[86:87], v[92:93], v[98:99]
	s_set_gpr_idx_on s21, gpr_idx(SRC0)
	v_mov_b32_e32 v94, v28
	s_set_gpr_idx_off
	s_add_i32 s23, s11, -4
	s_waitcnt lgkmcnt(1)
	v_fmac_f64_e32 v[86:87], v[94:95], v[100:101]
	s_set_gpr_idx_on s22, gpr_idx(SRC0)
	v_mov_b32_e32 v93, v28
	s_set_gpr_idx_off
	s_add_i32 s24, s11, -1
	s_set_gpr_idx_on s23, gpr_idx(SRC0)
	v_mov_b32_e32 v92, v28
	s_set_gpr_idx_off
	s_add_i32 s25, s11, -2
	v_fmac_f64_e32 v[86:87], v[92:93], v[102:103]
	s_set_gpr_idx_on s24, gpr_idx(SRC0)
	v_mov_b32_e32 v93, v28
	s_set_gpr_idx_off
	s_add_u32 s2, s2, 8
	s_set_gpr_idx_on s25, gpr_idx(SRC0)
	v_mov_b32_e32 v92, v28
	s_set_gpr_idx_off
	v_add_u32_e32 v88, s2, v90
	s_waitcnt lgkmcnt(0)
	v_fmac_f64_e32 v[86:87], v[92:93], v[104:105]
	s_set_gpr_idx_on s11, gpr_idx(SRC0)
	v_mov_b32_e32 v93, v29
	s_set_gpr_idx_off
	s_addc_u32 s3, s3, 0
	s_add_i32 s10, s10, 64
	s_add_i32 s12, s2, -7
	v_cmp_eq_u32_e32 vcc, 7, v88
	s_set_gpr_idx_on s11, gpr_idx(SRC0)
	v_mov_b32_e32 v92, v28
	s_set_gpr_idx_off
	v_mov_b32_e32 v88, s12
	s_or_b64 s[8:9], vcc, s[8:9]
	v_fmac_f64_e32 v[86:87], v[92:93], v[106:107]
	s_andn2_b64 exec, exec, s[8:9]
	s_cbranch_execnz .LBB76_57
; %bb.58:
	s_or_b64 exec, exec, s[8:9]
.LBB76_59:
	s_or_b64 exec, exec, s[0:1]
	v_and_b32_e32 v54, 7, v0
	v_cmp_ne_u32_e32 vcc, 0, v54
	s_and_saveexec_b64 s[8:9], vcc
	s_cbranch_execz .LBB76_63
; %bb.60:
	v_mov_b32_e32 v55, 0x70
	v_lshl_add_u32 v56, v88, 3, v55
	v_mov_b32_e32 v55, 0
	s_mov_b64 s[10:11], 0
.LBB76_61:                              ; =>This Inner Loop Header: Depth=1
	v_cmp_eq_u32_e32 vcc, 1, v88
	v_cndmask_b32_e32 v57, v29, v31, vcc
	v_add_u32_e32 v54, -1, v54
	v_cmp_eq_u32_e64 s[0:1], 2, v88
	v_cndmask_b32_e64 v57, v57, v33, s[0:1]
	v_cndmask_b32_e32 v90, v28, v30, vcc
	v_cmp_eq_u32_e32 vcc, 0, v54
	v_cmp_eq_u32_e64 s[2:3], 3, v88
	v_cndmask_b32_e64 v57, v57, v35, s[2:3]
	v_cndmask_b32_e64 v90, v90, v32, s[0:1]
	s_or_b64 s[10:11], vcc, s[10:11]
	v_cmp_eq_u32_e32 vcc, 4, v88
	v_cndmask_b32_e32 v57, v57, v37, vcc
	v_cndmask_b32_e64 v90, v90, v34, s[2:3]
	v_cmp_eq_u32_e64 s[0:1], 5, v88
	v_cndmask_b32_e64 v57, v57, v39, s[0:1]
	v_cndmask_b32_e32 v90, v90, v36, vcc
	v_cmp_eq_u32_e32 vcc, 6, v88
	v_cndmask_b32_e32 v57, v57, v41, vcc
	v_cndmask_b32_e64 v90, v90, v38, s[0:1]
	v_cmp_eq_u32_e64 s[0:1], 7, v88
	v_cndmask_b32_e64 v57, v57, v43, s[0:1]
	v_cndmask_b32_e32 v90, v90, v40, vcc
	v_cmp_eq_u32_e32 vcc, 8, v88
	v_cndmask_b32_e32 v57, v57, v45, vcc
	v_cndmask_b32_e64 v90, v90, v42, s[0:1]
	v_cmp_eq_u32_e64 s[0:1], 9, v88
	ds_read_b64 v[58:59], v56
	v_cndmask_b32_e64 v57, v57, v47, s[0:1]
	v_cndmask_b32_e32 v90, v90, v44, vcc
	v_cmp_eq_u32_e32 vcc, 10, v88
	v_cndmask_b32_e32 v57, v57, v49, vcc
	v_cndmask_b32_e64 v90, v90, v46, s[0:1]
	v_cmp_eq_u32_e64 s[0:1], 11, v88
	v_cndmask_b32_e64 v57, v57, v51, s[0:1]
	v_cmp_eq_u32_e64 s[2:3], 12, v88
	v_cndmask_b32_e32 v90, v90, v48, vcc
	v_cndmask_b32_e64 v91, v57, v53, s[2:3]
	v_cndmask_b32_e64 v57, v90, v50, s[0:1]
	v_add_co_u32_e32 v88, vcc, 1, v88
	v_cndmask_b32_e64 v90, v57, v52, s[2:3]
	v_add_u32_e32 v56, 8, v56
	v_addc_co_u32_e32 v55, vcc, 0, v55, vcc
	s_waitcnt lgkmcnt(0)
	v_fmac_f64_e32 v[86:87], v[90:91], v[58:59]
	s_andn2_b64 exec, exec, s[10:11]
	s_cbranch_execnz .LBB76_61
; %bb.62:
	s_or_b64 exec, exec, s[10:11]
.LBB76_63:
	s_or_b64 exec, exec, s[8:9]
.LBB76_64:
	s_or_b64 exec, exec, s[6:7]
	v_mov_b32_e32 v42, 0
	ds_read_b64 v[42:43], v42 offset:56
	s_waitcnt lgkmcnt(0)
	v_mul_f64 v[42:43], v[86:87], v[42:43]
.LBB76_65:
	s_or_b64 exec, exec, s[28:29]
	v_cmp_lt_u32_e64 s[0:1], 6, v0
	ds_write_b64 v89, v[40:41]
	s_waitcnt lgkmcnt(0)
	; wave barrier
	s_waitcnt lgkmcnt(0)
	s_and_saveexec_b64 s[28:29], s[0:1]
	s_cbranch_execz .LBB76_81
; %bb.66:
	s_andn2_b64 vcc, exec, s[26:27]
	s_cbranch_vccnz .LBB76_68
; %bb.67:
	v_cmp_eq_u32_e32 vcc, 1, v0
	v_cndmask_b32_e32 v86, v29, v31, vcc
	v_cmp_eq_u32_e64 s[2:3], 2, v0
	v_cndmask_b32_e64 v86, v86, v33, s[2:3]
	v_cmp_eq_u32_e64 s[6:7], 3, v0
	v_cndmask_b32_e64 v86, v86, v35, s[6:7]
	;; [unrolled: 2-line block ×11, first 2 shown]
	v_cndmask_b32_e32 v86, v28, v30, vcc
	v_cndmask_b32_e64 v86, v86, v32, s[2:3]
	v_cndmask_b32_e64 v86, v86, v34, s[6:7]
	;; [unrolled: 1-line block ×7, first 2 shown]
	ds_read_b64 v[90:91], v89
	v_cndmask_b32_e64 v86, v86, v46, s[18:19]
	v_cndmask_b32_e64 v86, v86, v48, s[20:21]
	;; [unrolled: 1-line block ×4, first 2 shown]
	s_waitcnt lgkmcnt(0)
	v_mul_f64 v[86:87], v[86:87], v[90:91]
	s_cbranch_execz .LBB76_69
	s_branch .LBB76_70
.LBB76_68:
                                        ; implicit-def: $vgpr86_vgpr87
.LBB76_69:
	ds_read_b64 v[86:87], v89
.LBB76_70:
	s_and_saveexec_b64 s[6:7], s[4:5]
	s_cbranch_execz .LBB76_80
; %bb.71:
	v_add_u32_e32 v88, -8, v0
	v_add_u32_e32 v91, -7, v0
	v_cmp_lt_u32_e32 vcc, 6, v88
	v_mov_b32_e32 v88, 7
	s_and_saveexec_b64 s[2:3], vcc
	s_cbranch_execz .LBB76_75
; %bb.72:
	v_and_b32_e32 v88, -8, v91
	v_sub_u32_e32 v90, 0, v88
	s_mov_b64 s[4:5], 14
	s_movk_i32 s10, 0xa8
	s_mov_b64 s[8:9], 0
.LBB76_73:                              ; =>This Inner Loop Header: Depth=1
	s_lshl_b32 s11, s4, 1
	s_add_i32 s12, s11, -13
	v_mov_b32_e32 v106, s10
	s_add_i32 s13, s11, -14
	s_set_gpr_idx_on s12, gpr_idx(SRC0)
	v_mov_b32_e32 v101, v28
	s_set_gpr_idx_off
	s_add_i32 s14, s11, -11
	s_set_gpr_idx_on s13, gpr_idx(SRC0)
	v_mov_b32_e32 v100, v28
	s_set_gpr_idx_off
	ds_read2_b64 v[92:95], v106 offset1:1
	s_add_i32 s15, s11, -12
	s_set_gpr_idx_on s14, gpr_idx(SRC0)
	v_mov_b32_e32 v103, v28
	s_set_gpr_idx_off
	s_add_i32 s16, s11, -9
	s_set_gpr_idx_on s15, gpr_idx(SRC0)
	v_mov_b32_e32 v102, v28
	s_set_gpr_idx_off
	;; [unrolled: 4-line block ×4, first 2 shown]
	ds_read2_b64 v[96:99], v106 offset0:2 offset1:3
	s_add_i32 s19, s11, -8
	s_waitcnt lgkmcnt(1)
	v_fmac_f64_e32 v[86:87], v[100:101], v[92:93]
	s_set_gpr_idx_on s18, gpr_idx(SRC0)
	v_mov_b32_e32 v101, v28
	s_set_gpr_idx_off
	s_add_i32 s20, s11, -5
	v_fmac_f64_e32 v[86:87], v[102:103], v[94:95]
	s_set_gpr_idx_on s19, gpr_idx(SRC0)
	v_mov_b32_e32 v100, v28
	s_set_gpr_idx_off
	s_add_i32 s21, s11, -6
	s_set_gpr_idx_on s20, gpr_idx(SRC0)
	v_mov_b32_e32 v103, v28
	s_set_gpr_idx_off
	s_add_i32 s22, s11, -3
	s_set_gpr_idx_on s21, gpr_idx(SRC0)
	v_mov_b32_e32 v102, v28
	s_set_gpr_idx_off
	s_add_i32 s23, s11, -4
	ds_read2_b64 v[92:95], v106 offset0:4 offset1:5
	s_waitcnt lgkmcnt(1)
	v_fmac_f64_e32 v[86:87], v[104:105], v[96:97]
	s_set_gpr_idx_on s22, gpr_idx(SRC0)
	v_mov_b32_e32 v105, v28
	s_set_gpr_idx_off
	s_add_i32 s24, s11, -1
	v_fmac_f64_e32 v[86:87], v[100:101], v[98:99]
	s_set_gpr_idx_on s23, gpr_idx(SRC0)
	v_mov_b32_e32 v104, v28
	s_set_gpr_idx_off
	s_add_i32 s25, s11, -2
	s_set_gpr_idx_on s24, gpr_idx(SRC0)
	v_mov_b32_e32 v101, v28
	s_set_gpr_idx_off
	s_set_gpr_idx_on s25, gpr_idx(SRC0)
	v_mov_b32_e32 v100, v28
	s_set_gpr_idx_off
	ds_read2_b64 v[96:99], v106 offset0:6 offset1:7
	s_add_u32 s4, s4, 8
	s_waitcnt lgkmcnt(1)
	v_fmac_f64_e32 v[86:87], v[102:103], v[92:93]
	s_set_gpr_idx_on s11, gpr_idx(SRC0)
	v_mov_b32_e32 v93, v29
	s_set_gpr_idx_off
	v_add_u32_e32 v88, s4, v90
	v_fmac_f64_e32 v[86:87], v[104:105], v[94:95]
	s_set_gpr_idx_on s11, gpr_idx(SRC0)
	v_mov_b32_e32 v92, v28
	s_set_gpr_idx_off
	s_addc_u32 s5, s5, 0
	s_add_i32 s10, s10, 64
	s_add_i32 s12, s4, -7
	v_cmp_eq_u32_e32 vcc, 14, v88
	s_waitcnt lgkmcnt(0)
	v_fmac_f64_e32 v[86:87], v[100:101], v[96:97]
	v_mov_b32_e32 v88, s12
	s_or_b64 s[8:9], vcc, s[8:9]
	v_fmac_f64_e32 v[86:87], v[92:93], v[98:99]
	s_andn2_b64 exec, exec, s[8:9]
	s_cbranch_execnz .LBB76_73
; %bb.74:
	s_or_b64 exec, exec, s[8:9]
.LBB76_75:
	s_or_b64 exec, exec, s[2:3]
	v_and_b32_e32 v54, 7, v91
	v_cmp_ne_u32_e32 vcc, 0, v54
	s_and_saveexec_b64 s[8:9], vcc
	s_cbranch_execz .LBB76_79
; %bb.76:
	v_mov_b32_e32 v55, 0x70
	v_lshl_add_u32 v56, v88, 3, v55
	v_mov_b32_e32 v55, 0
	s_mov_b64 s[10:11], 0
.LBB76_77:                              ; =>This Inner Loop Header: Depth=1
	v_cmp_eq_u32_e32 vcc, 1, v88
	v_cndmask_b32_e32 v57, v29, v31, vcc
	v_add_u32_e32 v54, -1, v54
	v_cmp_eq_u32_e64 s[2:3], 2, v88
	v_cndmask_b32_e64 v57, v57, v33, s[2:3]
	v_cndmask_b32_e32 v90, v28, v30, vcc
	v_cmp_eq_u32_e32 vcc, 0, v54
	v_cmp_eq_u32_e64 s[4:5], 3, v88
	v_cndmask_b32_e64 v57, v57, v35, s[4:5]
	v_cndmask_b32_e64 v90, v90, v32, s[2:3]
	s_or_b64 s[10:11], vcc, s[10:11]
	v_cmp_eq_u32_e32 vcc, 4, v88
	v_cndmask_b32_e32 v57, v57, v37, vcc
	v_cndmask_b32_e64 v90, v90, v34, s[4:5]
	v_cmp_eq_u32_e64 s[2:3], 5, v88
	v_cndmask_b32_e64 v57, v57, v39, s[2:3]
	v_cndmask_b32_e32 v90, v90, v36, vcc
	v_cmp_eq_u32_e32 vcc, 6, v88
	v_cndmask_b32_e32 v57, v57, v41, vcc
	v_cndmask_b32_e64 v90, v90, v38, s[2:3]
	v_cmp_eq_u32_e64 s[2:3], 7, v88
	v_cndmask_b32_e64 v57, v57, v43, s[2:3]
	v_cndmask_b32_e32 v90, v90, v40, vcc
	v_cmp_eq_u32_e32 vcc, 8, v88
	v_cndmask_b32_e32 v57, v57, v45, vcc
	v_cndmask_b32_e64 v90, v90, v42, s[2:3]
	v_cmp_eq_u32_e64 s[2:3], 9, v88
	ds_read_b64 v[58:59], v56
	v_cndmask_b32_e64 v57, v57, v47, s[2:3]
	v_cndmask_b32_e32 v90, v90, v44, vcc
	v_cmp_eq_u32_e32 vcc, 10, v88
	v_cndmask_b32_e32 v57, v57, v49, vcc
	v_cndmask_b32_e64 v90, v90, v46, s[2:3]
	v_cmp_eq_u32_e64 s[2:3], 11, v88
	v_cndmask_b32_e64 v57, v57, v51, s[2:3]
	v_cmp_eq_u32_e64 s[4:5], 12, v88
	v_cndmask_b32_e32 v90, v90, v48, vcc
	v_cndmask_b32_e64 v91, v57, v53, s[4:5]
	v_cndmask_b32_e64 v57, v90, v50, s[2:3]
	v_add_co_u32_e32 v88, vcc, 1, v88
	v_cndmask_b32_e64 v90, v57, v52, s[4:5]
	v_add_u32_e32 v56, 8, v56
	v_addc_co_u32_e32 v55, vcc, 0, v55, vcc
	s_waitcnt lgkmcnt(0)
	v_fmac_f64_e32 v[86:87], v[90:91], v[58:59]
	s_andn2_b64 exec, exec, s[10:11]
	s_cbranch_execnz .LBB76_77
; %bb.78:
	s_or_b64 exec, exec, s[10:11]
.LBB76_79:
	s_or_b64 exec, exec, s[8:9]
.LBB76_80:
	s_or_b64 exec, exec, s[6:7]
	v_mov_b32_e32 v40, 0
	ds_read_b64 v[40:41], v40 offset:48
	s_waitcnt lgkmcnt(0)
	v_mul_f64 v[40:41], v[86:87], v[40:41]
.LBB76_81:
	s_or_b64 exec, exec, s[28:29]
	v_cmp_lt_u32_e64 s[2:3], 5, v0
	ds_write_b64 v89, v[38:39]
	s_waitcnt lgkmcnt(0)
	; wave barrier
	s_waitcnt lgkmcnt(0)
	s_and_saveexec_b64 s[28:29], s[2:3]
	s_cbranch_execz .LBB76_97
; %bb.82:
	s_andn2_b64 vcc, exec, s[26:27]
	s_cbranch_vccnz .LBB76_84
; %bb.83:
	v_cmp_eq_u32_e32 vcc, 1, v0
	v_cndmask_b32_e32 v86, v29, v31, vcc
	v_cmp_eq_u32_e64 s[4:5], 2, v0
	v_cndmask_b32_e64 v86, v86, v33, s[4:5]
	v_cmp_eq_u32_e64 s[6:7], 3, v0
	v_cndmask_b32_e64 v86, v86, v35, s[6:7]
	;; [unrolled: 2-line block ×11, first 2 shown]
	v_cndmask_b32_e32 v86, v28, v30, vcc
	v_cndmask_b32_e64 v86, v86, v32, s[4:5]
	v_cndmask_b32_e64 v86, v86, v34, s[6:7]
	;; [unrolled: 1-line block ×7, first 2 shown]
	ds_read_b64 v[90:91], v89
	v_cndmask_b32_e64 v86, v86, v46, s[18:19]
	v_cndmask_b32_e64 v86, v86, v48, s[20:21]
	;; [unrolled: 1-line block ×4, first 2 shown]
	s_waitcnt lgkmcnt(0)
	v_mul_f64 v[86:87], v[86:87], v[90:91]
	s_cbranch_execz .LBB76_85
	s_branch .LBB76_86
.LBB76_84:
                                        ; implicit-def: $vgpr86_vgpr87
.LBB76_85:
	ds_read_b64 v[86:87], v89
.LBB76_86:
	s_and_saveexec_b64 s[6:7], s[0:1]
	s_cbranch_execz .LBB76_96
; %bb.87:
	v_add_u32_e32 v88, -7, v0
	v_add_u32_e32 v91, -6, v0
	v_cmp_lt_u32_e32 vcc, 6, v88
	v_mov_b32_e32 v88, 6
	s_and_saveexec_b64 s[0:1], vcc
	s_cbranch_execz .LBB76_91
; %bb.88:
	v_and_b32_e32 v88, -8, v91
	v_sub_u32_e32 v90, 0, v88
	s_mov_b64 s[4:5], 13
	s_movk_i32 s10, 0xa0
	s_mov_b64 s[8:9], 0
.LBB76_89:                              ; =>This Inner Loop Header: Depth=1
	s_lshl_b32 s11, s4, 1
	s_add_i32 s12, s11, -13
	s_add_i32 s13, s11, -14
	s_set_gpr_idx_on s12, gpr_idx(SRC0)
	v_mov_b32_e32 v109, v28
	s_set_gpr_idx_off
	v_mov_b32_e32 v88, s10
	s_add_i32 s14, s11, -11
	s_set_gpr_idx_on s13, gpr_idx(SRC0)
	v_mov_b32_e32 v108, v28
	s_set_gpr_idx_off
	s_add_i32 s15, s11, -12
	ds_read_b128 v[92:95], v88
	ds_read_b128 v[96:99], v88 offset:16
	ds_read_b128 v[100:103], v88 offset:32
	;; [unrolled: 1-line block ×3, first 2 shown]
	s_set_gpr_idx_on s14, gpr_idx(SRC0)
	v_mov_b32_e32 v111, v28
	s_set_gpr_idx_off
	s_add_i32 s16, s11, -9
	s_set_gpr_idx_on s15, gpr_idx(SRC0)
	v_mov_b32_e32 v110, v28
	s_set_gpr_idx_off
	s_add_i32 s17, s11, -10
	;; [unrolled: 4-line block ×4, first 2 shown]
	s_waitcnt lgkmcnt(3)
	v_fmac_f64_e32 v[86:87], v[108:109], v[92:93]
	s_set_gpr_idx_on s18, gpr_idx(SRC0)
	v_mov_b32_e32 v93, v28
	s_set_gpr_idx_off
	s_add_i32 s20, s11, -5
	v_fmac_f64_e32 v[86:87], v[110:111], v[94:95]
	s_set_gpr_idx_on s19, gpr_idx(SRC0)
	v_mov_b32_e32 v92, v28
	s_set_gpr_idx_off
	s_add_i32 s21, s11, -6
	s_waitcnt lgkmcnt(2)
	v_fmac_f64_e32 v[86:87], v[112:113], v[96:97]
	s_set_gpr_idx_on s20, gpr_idx(SRC0)
	v_mov_b32_e32 v95, v28
	s_set_gpr_idx_off
	s_add_i32 s22, s11, -3
	v_fmac_f64_e32 v[86:87], v[92:93], v[98:99]
	s_set_gpr_idx_on s21, gpr_idx(SRC0)
	v_mov_b32_e32 v94, v28
	s_set_gpr_idx_off
	s_add_i32 s23, s11, -4
	s_waitcnt lgkmcnt(1)
	v_fmac_f64_e32 v[86:87], v[94:95], v[100:101]
	s_set_gpr_idx_on s22, gpr_idx(SRC0)
	v_mov_b32_e32 v93, v28
	s_set_gpr_idx_off
	s_add_i32 s24, s11, -1
	s_set_gpr_idx_on s23, gpr_idx(SRC0)
	v_mov_b32_e32 v92, v28
	s_set_gpr_idx_off
	s_add_i32 s25, s11, -2
	v_fmac_f64_e32 v[86:87], v[92:93], v[102:103]
	s_set_gpr_idx_on s24, gpr_idx(SRC0)
	v_mov_b32_e32 v93, v28
	s_set_gpr_idx_off
	s_add_u32 s4, s4, 8
	s_set_gpr_idx_on s25, gpr_idx(SRC0)
	v_mov_b32_e32 v92, v28
	s_set_gpr_idx_off
	v_add_u32_e32 v88, s4, v90
	s_waitcnt lgkmcnt(0)
	v_fmac_f64_e32 v[86:87], v[92:93], v[104:105]
	s_set_gpr_idx_on s11, gpr_idx(SRC0)
	v_mov_b32_e32 v93, v29
	s_set_gpr_idx_off
	s_addc_u32 s5, s5, 0
	s_add_i32 s10, s10, 64
	s_add_i32 s12, s4, -7
	v_cmp_eq_u32_e32 vcc, 13, v88
	s_set_gpr_idx_on s11, gpr_idx(SRC0)
	v_mov_b32_e32 v92, v28
	s_set_gpr_idx_off
	v_mov_b32_e32 v88, s12
	s_or_b64 s[8:9], vcc, s[8:9]
	v_fmac_f64_e32 v[86:87], v[92:93], v[106:107]
	s_andn2_b64 exec, exec, s[8:9]
	s_cbranch_execnz .LBB76_89
; %bb.90:
	s_or_b64 exec, exec, s[8:9]
.LBB76_91:
	s_or_b64 exec, exec, s[0:1]
	v_and_b32_e32 v54, 7, v91
	v_cmp_ne_u32_e32 vcc, 0, v54
	s_and_saveexec_b64 s[8:9], vcc
	s_cbranch_execz .LBB76_95
; %bb.92:
	v_mov_b32_e32 v55, 0x70
	v_lshl_add_u32 v56, v88, 3, v55
	v_mov_b32_e32 v55, 0
	s_mov_b64 s[10:11], 0
.LBB76_93:                              ; =>This Inner Loop Header: Depth=1
	v_cmp_eq_u32_e32 vcc, 1, v88
	v_cndmask_b32_e32 v57, v29, v31, vcc
	v_add_u32_e32 v54, -1, v54
	v_cmp_eq_u32_e64 s[0:1], 2, v88
	v_cndmask_b32_e64 v57, v57, v33, s[0:1]
	v_cndmask_b32_e32 v90, v28, v30, vcc
	v_cmp_eq_u32_e32 vcc, 0, v54
	v_cmp_eq_u32_e64 s[4:5], 3, v88
	v_cndmask_b32_e64 v57, v57, v35, s[4:5]
	v_cndmask_b32_e64 v90, v90, v32, s[0:1]
	s_or_b64 s[10:11], vcc, s[10:11]
	v_cmp_eq_u32_e32 vcc, 4, v88
	v_cndmask_b32_e32 v57, v57, v37, vcc
	v_cndmask_b32_e64 v90, v90, v34, s[4:5]
	v_cmp_eq_u32_e64 s[0:1], 5, v88
	v_cndmask_b32_e64 v57, v57, v39, s[0:1]
	v_cndmask_b32_e32 v90, v90, v36, vcc
	v_cmp_eq_u32_e32 vcc, 6, v88
	v_cndmask_b32_e32 v57, v57, v41, vcc
	v_cndmask_b32_e64 v90, v90, v38, s[0:1]
	v_cmp_eq_u32_e64 s[0:1], 7, v88
	v_cndmask_b32_e64 v57, v57, v43, s[0:1]
	v_cndmask_b32_e32 v90, v90, v40, vcc
	v_cmp_eq_u32_e32 vcc, 8, v88
	v_cndmask_b32_e32 v57, v57, v45, vcc
	v_cndmask_b32_e64 v90, v90, v42, s[0:1]
	v_cmp_eq_u32_e64 s[0:1], 9, v88
	ds_read_b64 v[58:59], v56
	v_cndmask_b32_e64 v57, v57, v47, s[0:1]
	v_cndmask_b32_e32 v90, v90, v44, vcc
	v_cmp_eq_u32_e32 vcc, 10, v88
	v_cndmask_b32_e32 v57, v57, v49, vcc
	v_cndmask_b32_e64 v90, v90, v46, s[0:1]
	v_cmp_eq_u32_e64 s[0:1], 11, v88
	v_cndmask_b32_e64 v57, v57, v51, s[0:1]
	v_cmp_eq_u32_e64 s[4:5], 12, v88
	v_cndmask_b32_e32 v90, v90, v48, vcc
	v_cndmask_b32_e64 v91, v57, v53, s[4:5]
	v_cndmask_b32_e64 v57, v90, v50, s[0:1]
	v_add_co_u32_e32 v88, vcc, 1, v88
	v_cndmask_b32_e64 v90, v57, v52, s[4:5]
	v_add_u32_e32 v56, 8, v56
	v_addc_co_u32_e32 v55, vcc, 0, v55, vcc
	s_waitcnt lgkmcnt(0)
	v_fmac_f64_e32 v[86:87], v[90:91], v[58:59]
	s_andn2_b64 exec, exec, s[10:11]
	s_cbranch_execnz .LBB76_93
; %bb.94:
	s_or_b64 exec, exec, s[10:11]
.LBB76_95:
	s_or_b64 exec, exec, s[8:9]
.LBB76_96:
	s_or_b64 exec, exec, s[6:7]
	v_mov_b32_e32 v38, 0
	ds_read_b64 v[38:39], v38 offset:40
	s_waitcnt lgkmcnt(0)
	v_mul_f64 v[38:39], v[86:87], v[38:39]
.LBB76_97:
	s_or_b64 exec, exec, s[28:29]
	v_cmp_lt_u32_e64 s[0:1], 4, v0
	ds_write_b64 v89, v[36:37]
	s_waitcnt lgkmcnt(0)
	; wave barrier
	s_waitcnt lgkmcnt(0)
	s_and_saveexec_b64 s[28:29], s[0:1]
	s_cbranch_execz .LBB76_113
; %bb.98:
	s_andn2_b64 vcc, exec, s[26:27]
	s_cbranch_vccnz .LBB76_100
; %bb.99:
	v_cmp_eq_u32_e32 vcc, 1, v0
	v_cndmask_b32_e32 v86, v29, v31, vcc
	v_cmp_eq_u32_e64 s[4:5], 2, v0
	v_cndmask_b32_e64 v86, v86, v33, s[4:5]
	v_cmp_eq_u32_e64 s[6:7], 3, v0
	v_cndmask_b32_e64 v86, v86, v35, s[6:7]
	;; [unrolled: 2-line block ×11, first 2 shown]
	v_cndmask_b32_e32 v86, v28, v30, vcc
	v_cndmask_b32_e64 v86, v86, v32, s[4:5]
	v_cndmask_b32_e64 v86, v86, v34, s[6:7]
	;; [unrolled: 1-line block ×7, first 2 shown]
	ds_read_b64 v[90:91], v89
	v_cndmask_b32_e64 v86, v86, v46, s[18:19]
	v_cndmask_b32_e64 v86, v86, v48, s[20:21]
	;; [unrolled: 1-line block ×4, first 2 shown]
	s_waitcnt lgkmcnt(0)
	v_mul_f64 v[86:87], v[86:87], v[90:91]
	s_cbranch_execz .LBB76_101
	s_branch .LBB76_102
.LBB76_100:
                                        ; implicit-def: $vgpr86_vgpr87
.LBB76_101:
	ds_read_b64 v[86:87], v89
.LBB76_102:
	s_and_saveexec_b64 s[6:7], s[2:3]
	s_cbranch_execz .LBB76_112
; %bb.103:
	v_add_u32_e32 v88, -6, v0
	v_add_u32_e32 v91, -5, v0
	v_cmp_lt_u32_e32 vcc, 6, v88
	v_mov_b32_e32 v88, 5
	s_and_saveexec_b64 s[2:3], vcc
	s_cbranch_execz .LBB76_107
; %bb.104:
	v_and_b32_e32 v88, -8, v91
	v_sub_u32_e32 v90, 0, v88
	s_mov_b64 s[4:5], 12
	s_movk_i32 s10, 0x98
	s_mov_b64 s[8:9], 0
.LBB76_105:                             ; =>This Inner Loop Header: Depth=1
	s_lshl_b32 s11, s4, 1
	s_add_i32 s12, s11, -13
	v_mov_b32_e32 v106, s10
	s_add_i32 s13, s11, -14
	s_set_gpr_idx_on s12, gpr_idx(SRC0)
	v_mov_b32_e32 v101, v28
	s_set_gpr_idx_off
	s_add_i32 s14, s11, -11
	s_set_gpr_idx_on s13, gpr_idx(SRC0)
	v_mov_b32_e32 v100, v28
	s_set_gpr_idx_off
	ds_read2_b64 v[92:95], v106 offset1:1
	s_add_i32 s15, s11, -12
	s_set_gpr_idx_on s14, gpr_idx(SRC0)
	v_mov_b32_e32 v103, v28
	s_set_gpr_idx_off
	s_add_i32 s16, s11, -9
	s_set_gpr_idx_on s15, gpr_idx(SRC0)
	v_mov_b32_e32 v102, v28
	s_set_gpr_idx_off
	;; [unrolled: 4-line block ×4, first 2 shown]
	ds_read2_b64 v[96:99], v106 offset0:2 offset1:3
	s_add_i32 s19, s11, -8
	s_waitcnt lgkmcnt(1)
	v_fmac_f64_e32 v[86:87], v[100:101], v[92:93]
	s_set_gpr_idx_on s18, gpr_idx(SRC0)
	v_mov_b32_e32 v101, v28
	s_set_gpr_idx_off
	s_add_i32 s20, s11, -5
	v_fmac_f64_e32 v[86:87], v[102:103], v[94:95]
	s_set_gpr_idx_on s19, gpr_idx(SRC0)
	v_mov_b32_e32 v100, v28
	s_set_gpr_idx_off
	s_add_i32 s21, s11, -6
	s_set_gpr_idx_on s20, gpr_idx(SRC0)
	v_mov_b32_e32 v103, v28
	s_set_gpr_idx_off
	s_add_i32 s22, s11, -3
	;; [unrolled: 4-line block ×3, first 2 shown]
	ds_read2_b64 v[92:95], v106 offset0:4 offset1:5
	s_waitcnt lgkmcnt(1)
	v_fmac_f64_e32 v[86:87], v[104:105], v[96:97]
	s_set_gpr_idx_on s22, gpr_idx(SRC0)
	v_mov_b32_e32 v105, v28
	s_set_gpr_idx_off
	s_add_i32 s24, s11, -1
	v_fmac_f64_e32 v[86:87], v[100:101], v[98:99]
	s_set_gpr_idx_on s23, gpr_idx(SRC0)
	v_mov_b32_e32 v104, v28
	s_set_gpr_idx_off
	s_add_i32 s25, s11, -2
	s_set_gpr_idx_on s24, gpr_idx(SRC0)
	v_mov_b32_e32 v101, v28
	s_set_gpr_idx_off
	s_set_gpr_idx_on s25, gpr_idx(SRC0)
	v_mov_b32_e32 v100, v28
	s_set_gpr_idx_off
	ds_read2_b64 v[96:99], v106 offset0:6 offset1:7
	s_add_u32 s4, s4, 8
	s_waitcnt lgkmcnt(1)
	v_fmac_f64_e32 v[86:87], v[102:103], v[92:93]
	s_set_gpr_idx_on s11, gpr_idx(SRC0)
	v_mov_b32_e32 v93, v29
	s_set_gpr_idx_off
	v_add_u32_e32 v88, s4, v90
	v_fmac_f64_e32 v[86:87], v[104:105], v[94:95]
	s_set_gpr_idx_on s11, gpr_idx(SRC0)
	v_mov_b32_e32 v92, v28
	s_set_gpr_idx_off
	s_addc_u32 s5, s5, 0
	s_add_i32 s10, s10, 64
	s_add_i32 s12, s4, -7
	v_cmp_eq_u32_e32 vcc, 12, v88
	s_waitcnt lgkmcnt(0)
	v_fmac_f64_e32 v[86:87], v[100:101], v[96:97]
	v_mov_b32_e32 v88, s12
	s_or_b64 s[8:9], vcc, s[8:9]
	v_fmac_f64_e32 v[86:87], v[92:93], v[98:99]
	s_andn2_b64 exec, exec, s[8:9]
	s_cbranch_execnz .LBB76_105
; %bb.106:
	s_or_b64 exec, exec, s[8:9]
.LBB76_107:
	s_or_b64 exec, exec, s[2:3]
	v_and_b32_e32 v54, 7, v91
	v_cmp_ne_u32_e32 vcc, 0, v54
	s_and_saveexec_b64 s[8:9], vcc
	s_cbranch_execz .LBB76_111
; %bb.108:
	v_mov_b32_e32 v55, 0x70
	v_lshl_add_u32 v56, v88, 3, v55
	v_mov_b32_e32 v55, 0
	s_mov_b64 s[10:11], 0
.LBB76_109:                             ; =>This Inner Loop Header: Depth=1
	v_cmp_eq_u32_e32 vcc, 1, v88
	v_cndmask_b32_e32 v57, v29, v31, vcc
	v_add_u32_e32 v54, -1, v54
	v_cmp_eq_u32_e64 s[2:3], 2, v88
	v_cndmask_b32_e64 v57, v57, v33, s[2:3]
	v_cndmask_b32_e32 v90, v28, v30, vcc
	v_cmp_eq_u32_e32 vcc, 0, v54
	v_cmp_eq_u32_e64 s[4:5], 3, v88
	v_cndmask_b32_e64 v57, v57, v35, s[4:5]
	v_cndmask_b32_e64 v90, v90, v32, s[2:3]
	s_or_b64 s[10:11], vcc, s[10:11]
	v_cmp_eq_u32_e32 vcc, 4, v88
	v_cndmask_b32_e32 v57, v57, v37, vcc
	v_cndmask_b32_e64 v90, v90, v34, s[4:5]
	v_cmp_eq_u32_e64 s[2:3], 5, v88
	v_cndmask_b32_e64 v57, v57, v39, s[2:3]
	v_cndmask_b32_e32 v90, v90, v36, vcc
	v_cmp_eq_u32_e32 vcc, 6, v88
	v_cndmask_b32_e32 v57, v57, v41, vcc
	v_cndmask_b32_e64 v90, v90, v38, s[2:3]
	v_cmp_eq_u32_e64 s[2:3], 7, v88
	v_cndmask_b32_e64 v57, v57, v43, s[2:3]
	v_cndmask_b32_e32 v90, v90, v40, vcc
	v_cmp_eq_u32_e32 vcc, 8, v88
	v_cndmask_b32_e32 v57, v57, v45, vcc
	v_cndmask_b32_e64 v90, v90, v42, s[2:3]
	v_cmp_eq_u32_e64 s[2:3], 9, v88
	ds_read_b64 v[58:59], v56
	v_cndmask_b32_e64 v57, v57, v47, s[2:3]
	v_cndmask_b32_e32 v90, v90, v44, vcc
	v_cmp_eq_u32_e32 vcc, 10, v88
	v_cndmask_b32_e32 v57, v57, v49, vcc
	v_cndmask_b32_e64 v90, v90, v46, s[2:3]
	v_cmp_eq_u32_e64 s[2:3], 11, v88
	v_cndmask_b32_e64 v57, v57, v51, s[2:3]
	v_cmp_eq_u32_e64 s[4:5], 12, v88
	v_cndmask_b32_e32 v90, v90, v48, vcc
	v_cndmask_b32_e64 v91, v57, v53, s[4:5]
	v_cndmask_b32_e64 v57, v90, v50, s[2:3]
	v_add_co_u32_e32 v88, vcc, 1, v88
	v_cndmask_b32_e64 v90, v57, v52, s[4:5]
	v_add_u32_e32 v56, 8, v56
	v_addc_co_u32_e32 v55, vcc, 0, v55, vcc
	s_waitcnt lgkmcnt(0)
	v_fmac_f64_e32 v[86:87], v[90:91], v[58:59]
	s_andn2_b64 exec, exec, s[10:11]
	s_cbranch_execnz .LBB76_109
; %bb.110:
	s_or_b64 exec, exec, s[10:11]
.LBB76_111:
	s_or_b64 exec, exec, s[8:9]
.LBB76_112:
	s_or_b64 exec, exec, s[6:7]
	v_mov_b32_e32 v36, 0
	ds_read_b64 v[36:37], v36 offset:32
	s_waitcnt lgkmcnt(0)
	v_mul_f64 v[36:37], v[86:87], v[36:37]
.LBB76_113:
	s_or_b64 exec, exec, s[28:29]
	v_cmp_lt_u32_e64 s[2:3], 3, v0
	ds_write_b64 v89, v[34:35]
	s_waitcnt lgkmcnt(0)
	; wave barrier
	s_waitcnt lgkmcnt(0)
	s_and_saveexec_b64 s[28:29], s[2:3]
	s_cbranch_execz .LBB76_129
; %bb.114:
	s_andn2_b64 vcc, exec, s[26:27]
	s_cbranch_vccnz .LBB76_116
; %bb.115:
	v_cmp_eq_u32_e32 vcc, 1, v0
	v_cndmask_b32_e32 v86, v29, v31, vcc
	v_cmp_eq_u32_e64 s[4:5], 2, v0
	v_cndmask_b32_e64 v86, v86, v33, s[4:5]
	v_cmp_eq_u32_e64 s[6:7], 3, v0
	v_cndmask_b32_e64 v86, v86, v35, s[6:7]
	;; [unrolled: 2-line block ×11, first 2 shown]
	v_cndmask_b32_e32 v86, v28, v30, vcc
	v_cndmask_b32_e64 v86, v86, v32, s[4:5]
	v_cndmask_b32_e64 v86, v86, v34, s[6:7]
	;; [unrolled: 1-line block ×7, first 2 shown]
	ds_read_b64 v[90:91], v89
	v_cndmask_b32_e64 v86, v86, v46, s[18:19]
	v_cndmask_b32_e64 v86, v86, v48, s[20:21]
	;; [unrolled: 1-line block ×4, first 2 shown]
	s_waitcnt lgkmcnt(0)
	v_mul_f64 v[86:87], v[86:87], v[90:91]
	s_cbranch_execz .LBB76_117
	s_branch .LBB76_118
.LBB76_116:
                                        ; implicit-def: $vgpr86_vgpr87
.LBB76_117:
	ds_read_b64 v[86:87], v89
.LBB76_118:
	s_and_saveexec_b64 s[6:7], s[0:1]
	s_cbranch_execz .LBB76_128
; %bb.119:
	v_add_u32_e32 v88, -5, v0
	v_add_u32_e32 v91, -4, v0
	v_cmp_lt_u32_e32 vcc, 6, v88
	v_mov_b32_e32 v88, 4
	s_and_saveexec_b64 s[0:1], vcc
	s_cbranch_execz .LBB76_123
; %bb.120:
	v_and_b32_e32 v88, -8, v91
	v_sub_u32_e32 v90, 0, v88
	s_mov_b64 s[4:5], 5
	s_movk_i32 s10, 0x90
	s_mov_b64 s[8:9], 0
.LBB76_121:                             ; =>This Inner Loop Header: Depth=1
	s_lshl_b32 s11, s4, 1
	s_add_i32 s12, s11, -1
	s_add_i32 s13, s11, -2
	s_set_gpr_idx_on s12, gpr_idx(SRC0)
	v_mov_b32_e32 v109, v28
	s_set_gpr_idx_off
	v_mov_b32_e32 v88, s10
	s_set_gpr_idx_on s13, gpr_idx(SRC0)
	v_mov_b32_e32 v108, v28
	s_set_gpr_idx_off
	ds_read_b128 v[92:95], v88
	ds_read_b128 v[96:99], v88 offset:16
	ds_read_b128 v[100:103], v88 offset:32
	;; [unrolled: 1-line block ×3, first 2 shown]
	s_set_gpr_idx_on s11, gpr_idx(SRC0)
	v_mov_b32_e32 v111, v29
	s_add_i32 s14, s11, 3
	v_mov_b32_e32 v110, v28
	s_set_gpr_idx_off
	s_add_i32 s15, s11, 2
	s_set_gpr_idx_on s14, gpr_idx(SRC0)
	v_mov_b32_e32 v113, v28
	s_set_gpr_idx_off
	s_add_i32 s16, s11, 5
	s_set_gpr_idx_on s15, gpr_idx(SRC0)
	v_mov_b32_e32 v112, v28
	s_set_gpr_idx_off
	s_add_i32 s17, s11, 4
	s_waitcnt lgkmcnt(3)
	v_fmac_f64_e32 v[86:87], v[108:109], v[92:93]
	s_set_gpr_idx_on s16, gpr_idx(SRC0)
	v_mov_b32_e32 v93, v28
	s_set_gpr_idx_off
	s_add_i32 s18, s11, 7
	v_fmac_f64_e32 v[86:87], v[110:111], v[94:95]
	s_set_gpr_idx_on s17, gpr_idx(SRC0)
	v_mov_b32_e32 v92, v28
	s_set_gpr_idx_off
	s_add_i32 s19, s11, 6
	s_waitcnt lgkmcnt(2)
	v_fmac_f64_e32 v[86:87], v[112:113], v[96:97]
	s_set_gpr_idx_on s18, gpr_idx(SRC0)
	v_mov_b32_e32 v95, v28
	s_set_gpr_idx_off
	s_add_i32 s20, s11, 9
	v_fmac_f64_e32 v[86:87], v[92:93], v[98:99]
	s_set_gpr_idx_on s19, gpr_idx(SRC0)
	v_mov_b32_e32 v94, v28
	s_set_gpr_idx_off
	s_add_i32 s21, s11, 8
	s_waitcnt lgkmcnt(1)
	v_fmac_f64_e32 v[86:87], v[94:95], v[100:101]
	s_set_gpr_idx_on s20, gpr_idx(SRC0)
	v_mov_b32_e32 v93, v28
	s_set_gpr_idx_off
	s_add_i32 s22, s11, 11
	s_set_gpr_idx_on s21, gpr_idx(SRC0)
	v_mov_b32_e32 v92, v28
	s_set_gpr_idx_off
	s_add_i32 s23, s11, 10
	s_add_i32 s24, s11, 13
	s_add_i32 s25, s11, 12
	v_fmac_f64_e32 v[86:87], v[92:93], v[102:103]
	s_set_gpr_idx_on s22, gpr_idx(SRC0)
	v_mov_b32_e32 v93, v28
	s_set_gpr_idx_off
	s_add_u32 s4, s4, 8
	s_set_gpr_idx_on s23, gpr_idx(SRC0)
	v_mov_b32_e32 v92, v28
	s_set_gpr_idx_off
	v_add_u32_e32 v88, s4, v90
	s_waitcnt lgkmcnt(0)
	v_fmac_f64_e32 v[86:87], v[92:93], v[104:105]
	s_set_gpr_idx_on s24, gpr_idx(SRC0)
	v_mov_b32_e32 v93, v28
	s_set_gpr_idx_off
	s_addc_u32 s5, s5, 0
	s_add_i32 s10, s10, 64
	s_add_i32 s12, s4, -1
	v_cmp_eq_u32_e32 vcc, 5, v88
	s_set_gpr_idx_on s25, gpr_idx(SRC0)
	v_mov_b32_e32 v92, v28
	s_set_gpr_idx_off
	v_mov_b32_e32 v88, s12
	s_or_b64 s[8:9], vcc, s[8:9]
	v_fmac_f64_e32 v[86:87], v[92:93], v[106:107]
	s_andn2_b64 exec, exec, s[8:9]
	s_cbranch_execnz .LBB76_121
; %bb.122:
	s_or_b64 exec, exec, s[8:9]
.LBB76_123:
	s_or_b64 exec, exec, s[0:1]
	v_and_b32_e32 v54, 7, v91
	v_cmp_ne_u32_e32 vcc, 0, v54
	s_and_saveexec_b64 s[8:9], vcc
	s_cbranch_execz .LBB76_127
; %bb.124:
	v_mov_b32_e32 v55, 0x70
	v_lshl_add_u32 v56, v88, 3, v55
	v_mov_b32_e32 v55, 0
	s_mov_b64 s[10:11], 0
.LBB76_125:                             ; =>This Inner Loop Header: Depth=1
	v_cmp_eq_u32_e32 vcc, 1, v88
	v_cndmask_b32_e32 v57, v29, v31, vcc
	v_add_u32_e32 v54, -1, v54
	v_cmp_eq_u32_e64 s[0:1], 2, v88
	v_cndmask_b32_e64 v57, v57, v33, s[0:1]
	v_cndmask_b32_e32 v90, v28, v30, vcc
	v_cmp_eq_u32_e32 vcc, 0, v54
	v_cmp_eq_u32_e64 s[4:5], 3, v88
	v_cndmask_b32_e64 v57, v57, v35, s[4:5]
	v_cndmask_b32_e64 v90, v90, v32, s[0:1]
	s_or_b64 s[10:11], vcc, s[10:11]
	v_cmp_eq_u32_e32 vcc, 4, v88
	v_cndmask_b32_e32 v57, v57, v37, vcc
	v_cndmask_b32_e64 v90, v90, v34, s[4:5]
	v_cmp_eq_u32_e64 s[0:1], 5, v88
	v_cndmask_b32_e64 v57, v57, v39, s[0:1]
	v_cndmask_b32_e32 v90, v90, v36, vcc
	v_cmp_eq_u32_e32 vcc, 6, v88
	v_cndmask_b32_e32 v57, v57, v41, vcc
	v_cndmask_b32_e64 v90, v90, v38, s[0:1]
	v_cmp_eq_u32_e64 s[0:1], 7, v88
	v_cndmask_b32_e64 v57, v57, v43, s[0:1]
	v_cndmask_b32_e32 v90, v90, v40, vcc
	v_cmp_eq_u32_e32 vcc, 8, v88
	v_cndmask_b32_e32 v57, v57, v45, vcc
	v_cndmask_b32_e64 v90, v90, v42, s[0:1]
	v_cmp_eq_u32_e64 s[0:1], 9, v88
	ds_read_b64 v[58:59], v56
	v_cndmask_b32_e64 v57, v57, v47, s[0:1]
	v_cndmask_b32_e32 v90, v90, v44, vcc
	v_cmp_eq_u32_e32 vcc, 10, v88
	v_cndmask_b32_e32 v57, v57, v49, vcc
	v_cndmask_b32_e64 v90, v90, v46, s[0:1]
	v_cmp_eq_u32_e64 s[0:1], 11, v88
	v_cndmask_b32_e64 v57, v57, v51, s[0:1]
	v_cmp_eq_u32_e64 s[4:5], 12, v88
	v_cndmask_b32_e32 v90, v90, v48, vcc
	v_cndmask_b32_e64 v91, v57, v53, s[4:5]
	v_cndmask_b32_e64 v57, v90, v50, s[0:1]
	v_add_co_u32_e32 v88, vcc, 1, v88
	v_cndmask_b32_e64 v90, v57, v52, s[4:5]
	v_add_u32_e32 v56, 8, v56
	v_addc_co_u32_e32 v55, vcc, 0, v55, vcc
	s_waitcnt lgkmcnt(0)
	v_fmac_f64_e32 v[86:87], v[90:91], v[58:59]
	s_andn2_b64 exec, exec, s[10:11]
	s_cbranch_execnz .LBB76_125
; %bb.126:
	s_or_b64 exec, exec, s[10:11]
.LBB76_127:
	s_or_b64 exec, exec, s[8:9]
.LBB76_128:
	s_or_b64 exec, exec, s[6:7]
	v_mov_b32_e32 v34, 0
	ds_read_b64 v[34:35], v34 offset:24
	s_waitcnt lgkmcnt(0)
	v_mul_f64 v[34:35], v[86:87], v[34:35]
.LBB76_129:
	s_or_b64 exec, exec, s[28:29]
	v_cmp_lt_u32_e64 s[0:1], 2, v0
	ds_write_b64 v89, v[32:33]
	s_waitcnt lgkmcnt(0)
	; wave barrier
	s_waitcnt lgkmcnt(0)
	s_and_saveexec_b64 s[28:29], s[0:1]
	s_cbranch_execz .LBB76_145
; %bb.130:
	s_andn2_b64 vcc, exec, s[26:27]
	s_cbranch_vccnz .LBB76_132
; %bb.131:
	v_cmp_eq_u32_e32 vcc, 1, v0
	v_cndmask_b32_e32 v86, v29, v31, vcc
	v_cmp_eq_u32_e64 s[4:5], 2, v0
	v_cndmask_b32_e64 v86, v86, v33, s[4:5]
	v_cmp_eq_u32_e64 s[6:7], 3, v0
	v_cndmask_b32_e64 v86, v86, v35, s[6:7]
	;; [unrolled: 2-line block ×11, first 2 shown]
	v_cndmask_b32_e32 v86, v28, v30, vcc
	v_cndmask_b32_e64 v86, v86, v32, s[4:5]
	v_cndmask_b32_e64 v86, v86, v34, s[6:7]
	;; [unrolled: 1-line block ×7, first 2 shown]
	ds_read_b64 v[90:91], v89
	v_cndmask_b32_e64 v86, v86, v46, s[18:19]
	v_cndmask_b32_e64 v86, v86, v48, s[20:21]
	;; [unrolled: 1-line block ×4, first 2 shown]
	s_waitcnt lgkmcnt(0)
	v_mul_f64 v[86:87], v[86:87], v[90:91]
	s_cbranch_execz .LBB76_133
	s_branch .LBB76_134
.LBB76_132:
                                        ; implicit-def: $vgpr86_vgpr87
.LBB76_133:
	ds_read_b64 v[86:87], v89
.LBB76_134:
	s_and_saveexec_b64 s[6:7], s[2:3]
	s_cbranch_execz .LBB76_144
; %bb.135:
	v_add_u32_e32 v88, -4, v0
	v_add_u32_e32 v91, -3, v0
	v_cmp_lt_u32_e32 vcc, 6, v88
	v_mov_b32_e32 v88, 3
	s_and_saveexec_b64 s[2:3], vcc
	s_cbranch_execz .LBB76_139
; %bb.136:
	v_and_b32_e32 v88, -8, v91
	v_sub_u32_e32 v90, 0, v88
	s_mov_b64 s[4:5], 10
	s_movk_i32 s10, 0x88
	s_mov_b64 s[8:9], 0
.LBB76_137:                             ; =>This Inner Loop Header: Depth=1
	s_lshl_b32 s11, s4, 1
	s_add_i32 s12, s11, -13
	v_mov_b32_e32 v106, s10
	s_add_i32 s13, s11, -14
	s_set_gpr_idx_on s12, gpr_idx(SRC0)
	v_mov_b32_e32 v101, v28
	s_set_gpr_idx_off
	s_add_i32 s14, s11, -11
	s_set_gpr_idx_on s13, gpr_idx(SRC0)
	v_mov_b32_e32 v100, v28
	s_set_gpr_idx_off
	ds_read2_b64 v[92:95], v106 offset1:1
	s_add_i32 s15, s11, -12
	s_set_gpr_idx_on s14, gpr_idx(SRC0)
	v_mov_b32_e32 v103, v28
	s_set_gpr_idx_off
	s_add_i32 s16, s11, -9
	s_set_gpr_idx_on s15, gpr_idx(SRC0)
	v_mov_b32_e32 v102, v28
	s_set_gpr_idx_off
	;; [unrolled: 4-line block ×4, first 2 shown]
	ds_read2_b64 v[96:99], v106 offset0:2 offset1:3
	s_add_i32 s19, s11, -8
	s_waitcnt lgkmcnt(1)
	v_fmac_f64_e32 v[86:87], v[100:101], v[92:93]
	s_set_gpr_idx_on s18, gpr_idx(SRC0)
	v_mov_b32_e32 v101, v28
	s_set_gpr_idx_off
	s_add_i32 s20, s11, -5
	v_fmac_f64_e32 v[86:87], v[102:103], v[94:95]
	s_set_gpr_idx_on s19, gpr_idx(SRC0)
	v_mov_b32_e32 v100, v28
	s_set_gpr_idx_off
	s_add_i32 s21, s11, -6
	s_set_gpr_idx_on s20, gpr_idx(SRC0)
	v_mov_b32_e32 v103, v28
	s_set_gpr_idx_off
	s_add_i32 s22, s11, -3
	;; [unrolled: 4-line block ×3, first 2 shown]
	ds_read2_b64 v[92:95], v106 offset0:4 offset1:5
	s_waitcnt lgkmcnt(1)
	v_fmac_f64_e32 v[86:87], v[104:105], v[96:97]
	s_set_gpr_idx_on s22, gpr_idx(SRC0)
	v_mov_b32_e32 v105, v28
	s_set_gpr_idx_off
	s_add_i32 s24, s11, -1
	v_fmac_f64_e32 v[86:87], v[100:101], v[98:99]
	s_set_gpr_idx_on s23, gpr_idx(SRC0)
	v_mov_b32_e32 v104, v28
	s_set_gpr_idx_off
	s_add_i32 s25, s11, -2
	s_set_gpr_idx_on s24, gpr_idx(SRC0)
	v_mov_b32_e32 v101, v28
	s_set_gpr_idx_off
	s_set_gpr_idx_on s25, gpr_idx(SRC0)
	v_mov_b32_e32 v100, v28
	s_set_gpr_idx_off
	ds_read2_b64 v[96:99], v106 offset0:6 offset1:7
	s_add_u32 s4, s4, 8
	s_waitcnt lgkmcnt(1)
	v_fmac_f64_e32 v[86:87], v[102:103], v[92:93]
	s_set_gpr_idx_on s11, gpr_idx(SRC0)
	v_mov_b32_e32 v93, v29
	s_set_gpr_idx_off
	v_add_u32_e32 v88, s4, v90
	v_fmac_f64_e32 v[86:87], v[104:105], v[94:95]
	s_set_gpr_idx_on s11, gpr_idx(SRC0)
	v_mov_b32_e32 v92, v28
	s_set_gpr_idx_off
	s_addc_u32 s5, s5, 0
	s_add_i32 s10, s10, 64
	s_add_i32 s12, s4, -7
	v_cmp_eq_u32_e32 vcc, 10, v88
	s_waitcnt lgkmcnt(0)
	v_fmac_f64_e32 v[86:87], v[100:101], v[96:97]
	v_mov_b32_e32 v88, s12
	s_or_b64 s[8:9], vcc, s[8:9]
	v_fmac_f64_e32 v[86:87], v[92:93], v[98:99]
	s_andn2_b64 exec, exec, s[8:9]
	s_cbranch_execnz .LBB76_137
; %bb.138:
	s_or_b64 exec, exec, s[8:9]
.LBB76_139:
	s_or_b64 exec, exec, s[2:3]
	v_and_b32_e32 v54, 7, v91
	v_cmp_ne_u32_e32 vcc, 0, v54
	s_and_saveexec_b64 s[8:9], vcc
	s_cbranch_execz .LBB76_143
; %bb.140:
	v_mov_b32_e32 v55, 0x70
	v_lshl_add_u32 v56, v88, 3, v55
	v_mov_b32_e32 v55, 0
	s_mov_b64 s[10:11], 0
.LBB76_141:                             ; =>This Inner Loop Header: Depth=1
	v_cmp_eq_u32_e32 vcc, 1, v88
	v_cndmask_b32_e32 v57, v29, v31, vcc
	v_add_u32_e32 v54, -1, v54
	v_cmp_eq_u32_e64 s[2:3], 2, v88
	v_cndmask_b32_e64 v57, v57, v33, s[2:3]
	v_cndmask_b32_e32 v90, v28, v30, vcc
	v_cmp_eq_u32_e32 vcc, 0, v54
	v_cmp_eq_u32_e64 s[4:5], 3, v88
	v_cndmask_b32_e64 v57, v57, v35, s[4:5]
	v_cndmask_b32_e64 v90, v90, v32, s[2:3]
	s_or_b64 s[10:11], vcc, s[10:11]
	v_cmp_eq_u32_e32 vcc, 4, v88
	v_cndmask_b32_e32 v57, v57, v37, vcc
	v_cndmask_b32_e64 v90, v90, v34, s[4:5]
	v_cmp_eq_u32_e64 s[2:3], 5, v88
	v_cndmask_b32_e64 v57, v57, v39, s[2:3]
	v_cndmask_b32_e32 v90, v90, v36, vcc
	v_cmp_eq_u32_e32 vcc, 6, v88
	v_cndmask_b32_e32 v57, v57, v41, vcc
	v_cndmask_b32_e64 v90, v90, v38, s[2:3]
	v_cmp_eq_u32_e64 s[2:3], 7, v88
	v_cndmask_b32_e64 v57, v57, v43, s[2:3]
	v_cndmask_b32_e32 v90, v90, v40, vcc
	v_cmp_eq_u32_e32 vcc, 8, v88
	v_cndmask_b32_e32 v57, v57, v45, vcc
	v_cndmask_b32_e64 v90, v90, v42, s[2:3]
	v_cmp_eq_u32_e64 s[2:3], 9, v88
	ds_read_b64 v[58:59], v56
	v_cndmask_b32_e64 v57, v57, v47, s[2:3]
	v_cndmask_b32_e32 v90, v90, v44, vcc
	v_cmp_eq_u32_e32 vcc, 10, v88
	v_cndmask_b32_e32 v57, v57, v49, vcc
	v_cndmask_b32_e64 v90, v90, v46, s[2:3]
	v_cmp_eq_u32_e64 s[2:3], 11, v88
	v_cndmask_b32_e64 v57, v57, v51, s[2:3]
	v_cmp_eq_u32_e64 s[4:5], 12, v88
	v_cndmask_b32_e32 v90, v90, v48, vcc
	v_cndmask_b32_e64 v91, v57, v53, s[4:5]
	v_cndmask_b32_e64 v57, v90, v50, s[2:3]
	v_add_co_u32_e32 v88, vcc, 1, v88
	v_cndmask_b32_e64 v90, v57, v52, s[4:5]
	v_add_u32_e32 v56, 8, v56
	v_addc_co_u32_e32 v55, vcc, 0, v55, vcc
	s_waitcnt lgkmcnt(0)
	v_fmac_f64_e32 v[86:87], v[90:91], v[58:59]
	s_andn2_b64 exec, exec, s[10:11]
	s_cbranch_execnz .LBB76_141
; %bb.142:
	s_or_b64 exec, exec, s[10:11]
.LBB76_143:
	s_or_b64 exec, exec, s[8:9]
.LBB76_144:
	s_or_b64 exec, exec, s[6:7]
	v_mov_b32_e32 v32, 0
	ds_read_b64 v[32:33], v32 offset:16
	s_waitcnt lgkmcnt(0)
	v_mul_f64 v[32:33], v[86:87], v[32:33]
.LBB76_145:
	s_or_b64 exec, exec, s[28:29]
	v_cmp_lt_u32_e64 s[2:3], 1, v0
	ds_write_b64 v89, v[30:31]
	s_waitcnt lgkmcnt(0)
	; wave barrier
	s_waitcnt lgkmcnt(0)
	s_and_saveexec_b64 s[28:29], s[2:3]
	s_cbranch_execz .LBB76_161
; %bb.146:
	s_andn2_b64 vcc, exec, s[26:27]
	s_cbranch_vccnz .LBB76_148
; %bb.147:
	v_cmp_eq_u32_e32 vcc, 1, v0
	v_cndmask_b32_e32 v86, v29, v31, vcc
	v_cmp_eq_u32_e64 s[4:5], 2, v0
	v_cndmask_b32_e64 v86, v86, v33, s[4:5]
	v_cmp_eq_u32_e64 s[6:7], 3, v0
	v_cndmask_b32_e64 v86, v86, v35, s[6:7]
	;; [unrolled: 2-line block ×11, first 2 shown]
	v_cndmask_b32_e32 v86, v28, v30, vcc
	v_cndmask_b32_e64 v86, v86, v32, s[4:5]
	v_cndmask_b32_e64 v86, v86, v34, s[6:7]
	;; [unrolled: 1-line block ×7, first 2 shown]
	ds_read_b64 v[90:91], v89
	v_cndmask_b32_e64 v86, v86, v46, s[18:19]
	v_cndmask_b32_e64 v86, v86, v48, s[20:21]
	;; [unrolled: 1-line block ×4, first 2 shown]
	s_waitcnt lgkmcnt(0)
	v_mul_f64 v[86:87], v[86:87], v[90:91]
	s_cbranch_execz .LBB76_149
	s_branch .LBB76_150
.LBB76_148:
                                        ; implicit-def: $vgpr86_vgpr87
.LBB76_149:
	ds_read_b64 v[86:87], v89
.LBB76_150:
	s_and_saveexec_b64 s[6:7], s[0:1]
	s_cbranch_execz .LBB76_160
; %bb.151:
	v_add_u32_e32 v88, -3, v0
	v_add_u32_e32 v91, -2, v0
	v_cmp_lt_u32_e32 vcc, 6, v88
	v_mov_b32_e32 v88, 2
	s_and_saveexec_b64 s[0:1], vcc
	s_cbranch_execz .LBB76_155
; %bb.152:
	v_and_b32_e32 v88, -8, v91
	v_sub_u32_e32 v90, 0, v88
	s_mov_b64 s[4:5], 9
	s_movk_i32 s10, 0x80
	s_mov_b64 s[8:9], 0
.LBB76_153:                             ; =>This Inner Loop Header: Depth=1
	s_lshl_b32 s11, s4, 1
	s_add_i32 s12, s11, -13
	s_add_i32 s13, s11, -14
	s_set_gpr_idx_on s12, gpr_idx(SRC0)
	v_mov_b32_e32 v109, v28
	s_set_gpr_idx_off
	v_mov_b32_e32 v88, s10
	s_add_i32 s14, s11, -11
	s_set_gpr_idx_on s13, gpr_idx(SRC0)
	v_mov_b32_e32 v108, v28
	s_set_gpr_idx_off
	s_add_i32 s15, s11, -12
	ds_read_b128 v[92:95], v88
	ds_read_b128 v[96:99], v88 offset:16
	ds_read_b128 v[100:103], v88 offset:32
	;; [unrolled: 1-line block ×3, first 2 shown]
	s_set_gpr_idx_on s14, gpr_idx(SRC0)
	v_mov_b32_e32 v111, v28
	s_set_gpr_idx_off
	s_add_i32 s16, s11, -9
	s_set_gpr_idx_on s15, gpr_idx(SRC0)
	v_mov_b32_e32 v110, v28
	s_set_gpr_idx_off
	s_add_i32 s17, s11, -10
	;; [unrolled: 4-line block ×4, first 2 shown]
	s_waitcnt lgkmcnt(3)
	v_fmac_f64_e32 v[86:87], v[108:109], v[92:93]
	s_set_gpr_idx_on s18, gpr_idx(SRC0)
	v_mov_b32_e32 v93, v28
	s_set_gpr_idx_off
	s_add_i32 s20, s11, -5
	v_fmac_f64_e32 v[86:87], v[110:111], v[94:95]
	s_set_gpr_idx_on s19, gpr_idx(SRC0)
	v_mov_b32_e32 v92, v28
	s_set_gpr_idx_off
	s_add_i32 s21, s11, -6
	s_waitcnt lgkmcnt(2)
	v_fmac_f64_e32 v[86:87], v[112:113], v[96:97]
	s_set_gpr_idx_on s20, gpr_idx(SRC0)
	v_mov_b32_e32 v95, v28
	s_set_gpr_idx_off
	s_add_i32 s22, s11, -3
	v_fmac_f64_e32 v[86:87], v[92:93], v[98:99]
	s_set_gpr_idx_on s21, gpr_idx(SRC0)
	v_mov_b32_e32 v94, v28
	s_set_gpr_idx_off
	s_add_i32 s23, s11, -4
	s_waitcnt lgkmcnt(1)
	v_fmac_f64_e32 v[86:87], v[94:95], v[100:101]
	s_set_gpr_idx_on s22, gpr_idx(SRC0)
	v_mov_b32_e32 v93, v28
	s_set_gpr_idx_off
	s_add_i32 s24, s11, -1
	s_set_gpr_idx_on s23, gpr_idx(SRC0)
	v_mov_b32_e32 v92, v28
	s_set_gpr_idx_off
	s_add_i32 s25, s11, -2
	v_fmac_f64_e32 v[86:87], v[92:93], v[102:103]
	s_set_gpr_idx_on s24, gpr_idx(SRC0)
	v_mov_b32_e32 v93, v28
	s_set_gpr_idx_off
	s_add_u32 s4, s4, 8
	s_set_gpr_idx_on s25, gpr_idx(SRC0)
	v_mov_b32_e32 v92, v28
	s_set_gpr_idx_off
	v_add_u32_e32 v88, s4, v90
	s_waitcnt lgkmcnt(0)
	v_fmac_f64_e32 v[86:87], v[92:93], v[104:105]
	s_set_gpr_idx_on s11, gpr_idx(SRC0)
	v_mov_b32_e32 v93, v29
	s_set_gpr_idx_off
	s_addc_u32 s5, s5, 0
	s_add_i32 s10, s10, 64
	s_add_i32 s12, s4, -7
	v_cmp_eq_u32_e32 vcc, 9, v88
	s_set_gpr_idx_on s11, gpr_idx(SRC0)
	v_mov_b32_e32 v92, v28
	s_set_gpr_idx_off
	v_mov_b32_e32 v88, s12
	s_or_b64 s[8:9], vcc, s[8:9]
	v_fmac_f64_e32 v[86:87], v[92:93], v[106:107]
	s_andn2_b64 exec, exec, s[8:9]
	s_cbranch_execnz .LBB76_153
; %bb.154:
	s_or_b64 exec, exec, s[8:9]
.LBB76_155:
	s_or_b64 exec, exec, s[0:1]
	v_and_b32_e32 v54, 7, v91
	v_cmp_ne_u32_e32 vcc, 0, v54
	s_and_saveexec_b64 s[8:9], vcc
	s_cbranch_execz .LBB76_159
; %bb.156:
	v_mov_b32_e32 v55, 0x70
	v_lshl_add_u32 v56, v88, 3, v55
	v_mov_b32_e32 v55, 0
	s_mov_b64 s[10:11], 0
.LBB76_157:                             ; =>This Inner Loop Header: Depth=1
	v_cmp_eq_u32_e32 vcc, 1, v88
	v_cndmask_b32_e32 v57, v29, v31, vcc
	v_add_u32_e32 v54, -1, v54
	v_cmp_eq_u32_e64 s[0:1], 2, v88
	v_cndmask_b32_e64 v57, v57, v33, s[0:1]
	v_cndmask_b32_e32 v90, v28, v30, vcc
	v_cmp_eq_u32_e32 vcc, 0, v54
	v_cmp_eq_u32_e64 s[4:5], 3, v88
	v_cndmask_b32_e64 v57, v57, v35, s[4:5]
	v_cndmask_b32_e64 v90, v90, v32, s[0:1]
	s_or_b64 s[10:11], vcc, s[10:11]
	v_cmp_eq_u32_e32 vcc, 4, v88
	v_cndmask_b32_e32 v57, v57, v37, vcc
	v_cndmask_b32_e64 v90, v90, v34, s[4:5]
	v_cmp_eq_u32_e64 s[0:1], 5, v88
	v_cndmask_b32_e64 v57, v57, v39, s[0:1]
	v_cndmask_b32_e32 v90, v90, v36, vcc
	v_cmp_eq_u32_e32 vcc, 6, v88
	v_cndmask_b32_e32 v57, v57, v41, vcc
	v_cndmask_b32_e64 v90, v90, v38, s[0:1]
	v_cmp_eq_u32_e64 s[0:1], 7, v88
	v_cndmask_b32_e64 v57, v57, v43, s[0:1]
	v_cndmask_b32_e32 v90, v90, v40, vcc
	v_cmp_eq_u32_e32 vcc, 8, v88
	v_cndmask_b32_e32 v57, v57, v45, vcc
	v_cndmask_b32_e64 v90, v90, v42, s[0:1]
	v_cmp_eq_u32_e64 s[0:1], 9, v88
	ds_read_b64 v[58:59], v56
	v_cndmask_b32_e64 v57, v57, v47, s[0:1]
	v_cndmask_b32_e32 v90, v90, v44, vcc
	v_cmp_eq_u32_e32 vcc, 10, v88
	v_cndmask_b32_e32 v57, v57, v49, vcc
	v_cndmask_b32_e64 v90, v90, v46, s[0:1]
	v_cmp_eq_u32_e64 s[0:1], 11, v88
	v_cndmask_b32_e64 v57, v57, v51, s[0:1]
	v_cmp_eq_u32_e64 s[4:5], 12, v88
	v_cndmask_b32_e32 v90, v90, v48, vcc
	v_cndmask_b32_e64 v91, v57, v53, s[4:5]
	v_cndmask_b32_e64 v57, v90, v50, s[0:1]
	v_add_co_u32_e32 v88, vcc, 1, v88
	v_cndmask_b32_e64 v90, v57, v52, s[4:5]
	v_add_u32_e32 v56, 8, v56
	v_addc_co_u32_e32 v55, vcc, 0, v55, vcc
	s_waitcnt lgkmcnt(0)
	v_fmac_f64_e32 v[86:87], v[90:91], v[58:59]
	s_andn2_b64 exec, exec, s[10:11]
	s_cbranch_execnz .LBB76_157
; %bb.158:
	s_or_b64 exec, exec, s[10:11]
.LBB76_159:
	s_or_b64 exec, exec, s[8:9]
.LBB76_160:
	s_or_b64 exec, exec, s[6:7]
	v_mov_b32_e32 v30, 0
	ds_read_b64 v[30:31], v30 offset:8
	s_waitcnt lgkmcnt(0)
	v_mul_f64 v[30:31], v[86:87], v[30:31]
.LBB76_161:
	s_or_b64 exec, exec, s[28:29]
	v_cmp_ne_u32_e32 vcc, 0, v0
	ds_write_b64 v89, v[28:29]
	s_waitcnt lgkmcnt(0)
	; wave barrier
	s_waitcnt lgkmcnt(0)
	s_and_saveexec_b64 s[24:25], vcc
	s_cbranch_execz .LBB76_177
; %bb.162:
	s_andn2_b64 vcc, exec, s[26:27]
	s_cbranch_vccnz .LBB76_164
; %bb.163:
	v_cmp_eq_u32_e32 vcc, 1, v0
	v_cndmask_b32_e32 v86, v29, v31, vcc
	v_cmp_eq_u32_e64 s[0:1], 2, v0
	v_cndmask_b32_e64 v86, v86, v33, s[0:1]
	v_cmp_eq_u32_e64 s[4:5], 3, v0
	v_cndmask_b32_e64 v86, v86, v35, s[4:5]
	;; [unrolled: 2-line block ×11, first 2 shown]
	v_cndmask_b32_e32 v86, v28, v30, vcc
	v_cndmask_b32_e64 v86, v86, v32, s[0:1]
	v_cndmask_b32_e64 v86, v86, v34, s[4:5]
	;; [unrolled: 1-line block ×7, first 2 shown]
	ds_read_b64 v[90:91], v89
	v_cndmask_b32_e64 v86, v86, v46, s[16:17]
	v_cndmask_b32_e64 v86, v86, v48, s[18:19]
	;; [unrolled: 1-line block ×4, first 2 shown]
	s_waitcnt lgkmcnt(0)
	v_mul_f64 v[86:87], v[86:87], v[90:91]
	s_cbranch_execz .LBB76_165
	s_branch .LBB76_166
.LBB76_164:
                                        ; implicit-def: $vgpr86_vgpr87
.LBB76_165:
	ds_read_b64 v[86:87], v89
.LBB76_166:
	s_and_saveexec_b64 s[4:5], s[2:3]
	s_cbranch_execz .LBB76_176
; %bb.167:
	v_add_u32_e32 v88, -2, v0
	v_add_u32_e32 v91, -1, v0
	v_cmp_lt_u32_e32 vcc, 6, v88
	v_mov_b32_e32 v88, 1
	s_and_saveexec_b64 s[0:1], vcc
	s_cbranch_execz .LBB76_171
; %bb.168:
	v_and_b32_e32 v88, -8, v91
	v_sub_u32_e32 v90, 0, v88
	s_mov_b64 s[2:3], 8
	s_movk_i32 s8, 0x78
	s_mov_b64 s[6:7], 0
.LBB76_169:                             ; =>This Inner Loop Header: Depth=1
	s_lshl_b32 s9, s2, 1
	s_add_i32 s10, s9, -13
	v_mov_b32_e32 v106, s8
	s_add_i32 s11, s9, -14
	s_set_gpr_idx_on s10, gpr_idx(SRC0)
	v_mov_b32_e32 v101, v28
	s_set_gpr_idx_off
	s_add_i32 s12, s9, -11
	s_set_gpr_idx_on s11, gpr_idx(SRC0)
	v_mov_b32_e32 v100, v28
	s_set_gpr_idx_off
	ds_read2_b64 v[92:95], v106 offset1:1
	s_add_i32 s13, s9, -12
	s_set_gpr_idx_on s12, gpr_idx(SRC0)
	v_mov_b32_e32 v103, v28
	s_set_gpr_idx_off
	s_add_i32 s14, s9, -9
	s_set_gpr_idx_on s13, gpr_idx(SRC0)
	v_mov_b32_e32 v102, v28
	s_set_gpr_idx_off
	;; [unrolled: 4-line block ×4, first 2 shown]
	ds_read2_b64 v[96:99], v106 offset0:2 offset1:3
	s_add_i32 s17, s9, -8
	s_waitcnt lgkmcnt(1)
	v_fmac_f64_e32 v[86:87], v[100:101], v[92:93]
	s_set_gpr_idx_on s16, gpr_idx(SRC0)
	v_mov_b32_e32 v101, v28
	s_set_gpr_idx_off
	s_add_i32 s18, s9, -5
	v_fmac_f64_e32 v[86:87], v[102:103], v[94:95]
	s_set_gpr_idx_on s17, gpr_idx(SRC0)
	v_mov_b32_e32 v100, v28
	s_set_gpr_idx_off
	s_add_i32 s19, s9, -6
	s_set_gpr_idx_on s18, gpr_idx(SRC0)
	v_mov_b32_e32 v103, v28
	s_set_gpr_idx_off
	s_add_i32 s20, s9, -3
	;; [unrolled: 4-line block ×3, first 2 shown]
	ds_read2_b64 v[92:95], v106 offset0:4 offset1:5
	s_waitcnt lgkmcnt(1)
	v_fmac_f64_e32 v[86:87], v[104:105], v[96:97]
	s_set_gpr_idx_on s20, gpr_idx(SRC0)
	v_mov_b32_e32 v105, v28
	s_set_gpr_idx_off
	s_add_i32 s22, s9, -1
	v_fmac_f64_e32 v[86:87], v[100:101], v[98:99]
	s_set_gpr_idx_on s21, gpr_idx(SRC0)
	v_mov_b32_e32 v104, v28
	s_set_gpr_idx_off
	s_add_i32 s23, s9, -2
	s_set_gpr_idx_on s22, gpr_idx(SRC0)
	v_mov_b32_e32 v101, v28
	s_set_gpr_idx_off
	s_set_gpr_idx_on s23, gpr_idx(SRC0)
	v_mov_b32_e32 v100, v28
	s_set_gpr_idx_off
	ds_read2_b64 v[96:99], v106 offset0:6 offset1:7
	s_add_u32 s2, s2, 8
	s_waitcnt lgkmcnt(1)
	v_fmac_f64_e32 v[86:87], v[102:103], v[92:93]
	s_set_gpr_idx_on s9, gpr_idx(SRC0)
	v_mov_b32_e32 v93, v29
	s_set_gpr_idx_off
	v_add_u32_e32 v88, s2, v90
	v_fmac_f64_e32 v[86:87], v[104:105], v[94:95]
	s_set_gpr_idx_on s9, gpr_idx(SRC0)
	v_mov_b32_e32 v92, v28
	s_set_gpr_idx_off
	s_addc_u32 s3, s3, 0
	s_add_i32 s8, s8, 64
	s_add_i32 s10, s2, -7
	v_cmp_eq_u32_e32 vcc, 8, v88
	s_waitcnt lgkmcnt(0)
	v_fmac_f64_e32 v[86:87], v[100:101], v[96:97]
	v_mov_b32_e32 v88, s10
	s_or_b64 s[6:7], vcc, s[6:7]
	v_fmac_f64_e32 v[86:87], v[92:93], v[98:99]
	s_andn2_b64 exec, exec, s[6:7]
	s_cbranch_execnz .LBB76_169
; %bb.170:
	s_or_b64 exec, exec, s[6:7]
.LBB76_171:
	s_or_b64 exec, exec, s[0:1]
	v_and_b32_e32 v54, 7, v91
	v_cmp_ne_u32_e32 vcc, 0, v54
	s_and_saveexec_b64 s[6:7], vcc
	s_cbranch_execz .LBB76_175
; %bb.172:
	v_mov_b32_e32 v55, 0x70
	v_lshl_add_u32 v56, v88, 3, v55
	v_mov_b32_e32 v55, 0
	s_mov_b64 s[8:9], 0
.LBB76_173:                             ; =>This Inner Loop Header: Depth=1
	v_cmp_eq_u32_e32 vcc, 1, v88
	v_cndmask_b32_e32 v57, v29, v31, vcc
	v_add_u32_e32 v54, -1, v54
	v_cmp_eq_u32_e64 s[0:1], 2, v88
	v_cndmask_b32_e64 v57, v57, v33, s[0:1]
	v_cndmask_b32_e32 v90, v28, v30, vcc
	v_cmp_eq_u32_e32 vcc, 0, v54
	v_cmp_eq_u32_e64 s[2:3], 3, v88
	v_cndmask_b32_e64 v57, v57, v35, s[2:3]
	v_cndmask_b32_e64 v90, v90, v32, s[0:1]
	s_or_b64 s[8:9], vcc, s[8:9]
	v_cmp_eq_u32_e32 vcc, 4, v88
	v_cndmask_b32_e32 v57, v57, v37, vcc
	v_cndmask_b32_e64 v90, v90, v34, s[2:3]
	v_cmp_eq_u32_e64 s[0:1], 5, v88
	v_cndmask_b32_e64 v57, v57, v39, s[0:1]
	v_cndmask_b32_e32 v90, v90, v36, vcc
	v_cmp_eq_u32_e32 vcc, 6, v88
	v_cndmask_b32_e32 v57, v57, v41, vcc
	v_cndmask_b32_e64 v90, v90, v38, s[0:1]
	v_cmp_eq_u32_e64 s[0:1], 7, v88
	v_cndmask_b32_e64 v57, v57, v43, s[0:1]
	v_cndmask_b32_e32 v90, v90, v40, vcc
	v_cmp_eq_u32_e32 vcc, 8, v88
	v_cndmask_b32_e32 v57, v57, v45, vcc
	v_cndmask_b32_e64 v90, v90, v42, s[0:1]
	v_cmp_eq_u32_e64 s[0:1], 9, v88
	ds_read_b64 v[58:59], v56
	v_cndmask_b32_e64 v57, v57, v47, s[0:1]
	v_cndmask_b32_e32 v90, v90, v44, vcc
	v_cmp_eq_u32_e32 vcc, 10, v88
	v_cndmask_b32_e32 v57, v57, v49, vcc
	v_cndmask_b32_e64 v90, v90, v46, s[0:1]
	v_cmp_eq_u32_e64 s[0:1], 11, v88
	v_cndmask_b32_e64 v57, v57, v51, s[0:1]
	v_cmp_eq_u32_e64 s[2:3], 12, v88
	v_cndmask_b32_e32 v90, v90, v48, vcc
	v_cndmask_b32_e64 v91, v57, v53, s[2:3]
	v_cndmask_b32_e64 v57, v90, v50, s[0:1]
	v_add_co_u32_e32 v88, vcc, 1, v88
	v_cndmask_b32_e64 v90, v57, v52, s[2:3]
	v_add_u32_e32 v56, 8, v56
	v_addc_co_u32_e32 v55, vcc, 0, v55, vcc
	s_waitcnt lgkmcnt(0)
	v_fmac_f64_e32 v[86:87], v[90:91], v[58:59]
	s_andn2_b64 exec, exec, s[8:9]
	s_cbranch_execnz .LBB76_173
; %bb.174:
	s_or_b64 exec, exec, s[8:9]
.LBB76_175:
	s_or_b64 exec, exec, s[6:7]
.LBB76_176:
	s_or_b64 exec, exec, s[4:5]
	v_mov_b32_e32 v28, 0
	ds_read_b64 v[28:29], v28
	s_waitcnt lgkmcnt(0)
	v_mul_f64 v[28:29], v[86:87], v[28:29]
.LBB76_177:
	s_or_b64 exec, exec, s[24:25]
	s_branch .LBB76_303
.LBB76_178:
	v_cmp_eq_u32_e64 s[2:3], 0, v0
	s_waitcnt vmcnt(11)
	ds_write_b64 v89, v[4:5]
	s_waitcnt lgkmcnt(0)
	; wave barrier
	s_waitcnt lgkmcnt(0)
	s_and_saveexec_b64 s[24:25], s[2:3]
	s_cbranch_execz .LBB76_184
; %bb.179:
	s_and_b64 vcc, exec, s[26:27]
	s_cbranch_vccz .LBB76_181
; %bb.180:
	v_cmp_eq_u32_e32 vcc, 1, v0
	v_cndmask_b32_e32 v5, v3, v5, vcc
	v_cmp_eq_u32_e64 s[0:1], 2, v0
	v_cndmask_b32_e32 v4, v2, v4, vcc
	s_waitcnt vmcnt(10)
	v_cndmask_b32_e64 v5, v5, v7, s[0:1]
	v_cmp_eq_u32_e64 s[4:5], 3, v0
	v_cndmask_b32_e64 v4, v4, v6, s[0:1]
	s_waitcnt vmcnt(9)
	v_cndmask_b32_e64 v5, v5, v9, s[4:5]
	v_cmp_eq_u32_e64 s[6:7], 4, v0
	v_cndmask_b32_e64 v4, v4, v8, s[4:5]
	;; [unrolled: 4-line block ×7, first 2 shown]
	ds_read_b64 v[28:29], v89
	s_waitcnt vmcnt(3)
	v_cndmask_b32_e64 v5, v5, v21, s[16:17]
	v_cmp_eq_u32_e64 s[18:19], 10, v0
	v_cndmask_b32_e64 v4, v4, v20, s[16:17]
	s_waitcnt vmcnt(2)
	v_cndmask_b32_e64 v5, v5, v23, s[18:19]
	v_cmp_eq_u32_e64 s[20:21], 11, v0
	v_cndmask_b32_e64 v4, v4, v22, s[18:19]
	s_waitcnt vmcnt(1)
	v_cndmask_b32_e64 v5, v5, v25, s[20:21]
	v_cmp_eq_u32_e64 s[22:23], 12, v0
	v_cndmask_b32_e64 v4, v4, v24, s[20:21]
	s_waitcnt vmcnt(0)
	v_cndmask_b32_e64 v5, v5, v27, s[22:23]
	v_cndmask_b32_e64 v4, v4, v26, s[22:23]
	s_waitcnt lgkmcnt(0)
	v_mul_f64 v[4:5], v[4:5], v[28:29]
	s_cbranch_execz .LBB76_182
	s_branch .LBB76_183
.LBB76_181:
                                        ; implicit-def: $vgpr4_vgpr5
.LBB76_182:
	ds_read_b64 v[4:5], v89
.LBB76_183:
	v_mov_b32_e32 v28, 0
	ds_read_b64 v[28:29], v28 offset:8
	s_waitcnt lgkmcnt(0)
	v_mul_f64 v[4:5], v[4:5], v[28:29]
.LBB76_184:
	s_or_b64 exec, exec, s[24:25]
	v_cndmask_b32_e64 v28, 0, 1, s[26:27]
	v_add_u32_e32 v32, 1, v0
	v_cmp_gt_u32_e32 vcc, 2, v0
	v_cmp_ne_u32_e64 s[0:1], 1, v28
	s_waitcnt vmcnt(10)
	ds_write_b64 v89, v[6:7]
	s_waitcnt lgkmcnt(0)
	; wave barrier
	s_waitcnt lgkmcnt(0)
	s_and_saveexec_b64 s[26:27], vcc
	s_cbranch_execz .LBB76_192
; %bb.185:
	s_and_b64 vcc, exec, s[0:1]
	s_cbranch_vccnz .LBB76_187
; %bb.186:
	v_cmp_eq_u32_e32 vcc, 1, v0
	v_cndmask_b32_e32 v28, v3, v5, vcc
	v_cmp_eq_u32_e64 s[4:5], 2, v0
	v_cndmask_b32_e64 v28, v28, v7, s[4:5]
	v_cmp_eq_u32_e64 s[6:7], 3, v0
	s_waitcnt vmcnt(9)
	v_cndmask_b32_e64 v28, v28, v9, s[6:7]
	v_cmp_eq_u32_e64 s[8:9], 4, v0
	s_waitcnt vmcnt(8)
	;; [unrolled: 3-line block ×10, first 2 shown]
	v_cndmask_b32_e64 v29, v28, v27, s[24:25]
	v_cndmask_b32_e32 v28, v2, v4, vcc
	v_cndmask_b32_e64 v28, v28, v6, s[4:5]
	v_cndmask_b32_e64 v28, v28, v8, s[6:7]
	;; [unrolled: 1-line block ×7, first 2 shown]
	ds_read_b64 v[30:31], v89
	v_cndmask_b32_e64 v28, v28, v20, s[18:19]
	v_cndmask_b32_e64 v28, v28, v22, s[20:21]
	;; [unrolled: 1-line block ×4, first 2 shown]
	s_waitcnt lgkmcnt(0)
	v_mul_f64 v[28:29], v[28:29], v[30:31]
	s_cbranch_execz .LBB76_188
	s_branch .LBB76_189
.LBB76_187:
                                        ; implicit-def: $vgpr28_vgpr29
.LBB76_188:
	ds_read_b64 v[28:29], v89
.LBB76_189:
	s_and_saveexec_b64 s[28:29], s[2:3]
	s_cbranch_execz .LBB76_191
; %bb.190:
	v_cmp_eq_u32_e32 vcc, 1, v32
	v_cndmask_b32_e32 v30, v3, v5, vcc
	v_cmp_eq_u32_e64 s[4:5], 2, v32
	v_cndmask_b32_e64 v7, v30, v7, s[4:5]
	v_cndmask_b32_e32 v30, v2, v4, vcc
	v_cmp_eq_u32_e64 s[6:7], 3, v32
	v_cndmask_b32_e64 v6, v30, v6, s[4:5]
	s_waitcnt vmcnt(9)
	v_cndmask_b32_e64 v7, v7, v9, s[6:7]
	v_cmp_eq_u32_e64 s[8:9], 4, v32
	v_cndmask_b32_e64 v6, v6, v8, s[6:7]
	s_waitcnt vmcnt(8)
	v_cndmask_b32_e64 v7, v7, v11, s[8:9]
	;; [unrolled: 4-line block ×6, first 2 shown]
	v_cmp_eq_u32_e64 s[18:19], 9, v32
	v_cndmask_b32_e64 v6, v6, v18, s[16:17]
	ds_read_b64 v[30:31], v89 offset:8
	s_waitcnt vmcnt(3)
	v_cndmask_b32_e64 v7, v7, v21, s[18:19]
	v_cmp_eq_u32_e64 s[20:21], 10, v32
	v_cndmask_b32_e64 v6, v6, v20, s[18:19]
	s_waitcnt vmcnt(2)
	v_cndmask_b32_e64 v7, v7, v23, s[20:21]
	v_cmp_eq_u32_e64 s[22:23], 11, v32
	v_cndmask_b32_e64 v6, v6, v22, s[20:21]
	s_waitcnt vmcnt(1)
	v_cndmask_b32_e64 v7, v7, v25, s[22:23]
	v_cmp_eq_u32_e64 s[24:25], 12, v32
	v_cndmask_b32_e64 v6, v6, v24, s[22:23]
	s_waitcnt vmcnt(0)
	v_cndmask_b32_e64 v7, v7, v27, s[24:25]
	v_cndmask_b32_e64 v6, v6, v26, s[24:25]
	s_waitcnt lgkmcnt(0)
	v_fmac_f64_e32 v[28:29], v[6:7], v[30:31]
.LBB76_191:
	s_or_b64 exec, exec, s[28:29]
	v_mov_b32_e32 v6, 0
	ds_read_b64 v[6:7], v6 offset:16
	s_waitcnt lgkmcnt(0)
	v_mul_f64 v[6:7], v[28:29], v[6:7]
.LBB76_192:
	s_or_b64 exec, exec, s[26:27]
	v_cmp_gt_u32_e64 s[4:5], 3, v0
	s_waitcnt vmcnt(9)
	ds_write_b64 v89, v[8:9]
	s_waitcnt lgkmcnt(0)
	; wave barrier
	s_waitcnt lgkmcnt(0)
	s_and_saveexec_b64 s[28:29], s[4:5]
	s_cbranch_execz .LBB76_200
; %bb.193:
	s_and_b64 vcc, exec, s[0:1]
	s_cbranch_vccnz .LBB76_195
; %bb.194:
	v_cmp_eq_u32_e32 vcc, 1, v0
	v_cndmask_b32_e32 v28, v3, v5, vcc
	v_cmp_eq_u32_e64 s[6:7], 2, v0
	v_cndmask_b32_e64 v28, v28, v7, s[6:7]
	v_cmp_eq_u32_e64 s[8:9], 3, v0
	v_cndmask_b32_e64 v28, v28, v9, s[8:9]
	v_cmp_eq_u32_e64 s[10:11], 4, v0
	s_waitcnt vmcnt(8)
	v_cndmask_b32_e64 v28, v28, v11, s[10:11]
	v_cmp_eq_u32_e64 s[12:13], 5, v0
	s_waitcnt vmcnt(7)
	;; [unrolled: 3-line block ×9, first 2 shown]
	v_cndmask_b32_e64 v29, v28, v27, s[26:27]
	v_cndmask_b32_e32 v28, v2, v4, vcc
	v_cndmask_b32_e64 v28, v28, v6, s[6:7]
	v_cndmask_b32_e64 v28, v28, v8, s[8:9]
	;; [unrolled: 1-line block ×7, first 2 shown]
	ds_read_b64 v[30:31], v89
	v_cndmask_b32_e64 v28, v28, v20, s[20:21]
	v_cndmask_b32_e64 v28, v28, v22, s[22:23]
	;; [unrolled: 1-line block ×4, first 2 shown]
	s_waitcnt lgkmcnt(0)
	v_mul_f64 v[28:29], v[28:29], v[30:31]
	s_cbranch_execz .LBB76_196
	s_branch .LBB76_197
.LBB76_195:
                                        ; implicit-def: $vgpr28_vgpr29
.LBB76_196:
	ds_read_b64 v[28:29], v89
.LBB76_197:
	v_cmp_ne_u32_e32 vcc, 2, v0
	s_and_saveexec_b64 s[30:31], vcc
	s_cbranch_execz .LBB76_199
; %bb.198:
	v_cmp_eq_u32_e32 vcc, 1, v32
	v_cndmask_b32_e32 v30, v3, v5, vcc
	v_cmp_eq_u32_e64 s[6:7], 2, v32
	v_cndmask_b32_e64 v30, v30, v7, s[6:7]
	v_cmp_eq_u32_e64 s[8:9], 3, v32
	v_cndmask_b32_e64 v9, v30, v9, s[8:9]
	v_cndmask_b32_e32 v30, v2, v4, vcc
	v_cndmask_b32_e64 v30, v30, v6, s[6:7]
	v_cmp_eq_u32_e64 s[10:11], 4, v32
	v_cndmask_b32_e64 v8, v30, v8, s[8:9]
	s_waitcnt vmcnt(8)
	v_cndmask_b32_e64 v9, v9, v11, s[10:11]
	v_cmp_eq_u32_e64 s[12:13], 5, v32
	v_cndmask_b32_e64 v8, v8, v10, s[10:11]
	s_waitcnt vmcnt(7)
	;; [unrolled: 4-line block ×6, first 2 shown]
	v_cndmask_b32_e64 v9, v9, v21, s[20:21]
	v_cmp_eq_u32_e64 s[22:23], 10, v32
	v_cndmask_b32_e64 v8, v8, v20, s[20:21]
	v_mov_b32_e32 v33, 0
	ds_read_b64 v[30:31], v89 offset:8
	ds_read_b64 v[34:35], v33 offset:128
	s_waitcnt vmcnt(2)
	v_cndmask_b32_e64 v9, v9, v23, s[22:23]
	v_cmp_eq_u32_e64 s[24:25], 11, v32
	v_cndmask_b32_e64 v8, v8, v22, s[22:23]
	s_waitcnt vmcnt(1)
	v_cndmask_b32_e64 v9, v9, v25, s[24:25]
	v_cmp_eq_u32_e64 s[26:27], 12, v32
	v_cndmask_b32_e64 v8, v8, v24, s[24:25]
	s_waitcnt vmcnt(0)
	v_cndmask_b32_e64 v9, v9, v27, s[26:27]
	v_cndmask_b32_e64 v8, v8, v26, s[26:27]
	s_waitcnt lgkmcnt(1)
	v_fmac_f64_e32 v[28:29], v[8:9], v[30:31]
	s_waitcnt lgkmcnt(0)
	v_fma_f64 v[8:9], v[6:7], v[34:35], v[28:29]
	v_cndmask_b32_e64 v29, v29, v9, s[2:3]
	v_cndmask_b32_e64 v28, v28, v8, s[2:3]
.LBB76_199:
	s_or_b64 exec, exec, s[30:31]
	v_mov_b32_e32 v8, 0
	ds_read_b64 v[8:9], v8 offset:24
	s_waitcnt lgkmcnt(0)
	v_mul_f64 v[8:9], v[28:29], v[8:9]
.LBB76_200:
	s_or_b64 exec, exec, s[28:29]
	v_cmp_gt_u32_e32 vcc, 4, v0
	s_waitcnt vmcnt(8)
	ds_write_b64 v89, v[10:11]
	s_waitcnt lgkmcnt(0)
	; wave barrier
	s_waitcnt lgkmcnt(0)
	s_and_saveexec_b64 s[28:29], vcc
	s_cbranch_execz .LBB76_210
; %bb.201:
	s_and_b64 vcc, exec, s[0:1]
	s_cbranch_vccnz .LBB76_203
; %bb.202:
	v_cmp_eq_u32_e32 vcc, 1, v0
	v_cndmask_b32_e32 v28, v3, v5, vcc
	v_cmp_eq_u32_e64 s[6:7], 2, v0
	v_cndmask_b32_e64 v28, v28, v7, s[6:7]
	v_cmp_eq_u32_e64 s[8:9], 3, v0
	v_cndmask_b32_e64 v28, v28, v9, s[8:9]
	;; [unrolled: 2-line block ×3, first 2 shown]
	v_cmp_eq_u32_e64 s[12:13], 5, v0
	s_waitcnt vmcnt(7)
	v_cndmask_b32_e64 v28, v28, v13, s[12:13]
	v_cmp_eq_u32_e64 s[14:15], 6, v0
	s_waitcnt vmcnt(6)
	v_cndmask_b32_e64 v28, v28, v15, s[14:15]
	;; [unrolled: 3-line block ×8, first 2 shown]
	v_cndmask_b32_e32 v28, v2, v4, vcc
	v_cndmask_b32_e64 v28, v28, v6, s[6:7]
	v_cndmask_b32_e64 v28, v28, v8, s[8:9]
	;; [unrolled: 1-line block ×7, first 2 shown]
	ds_read_b64 v[30:31], v89
	v_cndmask_b32_e64 v28, v28, v20, s[20:21]
	v_cndmask_b32_e64 v28, v28, v22, s[22:23]
	;; [unrolled: 1-line block ×4, first 2 shown]
	s_waitcnt lgkmcnt(0)
	v_mul_f64 v[28:29], v[28:29], v[30:31]
	s_cbranch_execz .LBB76_204
	s_branch .LBB76_205
.LBB76_203:
                                        ; implicit-def: $vgpr28_vgpr29
.LBB76_204:
	ds_read_b64 v[28:29], v89
.LBB76_205:
	v_cmp_ne_u32_e32 vcc, 3, v0
	s_and_saveexec_b64 s[10:11], vcc
	s_cbranch_execz .LBB76_209
; %bb.206:
	v_mov_b32_e32 v30, 0x78
	v_lshl_add_u32 v33, v0, 3, v30
	s_mov_b64 s[12:13], 0
	v_pk_mov_b32 v[30:31], v[0:1], v[0:1] op_sel:[0,1]
.LBB76_207:                             ; =>This Inner Loop Header: Depth=1
	v_add_co_u32_e32 v30, vcc, 1, v30
	v_addc_co_u32_e32 v31, vcc, 0, v31, vcc
	v_cmp_eq_u32_e32 vcc, 1, v30
	v_cndmask_b32_e32 v36, v3, v5, vcc
	v_cmp_eq_u32_e64 s[8:9], 2, v30
	v_cmp_lt_u32_e64 s[6:7], 2, v30
	v_cndmask_b32_e64 v36, v36, v7, s[8:9]
	v_cndmask_b32_e32 v37, v2, v4, vcc
	v_cmp_eq_u32_e32 vcc, 3, v30
	s_or_b64 s[12:13], s[6:7], s[12:13]
	v_cndmask_b32_e32 v36, v36, v9, vcc
	v_cndmask_b32_e64 v37, v37, v6, s[8:9]
	v_cmp_eq_u32_e64 s[6:7], 4, v30
	v_cndmask_b32_e64 v36, v36, v11, s[6:7]
	v_cndmask_b32_e32 v37, v37, v8, vcc
	v_cmp_eq_u32_e32 vcc, 5, v30
	s_waitcnt vmcnt(7)
	v_cndmask_b32_e32 v36, v36, v13, vcc
	v_cndmask_b32_e64 v37, v37, v10, s[6:7]
	v_cmp_eq_u32_e64 s[6:7], 6, v30
	s_waitcnt vmcnt(6)
	v_cndmask_b32_e64 v36, v36, v15, s[6:7]
	v_cndmask_b32_e32 v37, v37, v12, vcc
	v_cmp_eq_u32_e32 vcc, 7, v30
	s_waitcnt vmcnt(5)
	v_cndmask_b32_e32 v36, v36, v17, vcc
	v_cndmask_b32_e64 v37, v37, v14, s[6:7]
	v_cmp_eq_u32_e64 s[6:7], 8, v30
	s_waitcnt vmcnt(4)
	v_cndmask_b32_e64 v36, v36, v19, s[6:7]
	v_cndmask_b32_e32 v37, v37, v16, vcc
	v_cmp_eq_u32_e32 vcc, 9, v30
	ds_read_b64 v[34:35], v33
	s_waitcnt vmcnt(3)
	v_cndmask_b32_e32 v36, v36, v21, vcc
	v_cndmask_b32_e64 v37, v37, v18, s[6:7]
	v_cmp_eq_u32_e64 s[6:7], 10, v30
	s_waitcnt vmcnt(2)
	v_cndmask_b32_e64 v36, v36, v23, s[6:7]
	v_cndmask_b32_e32 v37, v37, v20, vcc
	v_cmp_eq_u32_e32 vcc, 11, v30
	s_waitcnt vmcnt(1)
	v_cndmask_b32_e32 v36, v36, v25, vcc
	v_cndmask_b32_e64 v38, v37, v22, s[6:7]
	v_cmp_eq_u32_e64 s[6:7], 12, v30
	s_waitcnt vmcnt(0)
	v_cndmask_b32_e64 v37, v36, v27, s[6:7]
	v_cndmask_b32_e32 v36, v38, v24, vcc
	v_cndmask_b32_e64 v36, v36, v26, s[6:7]
	v_add_u32_e32 v33, 8, v33
	s_waitcnt lgkmcnt(0)
	v_fmac_f64_e32 v[28:29], v[36:37], v[34:35]
	s_andn2_b64 exec, exec, s[12:13]
	s_cbranch_execnz .LBB76_207
; %bb.208:
	s_or_b64 exec, exec, s[12:13]
.LBB76_209:
	s_or_b64 exec, exec, s[10:11]
	v_mov_b32_e32 v10, 0
	ds_read_b64 v[10:11], v10 offset:32
	s_waitcnt lgkmcnt(0)
	v_mul_f64 v[10:11], v[28:29], v[10:11]
.LBB76_210:
	s_or_b64 exec, exec, s[28:29]
	v_cmp_gt_u32_e64 s[6:7], 5, v0
	s_waitcnt vmcnt(7)
	ds_write_b64 v89, v[12:13]
	s_waitcnt lgkmcnt(0)
	; wave barrier
	s_waitcnt lgkmcnt(0)
	s_and_saveexec_b64 s[30:31], s[6:7]
	s_cbranch_execz .LBB76_220
; %bb.211:
	s_and_b64 vcc, exec, s[0:1]
	s_cbranch_vccnz .LBB76_213
; %bb.212:
	v_cmp_eq_u32_e32 vcc, 1, v0
	v_cndmask_b32_e32 v28, v3, v5, vcc
	v_cmp_eq_u32_e64 s[8:9], 2, v0
	v_cndmask_b32_e64 v28, v28, v7, s[8:9]
	v_cmp_eq_u32_e64 s[10:11], 3, v0
	v_cndmask_b32_e64 v28, v28, v9, s[10:11]
	;; [unrolled: 2-line block ×4, first 2 shown]
	v_cmp_eq_u32_e64 s[16:17], 6, v0
	s_waitcnt vmcnt(6)
	v_cndmask_b32_e64 v28, v28, v15, s[16:17]
	v_cmp_eq_u32_e64 s[18:19], 7, v0
	s_waitcnt vmcnt(5)
	v_cndmask_b32_e64 v28, v28, v17, s[18:19]
	;; [unrolled: 3-line block ×7, first 2 shown]
	v_cndmask_b32_e32 v28, v2, v4, vcc
	v_cndmask_b32_e64 v28, v28, v6, s[8:9]
	v_cndmask_b32_e64 v28, v28, v8, s[10:11]
	;; [unrolled: 1-line block ×7, first 2 shown]
	ds_read_b64 v[30:31], v89
	v_cndmask_b32_e64 v28, v28, v20, s[22:23]
	v_cndmask_b32_e64 v28, v28, v22, s[24:25]
	;; [unrolled: 1-line block ×4, first 2 shown]
	s_waitcnt lgkmcnt(0)
	v_mul_f64 v[28:29], v[28:29], v[30:31]
	s_cbranch_execz .LBB76_214
	s_branch .LBB76_215
.LBB76_213:
                                        ; implicit-def: $vgpr28_vgpr29
.LBB76_214:
	ds_read_b64 v[28:29], v89
.LBB76_215:
	v_cmp_ne_u32_e32 vcc, 4, v0
	s_and_saveexec_b64 s[12:13], vcc
	s_cbranch_execz .LBB76_219
; %bb.216:
	v_mov_b32_e32 v30, 0x78
	v_lshl_add_u32 v33, v0, 3, v30
	s_mov_b64 s[14:15], 0
	v_pk_mov_b32 v[30:31], v[0:1], v[0:1] op_sel:[0,1]
.LBB76_217:                             ; =>This Inner Loop Header: Depth=1
	v_add_co_u32_e32 v30, vcc, 1, v30
	v_addc_co_u32_e32 v31, vcc, 0, v31, vcc
	v_cmp_eq_u32_e32 vcc, 1, v30
	v_cndmask_b32_e32 v36, v3, v5, vcc
	v_cmp_eq_u32_e64 s[10:11], 2, v30
	v_cmp_lt_u32_e64 s[8:9], 3, v30
	v_cndmask_b32_e64 v36, v36, v7, s[10:11]
	v_cndmask_b32_e32 v37, v2, v4, vcc
	v_cmp_eq_u32_e32 vcc, 3, v30
	s_or_b64 s[14:15], s[8:9], s[14:15]
	v_cndmask_b32_e32 v36, v36, v9, vcc
	v_cndmask_b32_e64 v37, v37, v6, s[10:11]
	v_cmp_eq_u32_e64 s[8:9], 4, v30
	v_cndmask_b32_e64 v36, v36, v11, s[8:9]
	v_cndmask_b32_e32 v37, v37, v8, vcc
	v_cmp_eq_u32_e32 vcc, 5, v30
	v_cndmask_b32_e32 v36, v36, v13, vcc
	v_cndmask_b32_e64 v37, v37, v10, s[8:9]
	v_cmp_eq_u32_e64 s[8:9], 6, v30
	s_waitcnt vmcnt(6)
	v_cndmask_b32_e64 v36, v36, v15, s[8:9]
	v_cndmask_b32_e32 v37, v37, v12, vcc
	v_cmp_eq_u32_e32 vcc, 7, v30
	s_waitcnt vmcnt(5)
	v_cndmask_b32_e32 v36, v36, v17, vcc
	v_cndmask_b32_e64 v37, v37, v14, s[8:9]
	v_cmp_eq_u32_e64 s[8:9], 8, v30
	s_waitcnt vmcnt(4)
	v_cndmask_b32_e64 v36, v36, v19, s[8:9]
	v_cndmask_b32_e32 v37, v37, v16, vcc
	v_cmp_eq_u32_e32 vcc, 9, v30
	ds_read_b64 v[34:35], v33
	s_waitcnt vmcnt(3)
	v_cndmask_b32_e32 v36, v36, v21, vcc
	v_cndmask_b32_e64 v37, v37, v18, s[8:9]
	v_cmp_eq_u32_e64 s[8:9], 10, v30
	s_waitcnt vmcnt(2)
	v_cndmask_b32_e64 v36, v36, v23, s[8:9]
	v_cndmask_b32_e32 v37, v37, v20, vcc
	v_cmp_eq_u32_e32 vcc, 11, v30
	s_waitcnt vmcnt(1)
	v_cndmask_b32_e32 v36, v36, v25, vcc
	v_cndmask_b32_e64 v38, v37, v22, s[8:9]
	v_cmp_eq_u32_e64 s[8:9], 12, v30
	s_waitcnt vmcnt(0)
	v_cndmask_b32_e64 v37, v36, v27, s[8:9]
	v_cndmask_b32_e32 v36, v38, v24, vcc
	v_cndmask_b32_e64 v36, v36, v26, s[8:9]
	v_add_u32_e32 v33, 8, v33
	s_waitcnt lgkmcnt(0)
	v_fmac_f64_e32 v[28:29], v[36:37], v[34:35]
	s_andn2_b64 exec, exec, s[14:15]
	s_cbranch_execnz .LBB76_217
; %bb.218:
	s_or_b64 exec, exec, s[14:15]
.LBB76_219:
	s_or_b64 exec, exec, s[12:13]
	v_mov_b32_e32 v12, 0
	ds_read_b64 v[12:13], v12 offset:40
	s_waitcnt lgkmcnt(0)
	v_mul_f64 v[12:13], v[28:29], v[12:13]
.LBB76_220:
	s_or_b64 exec, exec, s[30:31]
	v_cmp_gt_u32_e32 vcc, 6, v0
	s_waitcnt vmcnt(6)
	ds_write_b64 v89, v[14:15]
	s_waitcnt lgkmcnt(0)
	; wave barrier
	s_waitcnt lgkmcnt(0)
	s_and_saveexec_b64 s[30:31], vcc
	s_cbranch_execz .LBB76_230
; %bb.221:
	s_and_b64 vcc, exec, s[0:1]
	s_cbranch_vccnz .LBB76_223
; %bb.222:
	v_cmp_eq_u32_e32 vcc, 1, v0
	v_cndmask_b32_e32 v28, v3, v5, vcc
	v_cmp_eq_u32_e64 s[8:9], 2, v0
	v_cndmask_b32_e64 v28, v28, v7, s[8:9]
	v_cmp_eq_u32_e64 s[10:11], 3, v0
	v_cndmask_b32_e64 v28, v28, v9, s[10:11]
	;; [unrolled: 2-line block ×5, first 2 shown]
	v_cmp_eq_u32_e64 s[18:19], 7, v0
	s_waitcnt vmcnt(5)
	v_cndmask_b32_e64 v28, v28, v17, s[18:19]
	v_cmp_eq_u32_e64 s[20:21], 8, v0
	s_waitcnt vmcnt(4)
	v_cndmask_b32_e64 v28, v28, v19, s[20:21]
	;; [unrolled: 3-line block ×6, first 2 shown]
	v_cndmask_b32_e32 v28, v2, v4, vcc
	v_cndmask_b32_e64 v28, v28, v6, s[8:9]
	v_cndmask_b32_e64 v28, v28, v8, s[10:11]
	;; [unrolled: 1-line block ×7, first 2 shown]
	ds_read_b64 v[30:31], v89
	v_cndmask_b32_e64 v28, v28, v20, s[22:23]
	v_cndmask_b32_e64 v28, v28, v22, s[24:25]
	;; [unrolled: 1-line block ×4, first 2 shown]
	s_waitcnt lgkmcnt(0)
	v_mul_f64 v[28:29], v[28:29], v[30:31]
	s_cbranch_execz .LBB76_224
	s_branch .LBB76_225
.LBB76_223:
                                        ; implicit-def: $vgpr28_vgpr29
.LBB76_224:
	ds_read_b64 v[28:29], v89
.LBB76_225:
	v_cmp_ne_u32_e32 vcc, 5, v0
	s_and_saveexec_b64 s[12:13], vcc
	s_cbranch_execz .LBB76_229
; %bb.226:
	v_mov_b32_e32 v30, 0x78
	v_lshl_add_u32 v33, v0, 3, v30
	s_mov_b64 s[14:15], 0
	v_pk_mov_b32 v[30:31], v[0:1], v[0:1] op_sel:[0,1]
.LBB76_227:                             ; =>This Inner Loop Header: Depth=1
	v_add_co_u32_e32 v30, vcc, 1, v30
	v_addc_co_u32_e32 v31, vcc, 0, v31, vcc
	v_cmp_eq_u32_e32 vcc, 1, v30
	v_cndmask_b32_e32 v36, v3, v5, vcc
	v_cmp_eq_u32_e64 s[10:11], 2, v30
	v_cmp_lt_u32_e64 s[8:9], 4, v30
	v_cndmask_b32_e64 v36, v36, v7, s[10:11]
	v_cndmask_b32_e32 v37, v2, v4, vcc
	v_cmp_eq_u32_e32 vcc, 3, v30
	s_or_b64 s[14:15], s[8:9], s[14:15]
	v_cndmask_b32_e32 v36, v36, v9, vcc
	v_cndmask_b32_e64 v37, v37, v6, s[10:11]
	v_cmp_eq_u32_e64 s[8:9], 4, v30
	v_cndmask_b32_e64 v36, v36, v11, s[8:9]
	v_cndmask_b32_e32 v37, v37, v8, vcc
	v_cmp_eq_u32_e32 vcc, 5, v30
	v_cndmask_b32_e32 v36, v36, v13, vcc
	v_cndmask_b32_e64 v37, v37, v10, s[8:9]
	v_cmp_eq_u32_e64 s[8:9], 6, v30
	v_cndmask_b32_e64 v36, v36, v15, s[8:9]
	v_cndmask_b32_e32 v37, v37, v12, vcc
	v_cmp_eq_u32_e32 vcc, 7, v30
	s_waitcnt vmcnt(5)
	v_cndmask_b32_e32 v36, v36, v17, vcc
	v_cndmask_b32_e64 v37, v37, v14, s[8:9]
	v_cmp_eq_u32_e64 s[8:9], 8, v30
	s_waitcnt vmcnt(4)
	v_cndmask_b32_e64 v36, v36, v19, s[8:9]
	v_cndmask_b32_e32 v37, v37, v16, vcc
	v_cmp_eq_u32_e32 vcc, 9, v30
	ds_read_b64 v[34:35], v33
	s_waitcnt vmcnt(3)
	v_cndmask_b32_e32 v36, v36, v21, vcc
	v_cndmask_b32_e64 v37, v37, v18, s[8:9]
	v_cmp_eq_u32_e64 s[8:9], 10, v30
	s_waitcnt vmcnt(2)
	v_cndmask_b32_e64 v36, v36, v23, s[8:9]
	v_cndmask_b32_e32 v37, v37, v20, vcc
	v_cmp_eq_u32_e32 vcc, 11, v30
	s_waitcnt vmcnt(1)
	v_cndmask_b32_e32 v36, v36, v25, vcc
	v_cndmask_b32_e64 v38, v37, v22, s[8:9]
	v_cmp_eq_u32_e64 s[8:9], 12, v30
	s_waitcnt vmcnt(0)
	v_cndmask_b32_e64 v37, v36, v27, s[8:9]
	v_cndmask_b32_e32 v36, v38, v24, vcc
	v_cndmask_b32_e64 v36, v36, v26, s[8:9]
	v_add_u32_e32 v33, 8, v33
	s_waitcnt lgkmcnt(0)
	v_fmac_f64_e32 v[28:29], v[36:37], v[34:35]
	s_andn2_b64 exec, exec, s[14:15]
	s_cbranch_execnz .LBB76_227
; %bb.228:
	s_or_b64 exec, exec, s[14:15]
.LBB76_229:
	s_or_b64 exec, exec, s[12:13]
	v_mov_b32_e32 v14, 0
	ds_read_b64 v[14:15], v14 offset:48
	s_waitcnt lgkmcnt(0)
	v_mul_f64 v[14:15], v[28:29], v[14:15]
.LBB76_230:
	s_or_b64 exec, exec, s[30:31]
	v_cmp_gt_u32_e64 s[8:9], 7, v0
	s_waitcnt vmcnt(5)
	ds_write_b64 v89, v[16:17]
	s_waitcnt lgkmcnt(0)
	; wave barrier
	s_waitcnt lgkmcnt(0)
	s_and_saveexec_b64 s[34:35], s[8:9]
	s_cbranch_execz .LBB76_240
; %bb.231:
	s_and_b64 vcc, exec, s[0:1]
	s_cbranch_vccnz .LBB76_233
; %bb.232:
	v_cmp_eq_u32_e32 vcc, 1, v0
	v_cndmask_b32_e32 v28, v3, v5, vcc
	v_cmp_eq_u32_e64 s[10:11], 2, v0
	v_cndmask_b32_e64 v28, v28, v7, s[10:11]
	v_cmp_eq_u32_e64 s[12:13], 3, v0
	v_cndmask_b32_e64 v28, v28, v9, s[12:13]
	;; [unrolled: 2-line block ×6, first 2 shown]
	v_cmp_eq_u32_e64 s[22:23], 8, v0
	s_waitcnt vmcnt(4)
	v_cndmask_b32_e64 v28, v28, v19, s[22:23]
	v_cmp_eq_u32_e64 s[24:25], 9, v0
	s_waitcnt vmcnt(3)
	v_cndmask_b32_e64 v28, v28, v21, s[24:25]
	v_cmp_eq_u32_e64 s[26:27], 10, v0
	s_waitcnt vmcnt(2)
	v_cndmask_b32_e64 v28, v28, v23, s[26:27]
	v_cmp_eq_u32_e64 s[28:29], 11, v0
	s_waitcnt vmcnt(1)
	v_cndmask_b32_e64 v28, v28, v25, s[28:29]
	v_cmp_eq_u32_e64 s[30:31], 12, v0
	s_waitcnt vmcnt(0)
	v_cndmask_b32_e64 v29, v28, v27, s[30:31]
	v_cndmask_b32_e32 v28, v2, v4, vcc
	v_cndmask_b32_e64 v28, v28, v6, s[10:11]
	v_cndmask_b32_e64 v28, v28, v8, s[12:13]
	;; [unrolled: 1-line block ×7, first 2 shown]
	ds_read_b64 v[30:31], v89
	v_cndmask_b32_e64 v28, v28, v20, s[24:25]
	v_cndmask_b32_e64 v28, v28, v22, s[26:27]
	;; [unrolled: 1-line block ×4, first 2 shown]
	s_waitcnt lgkmcnt(0)
	v_mul_f64 v[28:29], v[28:29], v[30:31]
	s_cbranch_execz .LBB76_234
	s_branch .LBB76_235
.LBB76_233:
                                        ; implicit-def: $vgpr28_vgpr29
.LBB76_234:
	ds_read_b64 v[28:29], v89
.LBB76_235:
	v_cmp_ne_u32_e32 vcc, 6, v0
	s_and_saveexec_b64 s[14:15], vcc
	s_cbranch_execz .LBB76_239
; %bb.236:
	v_mov_b32_e32 v30, 0x78
	v_lshl_add_u32 v33, v0, 3, v30
	s_mov_b64 s[16:17], 0
	v_pk_mov_b32 v[30:31], v[0:1], v[0:1] op_sel:[0,1]
.LBB76_237:                             ; =>This Inner Loop Header: Depth=1
	v_add_co_u32_e32 v30, vcc, 1, v30
	v_addc_co_u32_e32 v31, vcc, 0, v31, vcc
	v_cmp_eq_u32_e32 vcc, 1, v30
	v_cndmask_b32_e32 v36, v3, v5, vcc
	v_cmp_eq_u32_e64 s[12:13], 2, v30
	v_cmp_lt_u32_e64 s[10:11], 5, v30
	v_cndmask_b32_e64 v36, v36, v7, s[12:13]
	v_cndmask_b32_e32 v37, v2, v4, vcc
	v_cmp_eq_u32_e32 vcc, 3, v30
	s_or_b64 s[16:17], s[10:11], s[16:17]
	v_cndmask_b32_e32 v36, v36, v9, vcc
	v_cndmask_b32_e64 v37, v37, v6, s[12:13]
	v_cmp_eq_u32_e64 s[10:11], 4, v30
	v_cndmask_b32_e64 v36, v36, v11, s[10:11]
	v_cndmask_b32_e32 v37, v37, v8, vcc
	v_cmp_eq_u32_e32 vcc, 5, v30
	v_cndmask_b32_e32 v36, v36, v13, vcc
	v_cndmask_b32_e64 v37, v37, v10, s[10:11]
	v_cmp_eq_u32_e64 s[10:11], 6, v30
	v_cndmask_b32_e64 v36, v36, v15, s[10:11]
	v_cndmask_b32_e32 v37, v37, v12, vcc
	v_cmp_eq_u32_e32 vcc, 7, v30
	v_cndmask_b32_e32 v36, v36, v17, vcc
	v_cndmask_b32_e64 v37, v37, v14, s[10:11]
	v_cmp_eq_u32_e64 s[10:11], 8, v30
	s_waitcnt vmcnt(4)
	v_cndmask_b32_e64 v36, v36, v19, s[10:11]
	v_cndmask_b32_e32 v37, v37, v16, vcc
	v_cmp_eq_u32_e32 vcc, 9, v30
	ds_read_b64 v[34:35], v33
	s_waitcnt vmcnt(3)
	v_cndmask_b32_e32 v36, v36, v21, vcc
	v_cndmask_b32_e64 v37, v37, v18, s[10:11]
	v_cmp_eq_u32_e64 s[10:11], 10, v30
	s_waitcnt vmcnt(2)
	v_cndmask_b32_e64 v36, v36, v23, s[10:11]
	v_cndmask_b32_e32 v37, v37, v20, vcc
	v_cmp_eq_u32_e32 vcc, 11, v30
	s_waitcnt vmcnt(1)
	v_cndmask_b32_e32 v36, v36, v25, vcc
	v_cndmask_b32_e64 v38, v37, v22, s[10:11]
	v_cmp_eq_u32_e64 s[10:11], 12, v30
	s_waitcnt vmcnt(0)
	v_cndmask_b32_e64 v37, v36, v27, s[10:11]
	v_cndmask_b32_e32 v36, v38, v24, vcc
	v_cndmask_b32_e64 v36, v36, v26, s[10:11]
	v_add_u32_e32 v33, 8, v33
	s_waitcnt lgkmcnt(0)
	v_fmac_f64_e32 v[28:29], v[36:37], v[34:35]
	s_andn2_b64 exec, exec, s[16:17]
	s_cbranch_execnz .LBB76_237
; %bb.238:
	s_or_b64 exec, exec, s[16:17]
.LBB76_239:
	s_or_b64 exec, exec, s[14:15]
	v_mov_b32_e32 v16, 0
	ds_read_b64 v[16:17], v16 offset:56
	s_waitcnt lgkmcnt(0)
	v_mul_f64 v[16:17], v[28:29], v[16:17]
.LBB76_240:
	s_or_b64 exec, exec, s[34:35]
	v_cmp_gt_u32_e32 vcc, 8, v0
	s_waitcnt vmcnt(4)
	ds_write_b64 v89, v[18:19]
	s_waitcnt lgkmcnt(0)
	; wave barrier
	s_waitcnt lgkmcnt(0)
	s_and_saveexec_b64 s[34:35], vcc
	s_cbranch_execz .LBB76_250
; %bb.241:
	s_and_b64 vcc, exec, s[0:1]
	s_cbranch_vccnz .LBB76_243
; %bb.242:
	v_cmp_eq_u32_e32 vcc, 1, v0
	v_cndmask_b32_e32 v28, v3, v5, vcc
	v_cmp_eq_u32_e64 s[10:11], 2, v0
	v_cndmask_b32_e64 v28, v28, v7, s[10:11]
	v_cmp_eq_u32_e64 s[12:13], 3, v0
	v_cndmask_b32_e64 v28, v28, v9, s[12:13]
	;; [unrolled: 2-line block ×7, first 2 shown]
	v_cmp_eq_u32_e64 s[24:25], 9, v0
	s_waitcnt vmcnt(3)
	v_cndmask_b32_e64 v28, v28, v21, s[24:25]
	v_cmp_eq_u32_e64 s[26:27], 10, v0
	s_waitcnt vmcnt(2)
	v_cndmask_b32_e64 v28, v28, v23, s[26:27]
	;; [unrolled: 3-line block ×4, first 2 shown]
	v_cndmask_b32_e32 v28, v2, v4, vcc
	v_cndmask_b32_e64 v28, v28, v6, s[10:11]
	v_cndmask_b32_e64 v28, v28, v8, s[12:13]
	;; [unrolled: 1-line block ×7, first 2 shown]
	ds_read_b64 v[30:31], v89
	v_cndmask_b32_e64 v28, v28, v20, s[24:25]
	v_cndmask_b32_e64 v28, v28, v22, s[26:27]
	;; [unrolled: 1-line block ×4, first 2 shown]
	s_waitcnt lgkmcnt(0)
	v_mul_f64 v[28:29], v[28:29], v[30:31]
	s_cbranch_execz .LBB76_244
	s_branch .LBB76_245
.LBB76_243:
                                        ; implicit-def: $vgpr28_vgpr29
.LBB76_244:
	ds_read_b64 v[28:29], v89
.LBB76_245:
	v_cmp_ne_u32_e32 vcc, 7, v0
	s_and_saveexec_b64 s[14:15], vcc
	s_cbranch_execz .LBB76_249
; %bb.246:
	v_mov_b32_e32 v30, 0x78
	v_lshl_add_u32 v33, v0, 3, v30
	s_mov_b64 s[16:17], 0
	v_pk_mov_b32 v[30:31], v[0:1], v[0:1] op_sel:[0,1]
.LBB76_247:                             ; =>This Inner Loop Header: Depth=1
	v_add_co_u32_e32 v30, vcc, 1, v30
	v_addc_co_u32_e32 v31, vcc, 0, v31, vcc
	v_cmp_eq_u32_e32 vcc, 1, v30
	v_cndmask_b32_e32 v36, v3, v5, vcc
	v_cmp_eq_u32_e64 s[12:13], 2, v30
	v_cmp_lt_u32_e64 s[10:11], 6, v30
	v_cndmask_b32_e64 v36, v36, v7, s[12:13]
	v_cndmask_b32_e32 v37, v2, v4, vcc
	v_cmp_eq_u32_e32 vcc, 3, v30
	s_or_b64 s[16:17], s[10:11], s[16:17]
	v_cndmask_b32_e32 v36, v36, v9, vcc
	v_cndmask_b32_e64 v37, v37, v6, s[12:13]
	v_cmp_eq_u32_e64 s[10:11], 4, v30
	v_cndmask_b32_e64 v36, v36, v11, s[10:11]
	v_cndmask_b32_e32 v37, v37, v8, vcc
	v_cmp_eq_u32_e32 vcc, 5, v30
	v_cndmask_b32_e32 v36, v36, v13, vcc
	v_cndmask_b32_e64 v37, v37, v10, s[10:11]
	v_cmp_eq_u32_e64 s[10:11], 6, v30
	v_cndmask_b32_e64 v36, v36, v15, s[10:11]
	v_cndmask_b32_e32 v37, v37, v12, vcc
	v_cmp_eq_u32_e32 vcc, 7, v30
	;; [unrolled: 6-line block ×3, first 2 shown]
	ds_read_b64 v[34:35], v33
	s_waitcnt vmcnt(3)
	v_cndmask_b32_e32 v36, v36, v21, vcc
	v_cndmask_b32_e64 v37, v37, v18, s[10:11]
	v_cmp_eq_u32_e64 s[10:11], 10, v30
	s_waitcnt vmcnt(2)
	v_cndmask_b32_e64 v36, v36, v23, s[10:11]
	v_cndmask_b32_e32 v37, v37, v20, vcc
	v_cmp_eq_u32_e32 vcc, 11, v30
	s_waitcnt vmcnt(1)
	v_cndmask_b32_e32 v36, v36, v25, vcc
	v_cndmask_b32_e64 v38, v37, v22, s[10:11]
	v_cmp_eq_u32_e64 s[10:11], 12, v30
	s_waitcnt vmcnt(0)
	v_cndmask_b32_e64 v37, v36, v27, s[10:11]
	v_cndmask_b32_e32 v36, v38, v24, vcc
	v_cndmask_b32_e64 v36, v36, v26, s[10:11]
	v_add_u32_e32 v33, 8, v33
	s_waitcnt lgkmcnt(0)
	v_fmac_f64_e32 v[28:29], v[36:37], v[34:35]
	s_andn2_b64 exec, exec, s[16:17]
	s_cbranch_execnz .LBB76_247
; %bb.248:
	s_or_b64 exec, exec, s[16:17]
.LBB76_249:
	s_or_b64 exec, exec, s[14:15]
	v_mov_b32_e32 v18, 0
	ds_read_b64 v[18:19], v18 offset:64
	s_waitcnt lgkmcnt(0)
	v_mul_f64 v[18:19], v[28:29], v[18:19]
.LBB76_250:
	s_or_b64 exec, exec, s[34:35]
	v_cmp_gt_u32_e32 vcc, 9, v0
	s_waitcnt vmcnt(3)
	ds_write_b64 v89, v[20:21]
	s_waitcnt lgkmcnt(0)
	; wave barrier
	s_waitcnt lgkmcnt(0)
	s_and_saveexec_b64 s[34:35], vcc
	s_cbranch_execz .LBB76_272
; %bb.251:
	s_and_b64 vcc, exec, s[0:1]
	s_cbranch_vccnz .LBB76_253
; %bb.252:
	v_cmp_eq_u32_e32 vcc, 1, v0
	v_cndmask_b32_e32 v28, v3, v5, vcc
	v_cmp_eq_u32_e64 s[10:11], 2, v0
	v_cndmask_b32_e64 v28, v28, v7, s[10:11]
	v_cmp_eq_u32_e64 s[12:13], 3, v0
	v_cndmask_b32_e64 v28, v28, v9, s[12:13]
	;; [unrolled: 2-line block ×8, first 2 shown]
	v_cmp_eq_u32_e64 s[26:27], 10, v0
	s_waitcnt vmcnt(2)
	v_cndmask_b32_e64 v28, v28, v23, s[26:27]
	v_cmp_eq_u32_e64 s[28:29], 11, v0
	s_waitcnt vmcnt(1)
	v_cndmask_b32_e64 v28, v28, v25, s[28:29]
	;; [unrolled: 3-line block ×3, first 2 shown]
	v_cndmask_b32_e32 v28, v2, v4, vcc
	v_cndmask_b32_e64 v28, v28, v6, s[10:11]
	v_cndmask_b32_e64 v28, v28, v8, s[12:13]
	v_cndmask_b32_e64 v28, v28, v10, s[14:15]
	v_cndmask_b32_e64 v28, v28, v12, s[16:17]
	v_cndmask_b32_e64 v28, v28, v14, s[18:19]
	v_cndmask_b32_e64 v28, v28, v16, s[20:21]
	v_cndmask_b32_e64 v28, v28, v18, s[22:23]
	ds_read_b64 v[30:31], v89
	v_cndmask_b32_e64 v28, v28, v20, s[24:25]
	v_cndmask_b32_e64 v28, v28, v22, s[26:27]
	;; [unrolled: 1-line block ×4, first 2 shown]
	s_waitcnt lgkmcnt(0)
	v_mul_f64 v[28:29], v[28:29], v[30:31]
	s_cbranch_execz .LBB76_254
	s_branch .LBB76_255
.LBB76_253:
                                        ; implicit-def: $vgpr28_vgpr29
.LBB76_254:
	ds_read_b64 v[28:29], v89
.LBB76_255:
	v_cmp_ne_u32_e32 vcc, 8, v0
	s_and_saveexec_b64 s[36:37], vcc
	s_cbranch_execz .LBB76_271
; %bb.256:
	v_cmp_eq_u32_e32 vcc, 1, v32
	v_cndmask_b32_e32 v30, v3, v5, vcc
	v_cmp_eq_u32_e64 s[10:11], 2, v32
	v_cndmask_b32_e64 v30, v30, v7, s[10:11]
	v_cmp_eq_u32_e64 s[12:13], 3, v32
	v_cndmask_b32_e64 v30, v30, v9, s[12:13]
	;; [unrolled: 2-line block ×8, first 2 shown]
	v_cmp_eq_u32_e64 s[26:27], 10, v32
	s_waitcnt vmcnt(2)
	v_cndmask_b32_e64 v30, v30, v23, s[26:27]
	v_cmp_eq_u32_e64 s[28:29], 11, v32
	s_waitcnt vmcnt(1)
	v_cndmask_b32_e64 v30, v30, v25, s[28:29]
	;; [unrolled: 3-line block ×3, first 2 shown]
	v_cndmask_b32_e32 v30, v2, v4, vcc
	v_cndmask_b32_e64 v30, v30, v6, s[10:11]
	v_cndmask_b32_e64 v30, v30, v8, s[12:13]
	;; [unrolled: 1-line block ×7, first 2 shown]
	ds_read_b64 v[32:33], v89 offset:8
	v_cndmask_b32_e64 v30, v30, v20, s[24:25]
	v_cndmask_b32_e64 v30, v30, v22, s[26:27]
	;; [unrolled: 1-line block ×4, first 2 shown]
	s_waitcnt lgkmcnt(0)
	v_fmac_f64_e32 v[28:29], v[30:31], v[32:33]
	s_and_saveexec_b64 s[30:31], s[8:9]
	s_cbranch_execz .LBB76_270
; %bb.257:
	v_add_u32_e32 v30, 2, v0
	v_cmp_eq_u32_e32 vcc, 1, v30
	v_cndmask_b32_e32 v31, v3, v5, vcc
	v_cmp_eq_u32_e64 s[8:9], 2, v30
	v_cmp_eq_u32_e64 s[10:11], 3, v30
	;; [unrolled: 1-line block ×11, first 2 shown]
	v_cndmask_b32_e32 v30, v2, v4, vcc
	v_cndmask_b32_e64 v31, v31, v7, s[8:9]
	v_cndmask_b32_e64 v30, v30, v6, s[8:9]
	;; [unrolled: 1-line block ×14, first 2 shown]
	ds_read_b64 v[32:33], v89 offset:16
	v_cndmask_b32_e64 v31, v31, v21, s[22:23]
	v_cndmask_b32_e64 v30, v30, v20, s[22:23]
	v_cndmask_b32_e64 v31, v31, v23, s[24:25]
	v_cndmask_b32_e64 v30, v30, v22, s[24:25]
	v_cndmask_b32_e64 v31, v31, v25, s[26:27]
	v_cndmask_b32_e64 v30, v30, v24, s[26:27]
	v_cndmask_b32_e64 v31, v31, v27, s[28:29]
	v_cndmask_b32_e64 v30, v30, v26, s[28:29]
	s_waitcnt lgkmcnt(0)
	v_fmac_f64_e32 v[28:29], v[30:31], v[32:33]
	v_cmp_ne_u32_e32 vcc, 6, v0
	s_and_saveexec_b64 s[38:39], vcc
	s_cbranch_execz .LBB76_269
; %bb.258:
	v_add_u32_e32 v30, 3, v0
	v_cmp_eq_u32_e32 vcc, 1, v30
	v_cndmask_b32_e32 v31, v3, v5, vcc
	v_cmp_eq_u32_e64 s[8:9], 2, v30
	v_cmp_eq_u32_e64 s[10:11], 3, v30
	;; [unrolled: 1-line block ×11, first 2 shown]
	v_cndmask_b32_e32 v30, v2, v4, vcc
	v_cndmask_b32_e64 v31, v31, v7, s[8:9]
	v_cndmask_b32_e64 v30, v30, v6, s[8:9]
	;; [unrolled: 1-line block ×14, first 2 shown]
	ds_read_b64 v[32:33], v89 offset:24
	v_cndmask_b32_e64 v31, v31, v21, s[22:23]
	v_cndmask_b32_e64 v30, v30, v20, s[22:23]
	;; [unrolled: 1-line block ×8, first 2 shown]
	s_waitcnt lgkmcnt(0)
	v_fmac_f64_e32 v[28:29], v[30:31], v[32:33]
	s_and_saveexec_b64 s[28:29], s[6:7]
	s_cbranch_execz .LBB76_268
; %bb.259:
	v_add_u32_e32 v30, 4, v0
	v_cmp_eq_u32_e32 vcc, 1, v30
	v_cndmask_b32_e32 v31, v3, v5, vcc
	v_cmp_eq_u32_e64 s[6:7], 2, v30
	v_cmp_eq_u32_e64 s[8:9], 3, v30
	;; [unrolled: 1-line block ×11, first 2 shown]
	v_cndmask_b32_e32 v30, v2, v4, vcc
	v_cndmask_b32_e64 v31, v31, v7, s[6:7]
	v_cndmask_b32_e64 v30, v30, v6, s[6:7]
	;; [unrolled: 1-line block ×14, first 2 shown]
	ds_read_b64 v[32:33], v89 offset:32
	v_cndmask_b32_e64 v31, v31, v21, s[20:21]
	v_cndmask_b32_e64 v30, v30, v20, s[20:21]
	;; [unrolled: 1-line block ×8, first 2 shown]
	s_waitcnt lgkmcnt(0)
	v_fmac_f64_e32 v[28:29], v[30:31], v[32:33]
	v_cmp_ne_u32_e32 vcc, 4, v0
	s_and_saveexec_b64 s[40:41], vcc
	s_cbranch_execz .LBB76_267
; %bb.260:
	v_add_u32_e32 v30, 5, v0
	v_cmp_eq_u32_e32 vcc, 1, v30
	v_cndmask_b32_e32 v31, v3, v5, vcc
	v_cmp_eq_u32_e64 s[6:7], 2, v30
	v_cmp_eq_u32_e64 s[8:9], 3, v30
	;; [unrolled: 1-line block ×11, first 2 shown]
	v_cndmask_b32_e32 v30, v2, v4, vcc
	v_cndmask_b32_e64 v31, v31, v7, s[6:7]
	v_cndmask_b32_e64 v30, v30, v6, s[6:7]
	;; [unrolled: 1-line block ×14, first 2 shown]
	ds_read_b64 v[32:33], v89 offset:40
	v_cndmask_b32_e64 v31, v31, v21, s[20:21]
	v_cndmask_b32_e64 v30, v30, v20, s[20:21]
	;; [unrolled: 1-line block ×8, first 2 shown]
	s_waitcnt lgkmcnt(0)
	v_fmac_f64_e32 v[28:29], v[30:31], v[32:33]
	s_and_saveexec_b64 s[26:27], s[4:5]
	s_cbranch_execz .LBB76_266
; %bb.261:
	v_add_u32_e32 v30, 6, v0
	v_cmp_eq_u32_e32 vcc, 1, v30
	v_cndmask_b32_e32 v31, v3, v5, vcc
	v_cmp_eq_u32_e64 s[4:5], 2, v30
	v_cmp_eq_u32_e64 s[6:7], 3, v30
	v_cmp_eq_u32_e64 s[8:9], 4, v30
	v_cmp_eq_u32_e64 s[10:11], 5, v30
	v_cmp_eq_u32_e64 s[12:13], 6, v30
	v_cmp_eq_u32_e64 s[14:15], 7, v30
	v_cmp_eq_u32_e64 s[16:17], 8, v30
	v_cmp_eq_u32_e64 s[18:19], 9, v30
	v_cmp_eq_u32_e64 s[20:21], 10, v30
	v_cmp_eq_u32_e64 s[22:23], 11, v30
	v_cmp_eq_u32_e64 s[24:25], 12, v30
	v_cndmask_b32_e32 v30, v2, v4, vcc
	v_cndmask_b32_e64 v31, v31, v7, s[4:5]
	v_cndmask_b32_e64 v30, v30, v6, s[4:5]
	;; [unrolled: 1-line block ×14, first 2 shown]
	ds_read_b64 v[32:33], v89 offset:48
	v_cndmask_b32_e64 v31, v31, v21, s[18:19]
	v_cndmask_b32_e64 v30, v30, v20, s[18:19]
	;; [unrolled: 1-line block ×8, first 2 shown]
	s_waitcnt lgkmcnt(0)
	v_fmac_f64_e32 v[28:29], v[30:31], v[32:33]
	v_cmp_ne_u32_e32 vcc, 2, v0
	s_and_saveexec_b64 s[42:43], vcc
	s_cbranch_execz .LBB76_265
; %bb.262:
	v_add_u32_e32 v30, 7, v0
	v_cmp_eq_u32_e32 vcc, 1, v30
	v_cndmask_b32_e32 v31, v3, v5, vcc
	v_cmp_eq_u32_e64 s[4:5], 2, v30
	v_cndmask_b32_e64 v31, v31, v7, s[4:5]
	v_cmp_eq_u32_e64 s[6:7], 3, v30
	v_cmp_eq_u32_e64 s[8:9], 4, v30
	;; [unrolled: 1-line block ×10, first 2 shown]
	v_cndmask_b32_e32 v30, v2, v4, vcc
	v_cndmask_b32_e64 v31, v31, v9, s[6:7]
	v_cndmask_b32_e64 v30, v30, v6, s[4:5]
	v_cndmask_b32_e64 v31, v31, v11, s[8:9]
	v_cndmask_b32_e64 v30, v30, v8, s[6:7]
	v_cndmask_b32_e64 v31, v31, v13, s[10:11]
	v_cndmask_b32_e64 v30, v30, v10, s[8:9]
	v_cndmask_b32_e64 v31, v31, v15, s[12:13]
	v_cndmask_b32_e64 v30, v30, v12, s[10:11]
	v_cndmask_b32_e64 v31, v31, v17, s[14:15]
	v_cndmask_b32_e64 v30, v30, v14, s[12:13]
	v_cndmask_b32_e64 v31, v31, v19, s[16:17]
	v_cndmask_b32_e64 v30, v30, v16, s[14:15]
	v_cndmask_b32_e64 v21, v31, v21, s[18:19]
	v_cndmask_b32_e64 v32, v30, v18, s[16:17]
	ds_read_b64 v[30:31], v89 offset:56
	v_cndmask_b32_e64 v20, v32, v20, s[18:19]
	v_cndmask_b32_e64 v21, v21, v23, s[20:21]
	;; [unrolled: 1-line block ×7, first 2 shown]
	s_waitcnt lgkmcnt(0)
	v_fmac_f64_e32 v[28:29], v[20:21], v[30:31]
	s_and_saveexec_b64 s[4:5], s[2:3]
	s_cbranch_execz .LBB76_264
; %bb.263:
	ds_read_b64 v[20:21], v89 offset:64
	s_waitcnt lgkmcnt(0)
	v_fmac_f64_e32 v[28:29], v[18:19], v[20:21]
.LBB76_264:
	s_or_b64 exec, exec, s[4:5]
.LBB76_265:
	s_or_b64 exec, exec, s[42:43]
.LBB76_266:
	s_or_b64 exec, exec, s[26:27]
.LBB76_267:
	s_or_b64 exec, exec, s[40:41]
.LBB76_268:
	s_or_b64 exec, exec, s[28:29]
.LBB76_269:
	s_or_b64 exec, exec, s[38:39]
.LBB76_270:
	s_or_b64 exec, exec, s[30:31]
.LBB76_271:
	s_or_b64 exec, exec, s[36:37]
	v_mov_b32_e32 v20, 0
	ds_read_b64 v[20:21], v20 offset:72
	s_waitcnt lgkmcnt(0)
	v_mul_f64 v[20:21], v[28:29], v[20:21]
.LBB76_272:
	s_or_b64 exec, exec, s[34:35]
	v_cmp_gt_u32_e32 vcc, 10, v0
	s_waitcnt vmcnt(2)
	ds_write_b64 v89, v[22:23]
	s_waitcnt lgkmcnt(0)
	; wave barrier
	s_waitcnt lgkmcnt(0)
	s_and_saveexec_b64 s[24:25], vcc
	s_cbranch_execz .LBB76_282
; %bb.273:
	s_and_b64 vcc, exec, s[0:1]
	s_cbranch_vccnz .LBB76_275
; %bb.274:
	v_cmp_eq_u32_e32 vcc, 1, v0
	v_cndmask_b32_e32 v28, v3, v5, vcc
	v_cmp_eq_u32_e64 s[2:3], 2, v0
	v_cndmask_b32_e64 v28, v28, v7, s[2:3]
	v_cmp_eq_u32_e64 s[4:5], 3, v0
	v_cndmask_b32_e64 v28, v28, v9, s[4:5]
	;; [unrolled: 2-line block ×9, first 2 shown]
	v_cmp_eq_u32_e64 s[20:21], 11, v0
	s_waitcnt vmcnt(1)
	v_cndmask_b32_e64 v28, v28, v25, s[20:21]
	v_cmp_eq_u32_e64 s[22:23], 12, v0
	s_waitcnt vmcnt(0)
	v_cndmask_b32_e64 v29, v28, v27, s[22:23]
	v_cndmask_b32_e32 v28, v2, v4, vcc
	v_cndmask_b32_e64 v28, v28, v6, s[2:3]
	v_cndmask_b32_e64 v28, v28, v8, s[4:5]
	;; [unrolled: 1-line block ×7, first 2 shown]
	ds_read_b64 v[30:31], v89
	v_cndmask_b32_e64 v28, v28, v20, s[16:17]
	v_cndmask_b32_e64 v28, v28, v22, s[18:19]
	v_cndmask_b32_e64 v28, v28, v24, s[20:21]
	v_cndmask_b32_e64 v28, v28, v26, s[22:23]
	s_waitcnt lgkmcnt(0)
	v_mul_f64 v[28:29], v[28:29], v[30:31]
	s_cbranch_execz .LBB76_276
	s_branch .LBB76_277
.LBB76_275:
                                        ; implicit-def: $vgpr28_vgpr29
.LBB76_276:
	ds_read_b64 v[28:29], v89
.LBB76_277:
	v_cmp_ne_u32_e32 vcc, 9, v0
	s_and_saveexec_b64 s[6:7], vcc
	s_cbranch_execz .LBB76_281
; %bb.278:
	v_mov_b32_e32 v30, 0x78
	v_lshl_add_u32 v32, v0, 3, v30
	s_mov_b64 s[8:9], 0
	v_pk_mov_b32 v[30:31], v[0:1], v[0:1] op_sel:[0,1]
.LBB76_279:                             ; =>This Inner Loop Header: Depth=1
	v_add_co_u32_e32 v30, vcc, 1, v30
	v_addc_co_u32_e32 v31, vcc, 0, v31, vcc
	v_cmp_eq_u32_e32 vcc, 1, v30
	v_cndmask_b32_e32 v33, v3, v5, vcc
	v_cmp_eq_u32_e64 s[4:5], 2, v30
	v_cmp_lt_u32_e64 s[2:3], 8, v30
	v_cndmask_b32_e64 v33, v33, v7, s[4:5]
	v_cndmask_b32_e32 v36, v2, v4, vcc
	v_cmp_eq_u32_e32 vcc, 3, v30
	s_or_b64 s[8:9], s[2:3], s[8:9]
	v_cndmask_b32_e32 v33, v33, v9, vcc
	v_cndmask_b32_e64 v36, v36, v6, s[4:5]
	v_cmp_eq_u32_e64 s[2:3], 4, v30
	v_cndmask_b32_e64 v33, v33, v11, s[2:3]
	v_cndmask_b32_e32 v36, v36, v8, vcc
	v_cmp_eq_u32_e32 vcc, 5, v30
	v_cndmask_b32_e32 v33, v33, v13, vcc
	v_cndmask_b32_e64 v36, v36, v10, s[2:3]
	v_cmp_eq_u32_e64 s[2:3], 6, v30
	v_cndmask_b32_e64 v33, v33, v15, s[2:3]
	v_cndmask_b32_e32 v36, v36, v12, vcc
	v_cmp_eq_u32_e32 vcc, 7, v30
	;; [unrolled: 6-line block ×3, first 2 shown]
	ds_read_b64 v[34:35], v32
	v_cndmask_b32_e32 v33, v33, v21, vcc
	v_cndmask_b32_e64 v36, v36, v18, s[2:3]
	v_cmp_eq_u32_e64 s[2:3], 10, v30
	v_cndmask_b32_e64 v33, v33, v23, s[2:3]
	v_cndmask_b32_e32 v36, v36, v20, vcc
	v_cmp_eq_u32_e32 vcc, 11, v30
	s_waitcnt vmcnt(1)
	v_cndmask_b32_e32 v33, v33, v25, vcc
	v_cndmask_b32_e64 v36, v36, v22, s[2:3]
	v_cmp_eq_u32_e64 s[2:3], 12, v30
	s_waitcnt vmcnt(0)
	v_cndmask_b32_e64 v37, v33, v27, s[2:3]
	v_cndmask_b32_e32 v33, v36, v24, vcc
	v_cndmask_b32_e64 v36, v33, v26, s[2:3]
	v_add_u32_e32 v32, 8, v32
	s_waitcnt lgkmcnt(0)
	v_fmac_f64_e32 v[28:29], v[36:37], v[34:35]
	s_andn2_b64 exec, exec, s[8:9]
	s_cbranch_execnz .LBB76_279
; %bb.280:
	s_or_b64 exec, exec, s[8:9]
.LBB76_281:
	s_or_b64 exec, exec, s[6:7]
	v_mov_b32_e32 v22, 0
	ds_read_b64 v[22:23], v22 offset:80
	s_waitcnt lgkmcnt(0)
	v_mul_f64 v[22:23], v[28:29], v[22:23]
.LBB76_282:
	s_or_b64 exec, exec, s[24:25]
	v_cmp_gt_u32_e64 s[2:3], 11, v0
	s_waitcnt vmcnt(1)
	ds_write_b64 v89, v[24:25]
	s_waitcnt lgkmcnt(0)
	; wave barrier
	s_waitcnt lgkmcnt(0)
	s_and_saveexec_b64 s[26:27], s[2:3]
	s_cbranch_execz .LBB76_292
; %bb.283:
	s_and_b64 vcc, exec, s[0:1]
	s_cbranch_vccnz .LBB76_285
; %bb.284:
	v_cmp_eq_u32_e32 vcc, 1, v0
	v_cndmask_b32_e32 v28, v3, v5, vcc
	v_cmp_eq_u32_e64 s[4:5], 2, v0
	v_cndmask_b32_e64 v28, v28, v7, s[4:5]
	v_cmp_eq_u32_e64 s[6:7], 3, v0
	v_cndmask_b32_e64 v28, v28, v9, s[6:7]
	;; [unrolled: 2-line block ×10, first 2 shown]
	v_cmp_eq_u32_e64 s[24:25], 12, v0
	s_waitcnt vmcnt(0)
	v_cndmask_b32_e64 v29, v28, v27, s[24:25]
	v_cndmask_b32_e32 v28, v2, v4, vcc
	v_cndmask_b32_e64 v28, v28, v6, s[4:5]
	v_cndmask_b32_e64 v28, v28, v8, s[6:7]
	;; [unrolled: 1-line block ×7, first 2 shown]
	ds_read_b64 v[30:31], v89
	v_cndmask_b32_e64 v28, v28, v20, s[18:19]
	v_cndmask_b32_e64 v28, v28, v22, s[20:21]
	v_cndmask_b32_e64 v28, v28, v24, s[22:23]
	v_cndmask_b32_e64 v28, v28, v26, s[24:25]
	s_waitcnt lgkmcnt(0)
	v_mul_f64 v[28:29], v[28:29], v[30:31]
	s_cbranch_execz .LBB76_286
	s_branch .LBB76_287
.LBB76_285:
                                        ; implicit-def: $vgpr28_vgpr29
.LBB76_286:
	ds_read_b64 v[28:29], v89
.LBB76_287:
	v_cmp_ne_u32_e32 vcc, 10, v0
	s_and_saveexec_b64 s[8:9], vcc
	s_cbranch_execz .LBB76_291
; %bb.288:
	v_mov_b32_e32 v30, 0x78
	v_lshl_add_u32 v32, v0, 3, v30
	s_mov_b64 s[10:11], 0
	v_pk_mov_b32 v[30:31], v[0:1], v[0:1] op_sel:[0,1]
.LBB76_289:                             ; =>This Inner Loop Header: Depth=1
	v_add_co_u32_e32 v30, vcc, 1, v30
	v_addc_co_u32_e32 v31, vcc, 0, v31, vcc
	v_cmp_eq_u32_e32 vcc, 1, v30
	v_cndmask_b32_e32 v33, v3, v5, vcc
	v_cmp_eq_u32_e64 s[6:7], 2, v30
	v_cmp_lt_u32_e64 s[4:5], 9, v30
	v_cndmask_b32_e64 v33, v33, v7, s[6:7]
	v_cndmask_b32_e32 v36, v2, v4, vcc
	v_cmp_eq_u32_e32 vcc, 3, v30
	s_or_b64 s[10:11], s[4:5], s[10:11]
	v_cndmask_b32_e32 v33, v33, v9, vcc
	v_cndmask_b32_e64 v36, v36, v6, s[6:7]
	v_cmp_eq_u32_e64 s[4:5], 4, v30
	v_cndmask_b32_e64 v33, v33, v11, s[4:5]
	v_cndmask_b32_e32 v36, v36, v8, vcc
	v_cmp_eq_u32_e32 vcc, 5, v30
	v_cndmask_b32_e32 v33, v33, v13, vcc
	v_cndmask_b32_e64 v36, v36, v10, s[4:5]
	v_cmp_eq_u32_e64 s[4:5], 6, v30
	v_cndmask_b32_e64 v33, v33, v15, s[4:5]
	v_cndmask_b32_e32 v36, v36, v12, vcc
	v_cmp_eq_u32_e32 vcc, 7, v30
	;; [unrolled: 6-line block ×3, first 2 shown]
	ds_read_b64 v[34:35], v32
	v_cndmask_b32_e32 v33, v33, v21, vcc
	v_cndmask_b32_e64 v36, v36, v18, s[4:5]
	v_cmp_eq_u32_e64 s[4:5], 10, v30
	v_cndmask_b32_e64 v33, v33, v23, s[4:5]
	v_cndmask_b32_e32 v36, v36, v20, vcc
	v_cmp_eq_u32_e32 vcc, 11, v30
	v_cndmask_b32_e32 v33, v33, v25, vcc
	v_cndmask_b32_e64 v36, v36, v22, s[4:5]
	v_cmp_eq_u32_e64 s[4:5], 12, v30
	s_waitcnt vmcnt(0)
	v_cndmask_b32_e64 v37, v33, v27, s[4:5]
	v_cndmask_b32_e32 v33, v36, v24, vcc
	v_cndmask_b32_e64 v36, v33, v26, s[4:5]
	v_add_u32_e32 v32, 8, v32
	s_waitcnt lgkmcnt(0)
	v_fmac_f64_e32 v[28:29], v[36:37], v[34:35]
	s_andn2_b64 exec, exec, s[10:11]
	s_cbranch_execnz .LBB76_289
; %bb.290:
	s_or_b64 exec, exec, s[10:11]
.LBB76_291:
	s_or_b64 exec, exec, s[8:9]
	v_mov_b32_e32 v24, 0
	ds_read_b64 v[24:25], v24 offset:88
	s_waitcnt lgkmcnt(0)
	v_mul_f64 v[24:25], v[28:29], v[24:25]
.LBB76_292:
	s_or_b64 exec, exec, s[26:27]
	v_cmp_ne_u32_e32 vcc, 12, v0
	s_waitcnt vmcnt(0)
	ds_write_b64 v89, v[26:27]
	s_waitcnt lgkmcnt(0)
	; wave barrier
	s_waitcnt lgkmcnt(0)
	s_and_saveexec_b64 s[24:25], vcc
	s_cbranch_execz .LBB76_302
; %bb.293:
	s_and_b64 vcc, exec, s[0:1]
	s_cbranch_vccnz .LBB76_295
; %bb.294:
	v_cmp_eq_u32_e32 vcc, 1, v0
	v_cndmask_b32_e32 v28, v3, v5, vcc
	v_cmp_eq_u32_e64 s[0:1], 2, v0
	v_cndmask_b32_e64 v28, v28, v7, s[0:1]
	v_cmp_eq_u32_e64 s[4:5], 3, v0
	v_cndmask_b32_e64 v28, v28, v9, s[4:5]
	v_cmp_eq_u32_e64 s[6:7], 4, v0
	v_cndmask_b32_e64 v28, v28, v11, s[6:7]
	v_cmp_eq_u32_e64 s[8:9], 5, v0
	v_cndmask_b32_e64 v28, v28, v13, s[8:9]
	v_cmp_eq_u32_e64 s[10:11], 6, v0
	v_cndmask_b32_e64 v28, v28, v15, s[10:11]
	v_cmp_eq_u32_e64 s[12:13], 7, v0
	v_cndmask_b32_e64 v28, v28, v17, s[12:13]
	v_cmp_eq_u32_e64 s[14:15], 8, v0
	v_cndmask_b32_e64 v28, v28, v19, s[14:15]
	v_cmp_eq_u32_e64 s[16:17], 9, v0
	v_cndmask_b32_e64 v28, v28, v21, s[16:17]
	v_cmp_eq_u32_e64 s[18:19], 10, v0
	v_cndmask_b32_e64 v28, v28, v23, s[18:19]
	v_cmp_eq_u32_e64 s[20:21], 11, v0
	v_cndmask_b32_e64 v28, v28, v25, s[20:21]
	v_cmp_eq_u32_e64 s[22:23], 12, v0
	v_cndmask_b32_e64 v29, v28, v27, s[22:23]
	v_cndmask_b32_e32 v28, v2, v4, vcc
	v_cndmask_b32_e64 v28, v28, v6, s[0:1]
	v_cndmask_b32_e64 v28, v28, v8, s[4:5]
	v_cndmask_b32_e64 v28, v28, v10, s[6:7]
	v_cndmask_b32_e64 v28, v28, v12, s[8:9]
	v_cndmask_b32_e64 v28, v28, v14, s[10:11]
	v_cndmask_b32_e64 v28, v28, v16, s[12:13]
	v_cndmask_b32_e64 v28, v28, v18, s[14:15]
	ds_read_b64 v[30:31], v89
	v_cndmask_b32_e64 v28, v28, v20, s[16:17]
	v_cndmask_b32_e64 v28, v28, v22, s[18:19]
	;; [unrolled: 1-line block ×4, first 2 shown]
	s_waitcnt lgkmcnt(0)
	v_mul_f64 v[28:29], v[28:29], v[30:31]
	s_cbranch_execz .LBB76_296
	s_branch .LBB76_297
.LBB76_295:
                                        ; implicit-def: $vgpr28_vgpr29
.LBB76_296:
	ds_read_b64 v[28:29], v89
.LBB76_297:
	s_and_saveexec_b64 s[4:5], s[2:3]
	s_cbranch_execz .LBB76_301
; %bb.298:
	v_mov_b32_e32 v30, 0x78
	v_lshl_add_u32 v30, v0, 3, v30
	s_mov_b64 s[6:7], 0
.LBB76_299:                             ; =>This Inner Loop Header: Depth=1
	v_add_co_u32_e32 v0, vcc, 1, v0
	v_addc_co_u32_e32 v1, vcc, 0, v1, vcc
	v_cmp_eq_u32_e32 vcc, 1, v0
	v_cndmask_b32_e32 v31, v3, v5, vcc
	v_cmp_eq_u32_e64 s[2:3], 2, v0
	v_cmp_lt_u32_e64 s[0:1], 10, v0
	v_cndmask_b32_e64 v31, v31, v7, s[2:3]
	v_cndmask_b32_e32 v34, v2, v4, vcc
	v_cmp_eq_u32_e32 vcc, 3, v0
	s_or_b64 s[6:7], s[0:1], s[6:7]
	v_cndmask_b32_e32 v31, v31, v9, vcc
	v_cndmask_b32_e64 v34, v34, v6, s[2:3]
	v_cmp_eq_u32_e64 s[0:1], 4, v0
	v_cndmask_b32_e64 v31, v31, v11, s[0:1]
	v_cndmask_b32_e32 v34, v34, v8, vcc
	v_cmp_eq_u32_e32 vcc, 5, v0
	v_cndmask_b32_e32 v31, v31, v13, vcc
	v_cndmask_b32_e64 v34, v34, v10, s[0:1]
	v_cmp_eq_u32_e64 s[0:1], 6, v0
	v_cndmask_b32_e64 v31, v31, v15, s[0:1]
	v_cndmask_b32_e32 v34, v34, v12, vcc
	v_cmp_eq_u32_e32 vcc, 7, v0
	;; [unrolled: 6-line block ×3, first 2 shown]
	ds_read_b64 v[32:33], v30
	v_cndmask_b32_e32 v31, v31, v21, vcc
	v_cndmask_b32_e64 v34, v34, v18, s[0:1]
	v_cmp_eq_u32_e64 s[0:1], 10, v0
	v_cndmask_b32_e64 v31, v31, v23, s[0:1]
	v_cndmask_b32_e32 v34, v34, v20, vcc
	v_cmp_eq_u32_e32 vcc, 11, v0
	v_cndmask_b32_e32 v31, v31, v25, vcc
	v_cndmask_b32_e64 v34, v34, v22, s[0:1]
	v_cmp_eq_u32_e64 s[0:1], 12, v0
	v_cndmask_b32_e64 v35, v31, v27, s[0:1]
	v_cndmask_b32_e32 v31, v34, v24, vcc
	v_cndmask_b32_e64 v34, v31, v26, s[0:1]
	v_add_u32_e32 v30, 8, v30
	s_waitcnt lgkmcnt(0)
	v_fmac_f64_e32 v[28:29], v[34:35], v[32:33]
	s_andn2_b64 exec, exec, s[6:7]
	s_cbranch_execnz .LBB76_299
; %bb.300:
	s_or_b64 exec, exec, s[6:7]
.LBB76_301:
	s_or_b64 exec, exec, s[4:5]
	v_mov_b32_e32 v0, 0
	ds_read_b64 v[0:1], v0 offset:96
	s_waitcnt lgkmcnt(0)
	v_mul_f64 v[26:27], v[28:29], v[0:1]
.LBB76_302:
	s_or_b64 exec, exec, s[24:25]
	v_pk_mov_b32 v[58:59], v[32:33], v[32:33] op_sel:[0,1]
	v_pk_mov_b32 v[56:57], v[30:31], v[30:31] op_sel:[0,1]
	v_pk_mov_b32 v[54:55], v[28:29], v[28:29] op_sel:[0,1]
	v_pk_mov_b32 v[52:53], v[26:27], v[26:27] op_sel:[0,1]
	v_pk_mov_b32 v[50:51], v[24:25], v[24:25] op_sel:[0,1]
	v_pk_mov_b32 v[48:49], v[22:23], v[22:23] op_sel:[0,1]
	v_pk_mov_b32 v[46:47], v[20:21], v[20:21] op_sel:[0,1]
	v_pk_mov_b32 v[44:45], v[18:19], v[18:19] op_sel:[0,1]
	v_pk_mov_b32 v[42:43], v[16:17], v[16:17] op_sel:[0,1]
	v_pk_mov_b32 v[40:41], v[14:15], v[14:15] op_sel:[0,1]
	v_pk_mov_b32 v[38:39], v[12:13], v[12:13] op_sel:[0,1]
	v_pk_mov_b32 v[36:37], v[10:11], v[10:11] op_sel:[0,1]
	v_pk_mov_b32 v[34:35], v[8:9], v[8:9] op_sel:[0,1]
	v_pk_mov_b32 v[32:33], v[6:7], v[6:7] op_sel:[0,1]
	v_pk_mov_b32 v[30:31], v[4:5], v[4:5] op_sel:[0,1]
	v_pk_mov_b32 v[28:29], v[2:3], v[2:3] op_sel:[0,1]
.LBB76_303:
	global_store_dwordx2 v[60:61], v[28:29], off
	global_store_dwordx2 v[62:63], v[30:31], off
	;; [unrolled: 1-line block ×13, first 2 shown]
.LBB76_304:
	s_endpgm
	.section	.rodata,"a",@progbits
	.p2align	6, 0x0
	.amdhsa_kernel _ZN9rocsolver6v33100L18trti2_kernel_smallILi13EdPKPdEEv13rocblas_fill_17rocblas_diagonal_T1_iil
		.amdhsa_group_segment_fixed_size 216
		.amdhsa_private_segment_fixed_size 0
		.amdhsa_kernarg_size 32
		.amdhsa_user_sgpr_count 6
		.amdhsa_user_sgpr_private_segment_buffer 1
		.amdhsa_user_sgpr_dispatch_ptr 0
		.amdhsa_user_sgpr_queue_ptr 0
		.amdhsa_user_sgpr_kernarg_segment_ptr 1
		.amdhsa_user_sgpr_dispatch_id 0
		.amdhsa_user_sgpr_flat_scratch_init 0
		.amdhsa_user_sgpr_kernarg_preload_length 0
		.amdhsa_user_sgpr_kernarg_preload_offset 0
		.amdhsa_user_sgpr_private_segment_size 0
		.amdhsa_uses_dynamic_stack 0
		.amdhsa_system_sgpr_private_segment_wavefront_offset 0
		.amdhsa_system_sgpr_workgroup_id_x 1
		.amdhsa_system_sgpr_workgroup_id_y 0
		.amdhsa_system_sgpr_workgroup_id_z 0
		.amdhsa_system_sgpr_workgroup_info 0
		.amdhsa_system_vgpr_workitem_id 0
		.amdhsa_next_free_vgpr 114
		.amdhsa_next_free_sgpr 44
		.amdhsa_accum_offset 116
		.amdhsa_reserve_vcc 1
		.amdhsa_reserve_flat_scratch 0
		.amdhsa_float_round_mode_32 0
		.amdhsa_float_round_mode_16_64 0
		.amdhsa_float_denorm_mode_32 3
		.amdhsa_float_denorm_mode_16_64 3
		.amdhsa_dx10_clamp 1
		.amdhsa_ieee_mode 1
		.amdhsa_fp16_overflow 0
		.amdhsa_tg_split 0
		.amdhsa_exception_fp_ieee_invalid_op 0
		.amdhsa_exception_fp_denorm_src 0
		.amdhsa_exception_fp_ieee_div_zero 0
		.amdhsa_exception_fp_ieee_overflow 0
		.amdhsa_exception_fp_ieee_underflow 0
		.amdhsa_exception_fp_ieee_inexact 0
		.amdhsa_exception_int_div_zero 0
	.end_amdhsa_kernel
	.section	.text._ZN9rocsolver6v33100L18trti2_kernel_smallILi13EdPKPdEEv13rocblas_fill_17rocblas_diagonal_T1_iil,"axG",@progbits,_ZN9rocsolver6v33100L18trti2_kernel_smallILi13EdPKPdEEv13rocblas_fill_17rocblas_diagonal_T1_iil,comdat
.Lfunc_end76:
	.size	_ZN9rocsolver6v33100L18trti2_kernel_smallILi13EdPKPdEEv13rocblas_fill_17rocblas_diagonal_T1_iil, .Lfunc_end76-_ZN9rocsolver6v33100L18trti2_kernel_smallILi13EdPKPdEEv13rocblas_fill_17rocblas_diagonal_T1_iil
                                        ; -- End function
	.section	.AMDGPU.csdata,"",@progbits
; Kernel info:
; codeLenInByte = 24292
; NumSgprs: 48
; NumVgprs: 114
; NumAgprs: 0
; TotalNumVgprs: 114
; ScratchSize: 0
; MemoryBound: 0
; FloatMode: 240
; IeeeMode: 1
; LDSByteSize: 216 bytes/workgroup (compile time only)
; SGPRBlocks: 5
; VGPRBlocks: 14
; NumSGPRsForWavesPerEU: 48
; NumVGPRsForWavesPerEU: 114
; AccumOffset: 116
; Occupancy: 4
; WaveLimiterHint : 1
; COMPUTE_PGM_RSRC2:SCRATCH_EN: 0
; COMPUTE_PGM_RSRC2:USER_SGPR: 6
; COMPUTE_PGM_RSRC2:TRAP_HANDLER: 0
; COMPUTE_PGM_RSRC2:TGID_X_EN: 1
; COMPUTE_PGM_RSRC2:TGID_Y_EN: 0
; COMPUTE_PGM_RSRC2:TGID_Z_EN: 0
; COMPUTE_PGM_RSRC2:TIDIG_COMP_CNT: 0
; COMPUTE_PGM_RSRC3_GFX90A:ACCUM_OFFSET: 28
; COMPUTE_PGM_RSRC3_GFX90A:TG_SPLIT: 0
	.section	.text._ZN9rocsolver6v33100L18trti2_kernel_smallILi14EdPKPdEEv13rocblas_fill_17rocblas_diagonal_T1_iil,"axG",@progbits,_ZN9rocsolver6v33100L18trti2_kernel_smallILi14EdPKPdEEv13rocblas_fill_17rocblas_diagonal_T1_iil,comdat
	.globl	_ZN9rocsolver6v33100L18trti2_kernel_smallILi14EdPKPdEEv13rocblas_fill_17rocblas_diagonal_T1_iil ; -- Begin function _ZN9rocsolver6v33100L18trti2_kernel_smallILi14EdPKPdEEv13rocblas_fill_17rocblas_diagonal_T1_iil
	.p2align	8
	.type	_ZN9rocsolver6v33100L18trti2_kernel_smallILi14EdPKPdEEv13rocblas_fill_17rocblas_diagonal_T1_iil,@function
_ZN9rocsolver6v33100L18trti2_kernel_smallILi14EdPKPdEEv13rocblas_fill_17rocblas_diagonal_T1_iil: ; @_ZN9rocsolver6v33100L18trti2_kernel_smallILi14EdPKPdEEv13rocblas_fill_17rocblas_diagonal_T1_iil
; %bb.0:
	v_cmp_gt_u32_e32 vcc, 14, v0
	s_and_saveexec_b64 s[0:1], vcc
	s_cbranch_execz .LBB77_330
; %bb.1:
	s_load_dwordx2 s[0:1], s[4:5], 0x10
	s_load_dwordx4 s[28:31], s[4:5], 0x0
	s_ashr_i32 s7, s6, 31
	s_lshl_b64 s[2:3], s[6:7], 3
	v_lshlrev_b32_e32 v32, 3, v0
	s_waitcnt lgkmcnt(0)
	s_ashr_i32 s5, s0, 31
	s_add_u32 s2, s30, s2
	s_addc_u32 s3, s31, s3
	s_load_dwordx2 s[2:3], s[2:3], 0x0
	s_mov_b32 s4, s0
	s_lshl_b64 s[4:5], s[4:5], 3
	v_mov_b32_e32 v30, 0
	v_mov_b32_e32 v31, 0xbff00000
	s_waitcnt lgkmcnt(0)
	s_add_u32 s2, s2, s4
	s_addc_u32 s3, s3, s5
	v_mov_b32_e32 v1, s3
	v_add_co_u32_e32 v62, vcc, s2, v32
	s_ashr_i32 s5, s1, 31
	s_mov_b32 s4, s1
	s_add_i32 s0, s1, s1
	v_addc_co_u32_e32 v63, vcc, 0, v1, vcc
	s_lshl_b64 s[4:5], s[4:5], 3
	v_add_u32_e32 v2, s0, v0
	v_mov_b32_e32 v1, s5
	v_add_co_u32_e32 v64, vcc, s4, v62
	v_ashrrev_i32_e32 v3, 31, v2
	v_addc_co_u32_e32 v65, vcc, v63, v1, vcc
	v_lshlrev_b64 v[4:5], 3, v[2:3]
	v_add_u32_e32 v2, s1, v2
	v_mov_b32_e32 v1, s3
	v_add_co_u32_e32 v66, vcc, s2, v4
	v_ashrrev_i32_e32 v3, 31, v2
	v_addc_co_u32_e32 v67, vcc, v1, v5, vcc
	v_lshlrev_b64 v[4:5], 3, v[2:3]
	v_add_u32_e32 v2, s1, v2
	v_add_co_u32_e32 v68, vcc, s2, v4
	v_ashrrev_i32_e32 v3, 31, v2
	v_addc_co_u32_e32 v69, vcc, v1, v5, vcc
	v_lshlrev_b64 v[4:5], 3, v[2:3]
	v_add_u32_e32 v2, s1, v2
	;; [unrolled: 5-line block ×10, first 2 shown]
	v_add_co_u32_e32 v86, vcc, s2, v4
	v_ashrrev_i32_e32 v3, 31, v2
	v_addc_co_u32_e32 v87, vcc, v1, v5, vcc
	v_lshlrev_b64 v[2:3], 3, v[2:3]
	v_add_co_u32_e32 v88, vcc, s2, v2
	v_addc_co_u32_e32 v89, vcc, v1, v3, vcc
	global_load_dwordx2 v[4:5], v[64:65], off
	global_load_dwordx2 v[6:7], v[66:67], off
	;; [unrolled: 1-line block ×12, first 2 shown]
	global_load_dwordx2 v[2:3], v32, s[2:3]
	global_load_dwordx2 v[28:29], v[88:89], off
	s_cmpk_lg_i32 s29, 0x84
	v_mov_b32_e32 v1, 0
	s_cselect_b64 s[30:31], -1, 0
	s_cmpk_eq_i32 s29, 0x84
	v_cmp_eq_u32_e64 s[0:1], 0, v0
	s_cbranch_scc1 .LBB77_3
; %bb.2:
	v_cmp_eq_u32_e64 s[2:3], 1, v0
	s_waitcnt vmcnt(1)
	v_cndmask_b32_e64 v30, v3, v5, s[2:3]
	v_cmp_eq_u32_e64 s[4:5], 2, v0
	v_cndmask_b32_e64 v30, v30, v7, s[4:5]
	v_cmp_eq_u32_e64 s[6:7], 3, v0
	v_cndmask_b32_e64 v30, v30, v9, s[6:7]
	v_cmp_eq_u32_e64 s[8:9], 4, v0
	v_cndmask_b32_e64 v30, v30, v11, s[8:9]
	v_cmp_eq_u32_e64 s[10:11], 5, v0
	v_cndmask_b32_e64 v30, v30, v13, s[10:11]
	v_cmp_eq_u32_e64 s[12:13], 6, v0
	v_cndmask_b32_e64 v30, v30, v15, s[12:13]
	v_cmp_eq_u32_e64 s[14:15], 7, v0
	v_cndmask_b32_e64 v30, v30, v17, s[14:15]
	v_cmp_eq_u32_e64 s[16:17], 8, v0
	v_cndmask_b32_e64 v30, v30, v19, s[16:17]
	v_cmp_eq_u32_e64 s[18:19], 9, v0
	v_cndmask_b32_e64 v30, v30, v21, s[18:19]
	v_cmp_eq_u32_e64 s[20:21], 10, v0
	v_cndmask_b32_e64 v30, v30, v23, s[20:21]
	v_cmp_eq_u32_e64 s[22:23], 11, v0
	v_cndmask_b32_e64 v30, v30, v25, s[22:23]
	v_cmp_eq_u32_e64 s[24:25], 12, v0
	v_cndmask_b32_e64 v30, v30, v27, s[24:25]
	v_cmp_eq_u32_e64 s[26:27], 13, v0
	s_waitcnt vmcnt(0)
	v_cndmask_b32_e64 v31, v30, v29, s[26:27]
	v_cndmask_b32_e64 v30, v2, v4, s[2:3]
	;; [unrolled: 1-line block ×14, first 2 shown]
	v_div_scale_f64 v[34:35], s[34:35], v[30:31], v[30:31], 1.0
	v_rcp_f64_e32 v[36:37], v[34:35]
	v_fma_f64 v[38:39], -v[34:35], v[36:37], 1.0
	v_fmac_f64_e32 v[36:37], v[36:37], v[38:39]
	v_fma_f64 v[38:39], -v[34:35], v[36:37], 1.0
	v_fmac_f64_e32 v[36:37], v[36:37], v[38:39]
	v_div_scale_f64 v[38:39], vcc, 1.0, v[30:31], 1.0
	v_mul_f64 v[40:41], v[38:39], v[36:37]
	v_fma_f64 v[34:35], -v[34:35], v[40:41], v[38:39]
	s_nop 1
	v_div_fmas_f64 v[34:35], v[34:35], v[36:37], v[40:41]
	v_div_fixup_f64 v[30:31], v[34:35], v[30:31], 1.0
	v_cndmask_b32_e64 v29, v29, v31, s[26:27]
	v_cndmask_b32_e64 v28, v28, v30, s[26:27]
	;; [unrolled: 1-line block ×28, first 2 shown]
	v_xor_b32_e32 v31, 0x80000000, v31
.LBB77_3:
	s_cmpk_eq_i32 s28, 0x79
	v_add_u32_e32 v93, 0x70, v32
	ds_write_b64 v32, v[30:31]
	s_cbranch_scc1 .LBB77_7
; %bb.4:
	s_waitcnt vmcnt(0)
	v_pk_mov_b32 v[60:61], v[32:33], v[32:33] op_sel:[0,1]
	v_cmp_eq_u32_e64 s[0:1], 13, v0
	v_pk_mov_b32 v[58:59], v[30:31], v[30:31] op_sel:[0,1]
	v_pk_mov_b32 v[56:57], v[28:29], v[28:29] op_sel:[0,1]
	;; [unrolled: 1-line block ×15, first 2 shown]
	ds_write_b64 v93, v[26:27]
	s_waitcnt lgkmcnt(0)
	; wave barrier
	s_waitcnt lgkmcnt(0)
	s_and_saveexec_b64 s[26:27], s[0:1]
	s_cbranch_execz .LBB77_11
; %bb.5:
	s_and_b64 vcc, exec, s[30:31]
	s_cbranch_vccz .LBB77_8
; %bb.6:
	v_cmp_eq_u32_e32 vcc, 1, v0
	v_cndmask_b32_e32 v30, v3, v5, vcc
	v_cmp_eq_u32_e64 s[2:3], 2, v0
	v_cndmask_b32_e64 v30, v30, v7, s[2:3]
	v_cmp_eq_u32_e64 s[4:5], 3, v0
	v_cndmask_b32_e64 v30, v30, v9, s[4:5]
	;; [unrolled: 2-line block ×12, first 2 shown]
	v_cndmask_b32_e32 v30, v2, v4, vcc
	v_cndmask_b32_e64 v30, v30, v6, s[2:3]
	v_cndmask_b32_e64 v30, v30, v8, s[4:5]
	v_cndmask_b32_e64 v30, v30, v10, s[6:7]
	v_cndmask_b32_e64 v30, v30, v12, s[8:9]
	v_cndmask_b32_e64 v30, v30, v14, s[10:11]
	v_cndmask_b32_e64 v30, v30, v16, s[12:13]
	v_cndmask_b32_e64 v30, v30, v18, s[14:15]
	v_cndmask_b32_e64 v30, v30, v20, s[16:17]
	ds_read_b64 v[32:33], v93
	v_cndmask_b32_e64 v30, v30, v22, s[18:19]
	v_cndmask_b32_e64 v30, v30, v24, s[20:21]
	;; [unrolled: 1-line block ×4, first 2 shown]
	s_waitcnt lgkmcnt(0)
	v_mul_f64 v[34:35], v[30:31], v[32:33]
	s_cbranch_execz .LBB77_9
	s_branch .LBB77_10
.LBB77_7:
                                        ; implicit-def: $vgpr30_vgpr31_vgpr32_vgpr33_vgpr34_vgpr35_vgpr36_vgpr37_vgpr38_vgpr39_vgpr40_vgpr41_vgpr42_vgpr43_vgpr44_vgpr45_vgpr46_vgpr47_vgpr48_vgpr49_vgpr50_vgpr51_vgpr52_vgpr53_vgpr54_vgpr55_vgpr56_vgpr57_vgpr58_vgpr59_vgpr60_vgpr61
	s_cbranch_execnz .LBB77_194
	s_branch .LBB77_329
.LBB77_8:
                                        ; implicit-def: $vgpr34_vgpr35
.LBB77_9:
	ds_read_b64 v[34:35], v93
.LBB77_10:
	v_mov_b32_e32 v30, 0
	ds_read_b64 v[36:37], v30 offset:96
	v_mov_b32_e32 v30, v2
	v_mov_b32_e32 v31, v3
	;; [unrolled: 1-line block ×4, first 2 shown]
	s_waitcnt lgkmcnt(0)
	v_mul_f64 v[54:55], v[34:35], v[36:37]
	v_mov_b32_e32 v34, v6
	v_mov_b32_e32 v35, v7
	;; [unrolled: 1-line block ×22, first 2 shown]
.LBB77_11:
	s_or_b64 exec, exec, s[26:27]
	v_cmp_lt_u32_e64 s[2:3], 11, v0
	ds_write_b64 v93, v[52:53]
	s_waitcnt lgkmcnt(0)
	; wave barrier
	s_waitcnt lgkmcnt(0)
	s_and_saveexec_b64 s[28:29], s[2:3]
	s_cbranch_execz .LBB77_17
; %bb.12:
	s_andn2_b64 vcc, exec, s[30:31]
	s_cbranch_vccnz .LBB77_14
; %bb.13:
	v_cmp_eq_u32_e32 vcc, 1, v0
	v_cndmask_b32_e32 v58, v31, v33, vcc
	v_cmp_eq_u32_e64 s[4:5], 2, v0
	v_cndmask_b32_e64 v58, v58, v35, s[4:5]
	v_cmp_eq_u32_e64 s[6:7], 3, v0
	v_cndmask_b32_e64 v58, v58, v37, s[6:7]
	;; [unrolled: 2-line block ×10, first 2 shown]
	v_cndmask_b32_e32 v58, v30, v32, vcc
	v_cndmask_b32_e64 v58, v58, v34, s[4:5]
	v_cndmask_b32_e64 v58, v58, v36, s[6:7]
	;; [unrolled: 1-line block ×8, first 2 shown]
	ds_read_b64 v[58:59], v93
	v_cndmask_b32_e64 v60, v60, v50, s[20:21]
	v_cmp_eq_u32_e64 s[24:25], 12, v0
	v_cndmask_b32_e64 v52, v60, v52, s[22:23]
	v_cndmask_b32_e64 v53, v53, v55, s[24:25]
	v_cmp_eq_u32_e64 s[26:27], 13, v0
	v_cndmask_b32_e64 v52, v52, v54, s[24:25]
	v_cndmask_b32_e64 v53, v53, v57, s[26:27]
	;; [unrolled: 1-line block ×3, first 2 shown]
	s_waitcnt lgkmcnt(0)
	v_mul_f64 v[52:53], v[52:53], v[58:59]
	s_cbranch_execz .LBB77_15
	s_branch .LBB77_16
.LBB77_14:
                                        ; implicit-def: $vgpr52_vgpr53
.LBB77_15:
	ds_read_b64 v[52:53], v93
.LBB77_16:
	v_mov_b32_e32 v58, 0
	ds_read2_b64 v[58:61], v58 offset0:11 offset1:26
	s_waitcnt lgkmcnt(0)
	v_fma_f64 v[60:61], v[54:55], v[60:61], v[52:53]
	v_cndmask_b32_e64 v53, v53, v61, s[0:1]
	v_cndmask_b32_e64 v52, v52, v60, s[0:1]
	v_mul_f64 v[52:53], v[52:53], v[58:59]
.LBB77_17:
	s_or_b64 exec, exec, s[28:29]
	v_cmp_lt_u32_e64 s[0:1], 10, v0
	ds_write_b64 v93, v[50:51]
	s_waitcnt lgkmcnt(0)
	; wave barrier
	s_waitcnt lgkmcnt(0)
	s_and_saveexec_b64 s[28:29], s[0:1]
	s_cbranch_execz .LBB77_33
; %bb.18:
	s_andn2_b64 vcc, exec, s[30:31]
	s_cbranch_vccnz .LBB77_20
; %bb.19:
	v_cmp_eq_u32_e32 vcc, 1, v0
	v_cndmask_b32_e32 v90, v31, v33, vcc
	v_cmp_eq_u32_e64 s[4:5], 2, v0
	v_cndmask_b32_e64 v90, v90, v35, s[4:5]
	v_cmp_eq_u32_e64 s[6:7], 3, v0
	v_cndmask_b32_e64 v90, v90, v37, s[6:7]
	;; [unrolled: 2-line block ×12, first 2 shown]
	v_cndmask_b32_e32 v90, v30, v32, vcc
	v_cndmask_b32_e64 v90, v90, v34, s[4:5]
	v_cndmask_b32_e64 v90, v90, v36, s[6:7]
	;; [unrolled: 1-line block ×8, first 2 shown]
	ds_read_b64 v[94:95], v93
	v_cndmask_b32_e64 v90, v90, v50, s[20:21]
	v_cndmask_b32_e64 v90, v90, v52, s[22:23]
	;; [unrolled: 1-line block ×4, first 2 shown]
	s_waitcnt lgkmcnt(0)
	v_mul_f64 v[90:91], v[90:91], v[94:95]
	s_cbranch_execz .LBB77_21
	s_branch .LBB77_22
.LBB77_20:
                                        ; implicit-def: $vgpr90_vgpr91
.LBB77_21:
	ds_read_b64 v[90:91], v93
.LBB77_22:
	s_and_saveexec_b64 s[6:7], s[2:3]
	s_cbranch_execz .LBB77_32
; %bb.23:
	v_add_u32_e32 v92, -12, v0
	v_add_u32_e32 v95, -11, v0
	v_cmp_lt_u32_e32 vcc, 6, v92
	v_mov_b32_e32 v92, 11
	s_and_saveexec_b64 s[2:3], vcc
	s_cbranch_execz .LBB77_27
; %bb.24:
	v_and_b32_e32 v92, -8, v95
	v_sub_u32_e32 v94, 0, v92
	s_mov_b64 s[4:5], 18
	s_movk_i32 s10, 0xc8
	s_mov_b64 s[8:9], 0
.LBB77_25:                              ; =>This Inner Loop Header: Depth=1
	s_lshl_b32 s11, s4, 1
	s_add_i32 s12, s11, -13
	v_mov_b32_e32 v110, s10
	s_add_i32 s13, s11, -14
	s_set_gpr_idx_on s12, gpr_idx(SRC0)
	v_mov_b32_e32 v105, v30
	s_set_gpr_idx_off
	s_add_i32 s14, s11, -11
	s_set_gpr_idx_on s13, gpr_idx(SRC0)
	v_mov_b32_e32 v104, v30
	s_set_gpr_idx_off
	ds_read2_b64 v[96:99], v110 offset1:1
	s_add_i32 s15, s11, -12
	s_set_gpr_idx_on s14, gpr_idx(SRC0)
	v_mov_b32_e32 v107, v30
	s_set_gpr_idx_off
	s_add_i32 s16, s11, -9
	s_set_gpr_idx_on s15, gpr_idx(SRC0)
	v_mov_b32_e32 v106, v30
	s_set_gpr_idx_off
	;; [unrolled: 4-line block ×4, first 2 shown]
	ds_read2_b64 v[100:103], v110 offset0:2 offset1:3
	s_add_i32 s19, s11, -8
	s_waitcnt lgkmcnt(1)
	v_fmac_f64_e32 v[90:91], v[104:105], v[96:97]
	s_set_gpr_idx_on s18, gpr_idx(SRC0)
	v_mov_b32_e32 v105, v30
	s_set_gpr_idx_off
	s_add_i32 s20, s11, -5
	v_fmac_f64_e32 v[90:91], v[106:107], v[98:99]
	s_set_gpr_idx_on s19, gpr_idx(SRC0)
	v_mov_b32_e32 v104, v30
	s_set_gpr_idx_off
	s_add_i32 s21, s11, -6
	s_set_gpr_idx_on s20, gpr_idx(SRC0)
	v_mov_b32_e32 v107, v30
	s_set_gpr_idx_off
	s_add_i32 s22, s11, -3
	;; [unrolled: 4-line block ×3, first 2 shown]
	ds_read2_b64 v[96:99], v110 offset0:4 offset1:5
	s_waitcnt lgkmcnt(1)
	v_fmac_f64_e32 v[90:91], v[108:109], v[100:101]
	s_set_gpr_idx_on s22, gpr_idx(SRC0)
	v_mov_b32_e32 v109, v30
	s_set_gpr_idx_off
	s_add_i32 s24, s11, -1
	v_fmac_f64_e32 v[90:91], v[104:105], v[102:103]
	s_set_gpr_idx_on s23, gpr_idx(SRC0)
	v_mov_b32_e32 v108, v30
	s_set_gpr_idx_off
	s_add_i32 s25, s11, -2
	s_set_gpr_idx_on s24, gpr_idx(SRC0)
	v_mov_b32_e32 v105, v30
	s_set_gpr_idx_off
	s_set_gpr_idx_on s25, gpr_idx(SRC0)
	v_mov_b32_e32 v104, v30
	s_set_gpr_idx_off
	ds_read2_b64 v[100:103], v110 offset0:6 offset1:7
	s_add_u32 s4, s4, 8
	s_waitcnt lgkmcnt(1)
	v_fmac_f64_e32 v[90:91], v[106:107], v[96:97]
	s_set_gpr_idx_on s11, gpr_idx(SRC0)
	v_mov_b32_e32 v97, v31
	s_set_gpr_idx_off
	v_add_u32_e32 v92, s4, v94
	v_fmac_f64_e32 v[90:91], v[108:109], v[98:99]
	s_set_gpr_idx_on s11, gpr_idx(SRC0)
	v_mov_b32_e32 v96, v30
	s_set_gpr_idx_off
	s_addc_u32 s5, s5, 0
	s_add_i32 s10, s10, 64
	s_add_i32 s12, s4, -7
	v_cmp_eq_u32_e32 vcc, 18, v92
	s_waitcnt lgkmcnt(0)
	v_fmac_f64_e32 v[90:91], v[104:105], v[100:101]
	v_mov_b32_e32 v92, s12
	s_or_b64 s[8:9], vcc, s[8:9]
	v_fmac_f64_e32 v[90:91], v[96:97], v[102:103]
	s_andn2_b64 exec, exec, s[8:9]
	s_cbranch_execnz .LBB77_25
; %bb.26:
	s_or_b64 exec, exec, s[8:9]
.LBB77_27:
	s_or_b64 exec, exec, s[2:3]
	v_and_b32_e32 v58, 7, v95
	v_cmp_ne_u32_e32 vcc, 0, v58
	s_and_saveexec_b64 s[8:9], vcc
	s_cbranch_execz .LBB77_31
; %bb.28:
	v_mov_b32_e32 v59, 0x70
	v_lshl_add_u32 v60, v92, 3, v59
	v_mov_b32_e32 v59, 0
	s_mov_b64 s[10:11], 0
.LBB77_29:                              ; =>This Inner Loop Header: Depth=1
	v_cmp_eq_u32_e32 vcc, 1, v92
	v_cndmask_b32_e32 v61, v31, v33, vcc
	v_add_u32_e32 v58, -1, v58
	v_cmp_eq_u32_e64 s[2:3], 2, v92
	v_cndmask_b32_e64 v61, v61, v35, s[2:3]
	v_cndmask_b32_e32 v96, v30, v32, vcc
	v_cmp_eq_u32_e32 vcc, 0, v58
	v_cmp_eq_u32_e64 s[4:5], 3, v92
	v_cndmask_b32_e64 v61, v61, v37, s[4:5]
	v_cndmask_b32_e64 v96, v96, v34, s[2:3]
	s_or_b64 s[10:11], vcc, s[10:11]
	v_cmp_eq_u32_e32 vcc, 4, v92
	v_cndmask_b32_e32 v61, v61, v39, vcc
	v_cndmask_b32_e64 v96, v96, v36, s[4:5]
	v_cmp_eq_u32_e64 s[2:3], 5, v92
	v_cndmask_b32_e64 v61, v61, v41, s[2:3]
	v_cndmask_b32_e32 v96, v96, v38, vcc
	v_cmp_eq_u32_e32 vcc, 6, v92
	v_cndmask_b32_e32 v61, v61, v43, vcc
	v_cndmask_b32_e64 v96, v96, v40, s[2:3]
	v_cmp_eq_u32_e64 s[2:3], 7, v92
	v_cndmask_b32_e64 v61, v61, v45, s[2:3]
	v_cndmask_b32_e32 v96, v96, v42, vcc
	;; [unrolled: 6-line block ×3, first 2 shown]
	v_cmp_eq_u32_e32 vcc, 10, v92
	ds_read_b64 v[94:95], v60
	v_cndmask_b32_e32 v61, v61, v51, vcc
	v_cndmask_b32_e64 v96, v96, v48, s[2:3]
	v_cmp_eq_u32_e64 s[2:3], 11, v92
	v_cndmask_b32_e64 v61, v61, v53, s[2:3]
	v_cndmask_b32_e32 v96, v96, v50, vcc
	v_cmp_eq_u32_e32 vcc, 12, v92
	v_cndmask_b32_e32 v61, v61, v55, vcc
	v_cmp_eq_u32_e64 s[4:5], 13, v92
	v_cndmask_b32_e64 v96, v96, v52, s[2:3]
	v_cndmask_b32_e64 v97, v61, v57, s[4:5]
	v_cndmask_b32_e32 v61, v96, v54, vcc
	v_add_co_u32_e64 v92, s[2:3], 1, v92
	v_cndmask_b32_e64 v96, v61, v56, s[4:5]
	v_add_u32_e32 v60, 8, v60
	v_addc_co_u32_e64 v59, s[2:3], 0, v59, s[2:3]
	s_waitcnt lgkmcnt(0)
	v_fmac_f64_e32 v[90:91], v[96:97], v[94:95]
	s_andn2_b64 exec, exec, s[10:11]
	s_cbranch_execnz .LBB77_29
; %bb.30:
	s_or_b64 exec, exec, s[10:11]
.LBB77_31:
	s_or_b64 exec, exec, s[8:9]
.LBB77_32:
	s_or_b64 exec, exec, s[6:7]
	v_mov_b32_e32 v50, 0
	ds_read_b64 v[50:51], v50 offset:80
	s_waitcnt lgkmcnt(0)
	v_mul_f64 v[50:51], v[90:91], v[50:51]
.LBB77_33:
	s_or_b64 exec, exec, s[28:29]
	v_cmp_lt_u32_e64 s[2:3], 9, v0
	ds_write_b64 v93, v[48:49]
	s_waitcnt lgkmcnt(0)
	; wave barrier
	s_waitcnt lgkmcnt(0)
	s_and_saveexec_b64 s[28:29], s[2:3]
	s_cbranch_execz .LBB77_49
; %bb.34:
	s_andn2_b64 vcc, exec, s[30:31]
	s_cbranch_vccnz .LBB77_36
; %bb.35:
	v_cmp_eq_u32_e32 vcc, 1, v0
	v_cndmask_b32_e32 v90, v31, v33, vcc
	v_cmp_eq_u32_e64 s[4:5], 2, v0
	v_cndmask_b32_e64 v90, v90, v35, s[4:5]
	v_cmp_eq_u32_e64 s[6:7], 3, v0
	v_cndmask_b32_e64 v90, v90, v37, s[6:7]
	;; [unrolled: 2-line block ×12, first 2 shown]
	v_cndmask_b32_e32 v90, v30, v32, vcc
	v_cndmask_b32_e64 v90, v90, v34, s[4:5]
	v_cndmask_b32_e64 v90, v90, v36, s[6:7]
	;; [unrolled: 1-line block ×8, first 2 shown]
	ds_read_b64 v[94:95], v93
	v_cndmask_b32_e64 v90, v90, v50, s[20:21]
	v_cndmask_b32_e64 v90, v90, v52, s[22:23]
	;; [unrolled: 1-line block ×4, first 2 shown]
	s_waitcnt lgkmcnt(0)
	v_mul_f64 v[90:91], v[90:91], v[94:95]
	s_cbranch_execz .LBB77_37
	s_branch .LBB77_38
.LBB77_36:
                                        ; implicit-def: $vgpr90_vgpr91
.LBB77_37:
	ds_read_b64 v[90:91], v93
.LBB77_38:
	s_and_saveexec_b64 s[6:7], s[0:1]
	s_cbranch_execz .LBB77_48
; %bb.39:
	v_add_u32_e32 v92, -11, v0
	v_add_u32_e32 v95, -10, v0
	v_cmp_lt_u32_e32 vcc, 6, v92
	v_mov_b32_e32 v92, 10
	s_and_saveexec_b64 s[0:1], vcc
	s_cbranch_execz .LBB77_43
; %bb.40:
	v_and_b32_e32 v92, -8, v95
	v_sub_u32_e32 v94, 0, v92
	s_mov_b64 s[4:5], 17
	s_movk_i32 s10, 0xc0
	s_mov_b64 s[8:9], 0
.LBB77_41:                              ; =>This Inner Loop Header: Depth=1
	s_lshl_b32 s11, s4, 1
	s_add_i32 s12, s11, -13
	s_add_i32 s13, s11, -14
	s_set_gpr_idx_on s12, gpr_idx(SRC0)
	v_mov_b32_e32 v113, v30
	s_set_gpr_idx_off
	v_mov_b32_e32 v92, s10
	s_add_i32 s14, s11, -11
	s_set_gpr_idx_on s13, gpr_idx(SRC0)
	v_mov_b32_e32 v112, v30
	s_set_gpr_idx_off
	s_add_i32 s15, s11, -12
	ds_read_b128 v[96:99], v92
	ds_read_b128 v[100:103], v92 offset:16
	ds_read_b128 v[104:107], v92 offset:32
	;; [unrolled: 1-line block ×3, first 2 shown]
	s_set_gpr_idx_on s14, gpr_idx(SRC0)
	v_mov_b32_e32 v115, v30
	s_set_gpr_idx_off
	s_add_i32 s16, s11, -9
	s_set_gpr_idx_on s15, gpr_idx(SRC0)
	v_mov_b32_e32 v114, v30
	s_set_gpr_idx_off
	s_add_i32 s17, s11, -10
	;; [unrolled: 4-line block ×4, first 2 shown]
	s_waitcnt lgkmcnt(3)
	v_fmac_f64_e32 v[90:91], v[112:113], v[96:97]
	s_set_gpr_idx_on s18, gpr_idx(SRC0)
	v_mov_b32_e32 v97, v30
	s_set_gpr_idx_off
	s_add_i32 s20, s11, -5
	v_fmac_f64_e32 v[90:91], v[114:115], v[98:99]
	s_set_gpr_idx_on s19, gpr_idx(SRC0)
	v_mov_b32_e32 v96, v30
	s_set_gpr_idx_off
	s_add_i32 s21, s11, -6
	s_waitcnt lgkmcnt(2)
	v_fmac_f64_e32 v[90:91], v[116:117], v[100:101]
	s_set_gpr_idx_on s20, gpr_idx(SRC0)
	v_mov_b32_e32 v99, v30
	s_set_gpr_idx_off
	s_add_i32 s22, s11, -3
	v_fmac_f64_e32 v[90:91], v[96:97], v[102:103]
	s_set_gpr_idx_on s21, gpr_idx(SRC0)
	v_mov_b32_e32 v98, v30
	s_set_gpr_idx_off
	s_add_i32 s23, s11, -4
	s_waitcnt lgkmcnt(1)
	v_fmac_f64_e32 v[90:91], v[98:99], v[104:105]
	s_set_gpr_idx_on s22, gpr_idx(SRC0)
	v_mov_b32_e32 v97, v30
	s_set_gpr_idx_off
	s_add_i32 s24, s11, -1
	s_set_gpr_idx_on s23, gpr_idx(SRC0)
	v_mov_b32_e32 v96, v30
	s_set_gpr_idx_off
	s_add_i32 s25, s11, -2
	v_fmac_f64_e32 v[90:91], v[96:97], v[106:107]
	s_set_gpr_idx_on s24, gpr_idx(SRC0)
	v_mov_b32_e32 v97, v30
	s_set_gpr_idx_off
	s_add_u32 s4, s4, 8
	s_set_gpr_idx_on s25, gpr_idx(SRC0)
	v_mov_b32_e32 v96, v30
	s_set_gpr_idx_off
	v_add_u32_e32 v92, s4, v94
	s_waitcnt lgkmcnt(0)
	v_fmac_f64_e32 v[90:91], v[96:97], v[108:109]
	s_set_gpr_idx_on s11, gpr_idx(SRC0)
	v_mov_b32_e32 v97, v31
	s_set_gpr_idx_off
	s_addc_u32 s5, s5, 0
	s_add_i32 s10, s10, 64
	s_add_i32 s12, s4, -7
	v_cmp_eq_u32_e32 vcc, 17, v92
	s_set_gpr_idx_on s11, gpr_idx(SRC0)
	v_mov_b32_e32 v96, v30
	s_set_gpr_idx_off
	v_mov_b32_e32 v92, s12
	s_or_b64 s[8:9], vcc, s[8:9]
	v_fmac_f64_e32 v[90:91], v[96:97], v[110:111]
	s_andn2_b64 exec, exec, s[8:9]
	s_cbranch_execnz .LBB77_41
; %bb.42:
	s_or_b64 exec, exec, s[8:9]
.LBB77_43:
	s_or_b64 exec, exec, s[0:1]
	v_and_b32_e32 v58, 7, v95
	v_cmp_ne_u32_e32 vcc, 0, v58
	s_and_saveexec_b64 s[8:9], vcc
	s_cbranch_execz .LBB77_47
; %bb.44:
	v_mov_b32_e32 v59, 0x70
	v_lshl_add_u32 v60, v92, 3, v59
	v_mov_b32_e32 v59, 0
	s_mov_b64 s[10:11], 0
.LBB77_45:                              ; =>This Inner Loop Header: Depth=1
	v_cmp_eq_u32_e32 vcc, 1, v92
	v_cndmask_b32_e32 v61, v31, v33, vcc
	v_add_u32_e32 v58, -1, v58
	v_cmp_eq_u32_e64 s[0:1], 2, v92
	v_cndmask_b32_e64 v61, v61, v35, s[0:1]
	v_cndmask_b32_e32 v96, v30, v32, vcc
	v_cmp_eq_u32_e32 vcc, 0, v58
	v_cmp_eq_u32_e64 s[4:5], 3, v92
	v_cndmask_b32_e64 v61, v61, v37, s[4:5]
	v_cndmask_b32_e64 v96, v96, v34, s[0:1]
	s_or_b64 s[10:11], vcc, s[10:11]
	v_cmp_eq_u32_e32 vcc, 4, v92
	v_cndmask_b32_e32 v61, v61, v39, vcc
	v_cndmask_b32_e64 v96, v96, v36, s[4:5]
	v_cmp_eq_u32_e64 s[0:1], 5, v92
	v_cndmask_b32_e64 v61, v61, v41, s[0:1]
	v_cndmask_b32_e32 v96, v96, v38, vcc
	v_cmp_eq_u32_e32 vcc, 6, v92
	v_cndmask_b32_e32 v61, v61, v43, vcc
	v_cndmask_b32_e64 v96, v96, v40, s[0:1]
	v_cmp_eq_u32_e64 s[0:1], 7, v92
	v_cndmask_b32_e64 v61, v61, v45, s[0:1]
	v_cndmask_b32_e32 v96, v96, v42, vcc
	;; [unrolled: 6-line block ×3, first 2 shown]
	v_cmp_eq_u32_e32 vcc, 10, v92
	ds_read_b64 v[94:95], v60
	v_cndmask_b32_e32 v61, v61, v51, vcc
	v_cndmask_b32_e64 v96, v96, v48, s[0:1]
	v_cmp_eq_u32_e64 s[0:1], 11, v92
	v_cndmask_b32_e64 v61, v61, v53, s[0:1]
	v_cndmask_b32_e32 v96, v96, v50, vcc
	v_cmp_eq_u32_e32 vcc, 12, v92
	v_cndmask_b32_e32 v61, v61, v55, vcc
	v_cmp_eq_u32_e64 s[4:5], 13, v92
	v_cndmask_b32_e64 v96, v96, v52, s[0:1]
	v_cndmask_b32_e64 v97, v61, v57, s[4:5]
	v_cndmask_b32_e32 v61, v96, v54, vcc
	v_add_co_u32_e64 v92, s[0:1], 1, v92
	v_cndmask_b32_e64 v96, v61, v56, s[4:5]
	v_add_u32_e32 v60, 8, v60
	v_addc_co_u32_e64 v59, s[0:1], 0, v59, s[0:1]
	s_waitcnt lgkmcnt(0)
	v_fmac_f64_e32 v[90:91], v[96:97], v[94:95]
	s_andn2_b64 exec, exec, s[10:11]
	s_cbranch_execnz .LBB77_45
; %bb.46:
	s_or_b64 exec, exec, s[10:11]
.LBB77_47:
	s_or_b64 exec, exec, s[8:9]
.LBB77_48:
	s_or_b64 exec, exec, s[6:7]
	v_mov_b32_e32 v48, 0
	ds_read_b64 v[48:49], v48 offset:72
	s_waitcnt lgkmcnt(0)
	v_mul_f64 v[48:49], v[90:91], v[48:49]
.LBB77_49:
	s_or_b64 exec, exec, s[28:29]
	v_cmp_lt_u32_e64 s[0:1], 8, v0
	ds_write_b64 v93, v[46:47]
	s_waitcnt lgkmcnt(0)
	; wave barrier
	s_waitcnt lgkmcnt(0)
	s_and_saveexec_b64 s[28:29], s[0:1]
	s_cbranch_execz .LBB77_65
; %bb.50:
	s_andn2_b64 vcc, exec, s[30:31]
	s_cbranch_vccnz .LBB77_52
; %bb.51:
	v_cmp_eq_u32_e32 vcc, 1, v0
	v_cndmask_b32_e32 v90, v31, v33, vcc
	v_cmp_eq_u32_e64 s[4:5], 2, v0
	v_cndmask_b32_e64 v90, v90, v35, s[4:5]
	v_cmp_eq_u32_e64 s[6:7], 3, v0
	v_cndmask_b32_e64 v90, v90, v37, s[6:7]
	;; [unrolled: 2-line block ×12, first 2 shown]
	v_cndmask_b32_e32 v90, v30, v32, vcc
	v_cndmask_b32_e64 v90, v90, v34, s[4:5]
	v_cndmask_b32_e64 v90, v90, v36, s[6:7]
	;; [unrolled: 1-line block ×8, first 2 shown]
	ds_read_b64 v[94:95], v93
	v_cndmask_b32_e64 v90, v90, v50, s[20:21]
	v_cndmask_b32_e64 v90, v90, v52, s[22:23]
	v_cndmask_b32_e64 v90, v90, v54, s[24:25]
	v_cndmask_b32_e64 v90, v90, v56, s[26:27]
	s_waitcnt lgkmcnt(0)
	v_mul_f64 v[90:91], v[90:91], v[94:95]
	s_cbranch_execz .LBB77_53
	s_branch .LBB77_54
.LBB77_52:
                                        ; implicit-def: $vgpr90_vgpr91
.LBB77_53:
	ds_read_b64 v[90:91], v93
.LBB77_54:
	s_and_saveexec_b64 s[6:7], s[2:3]
	s_cbranch_execz .LBB77_64
; %bb.55:
	v_add_u32_e32 v92, -10, v0
	v_add_u32_e32 v95, -9, v0
	v_cmp_lt_u32_e32 vcc, 6, v92
	v_mov_b32_e32 v92, 9
	s_and_saveexec_b64 s[2:3], vcc
	s_cbranch_execz .LBB77_59
; %bb.56:
	v_and_b32_e32 v92, -8, v95
	v_sub_u32_e32 v94, 0, v92
	s_mov_b64 s[4:5], 16
	s_movk_i32 s10, 0xb8
	s_mov_b64 s[8:9], 0
.LBB77_57:                              ; =>This Inner Loop Header: Depth=1
	s_lshl_b32 s11, s4, 1
	s_add_i32 s12, s11, -13
	v_mov_b32_e32 v110, s10
	s_add_i32 s13, s11, -14
	s_set_gpr_idx_on s12, gpr_idx(SRC0)
	v_mov_b32_e32 v105, v30
	s_set_gpr_idx_off
	s_add_i32 s14, s11, -11
	s_set_gpr_idx_on s13, gpr_idx(SRC0)
	v_mov_b32_e32 v104, v30
	s_set_gpr_idx_off
	ds_read2_b64 v[96:99], v110 offset1:1
	s_add_i32 s15, s11, -12
	s_set_gpr_idx_on s14, gpr_idx(SRC0)
	v_mov_b32_e32 v107, v30
	s_set_gpr_idx_off
	s_add_i32 s16, s11, -9
	s_set_gpr_idx_on s15, gpr_idx(SRC0)
	v_mov_b32_e32 v106, v30
	s_set_gpr_idx_off
	;; [unrolled: 4-line block ×4, first 2 shown]
	ds_read2_b64 v[100:103], v110 offset0:2 offset1:3
	s_add_i32 s19, s11, -8
	s_waitcnt lgkmcnt(1)
	v_fmac_f64_e32 v[90:91], v[104:105], v[96:97]
	s_set_gpr_idx_on s18, gpr_idx(SRC0)
	v_mov_b32_e32 v105, v30
	s_set_gpr_idx_off
	s_add_i32 s20, s11, -5
	v_fmac_f64_e32 v[90:91], v[106:107], v[98:99]
	s_set_gpr_idx_on s19, gpr_idx(SRC0)
	v_mov_b32_e32 v104, v30
	s_set_gpr_idx_off
	s_add_i32 s21, s11, -6
	s_set_gpr_idx_on s20, gpr_idx(SRC0)
	v_mov_b32_e32 v107, v30
	s_set_gpr_idx_off
	s_add_i32 s22, s11, -3
	s_set_gpr_idx_on s21, gpr_idx(SRC0)
	v_mov_b32_e32 v106, v30
	s_set_gpr_idx_off
	s_add_i32 s23, s11, -4
	ds_read2_b64 v[96:99], v110 offset0:4 offset1:5
	s_waitcnt lgkmcnt(1)
	v_fmac_f64_e32 v[90:91], v[108:109], v[100:101]
	s_set_gpr_idx_on s22, gpr_idx(SRC0)
	v_mov_b32_e32 v109, v30
	s_set_gpr_idx_off
	s_add_i32 s24, s11, -1
	v_fmac_f64_e32 v[90:91], v[104:105], v[102:103]
	s_set_gpr_idx_on s23, gpr_idx(SRC0)
	v_mov_b32_e32 v108, v30
	s_set_gpr_idx_off
	s_add_i32 s25, s11, -2
	s_set_gpr_idx_on s24, gpr_idx(SRC0)
	v_mov_b32_e32 v105, v30
	s_set_gpr_idx_off
	s_set_gpr_idx_on s25, gpr_idx(SRC0)
	v_mov_b32_e32 v104, v30
	s_set_gpr_idx_off
	ds_read2_b64 v[100:103], v110 offset0:6 offset1:7
	s_add_u32 s4, s4, 8
	s_waitcnt lgkmcnt(1)
	v_fmac_f64_e32 v[90:91], v[106:107], v[96:97]
	s_set_gpr_idx_on s11, gpr_idx(SRC0)
	v_mov_b32_e32 v97, v31
	s_set_gpr_idx_off
	v_add_u32_e32 v92, s4, v94
	v_fmac_f64_e32 v[90:91], v[108:109], v[98:99]
	s_set_gpr_idx_on s11, gpr_idx(SRC0)
	v_mov_b32_e32 v96, v30
	s_set_gpr_idx_off
	s_addc_u32 s5, s5, 0
	s_add_i32 s10, s10, 64
	s_add_i32 s12, s4, -7
	v_cmp_eq_u32_e32 vcc, 16, v92
	s_waitcnt lgkmcnt(0)
	v_fmac_f64_e32 v[90:91], v[104:105], v[100:101]
	v_mov_b32_e32 v92, s12
	s_or_b64 s[8:9], vcc, s[8:9]
	v_fmac_f64_e32 v[90:91], v[96:97], v[102:103]
	s_andn2_b64 exec, exec, s[8:9]
	s_cbranch_execnz .LBB77_57
; %bb.58:
	s_or_b64 exec, exec, s[8:9]
.LBB77_59:
	s_or_b64 exec, exec, s[2:3]
	v_and_b32_e32 v58, 7, v95
	v_cmp_ne_u32_e32 vcc, 0, v58
	s_and_saveexec_b64 s[8:9], vcc
	s_cbranch_execz .LBB77_63
; %bb.60:
	v_mov_b32_e32 v59, 0x70
	v_lshl_add_u32 v60, v92, 3, v59
	v_mov_b32_e32 v59, 0
	s_mov_b64 s[10:11], 0
.LBB77_61:                              ; =>This Inner Loop Header: Depth=1
	v_cmp_eq_u32_e32 vcc, 1, v92
	v_cndmask_b32_e32 v61, v31, v33, vcc
	v_add_u32_e32 v58, -1, v58
	v_cmp_eq_u32_e64 s[2:3], 2, v92
	v_cndmask_b32_e64 v61, v61, v35, s[2:3]
	v_cndmask_b32_e32 v96, v30, v32, vcc
	v_cmp_eq_u32_e32 vcc, 0, v58
	v_cmp_eq_u32_e64 s[4:5], 3, v92
	v_cndmask_b32_e64 v61, v61, v37, s[4:5]
	v_cndmask_b32_e64 v96, v96, v34, s[2:3]
	s_or_b64 s[10:11], vcc, s[10:11]
	v_cmp_eq_u32_e32 vcc, 4, v92
	v_cndmask_b32_e32 v61, v61, v39, vcc
	v_cndmask_b32_e64 v96, v96, v36, s[4:5]
	v_cmp_eq_u32_e64 s[2:3], 5, v92
	v_cndmask_b32_e64 v61, v61, v41, s[2:3]
	v_cndmask_b32_e32 v96, v96, v38, vcc
	v_cmp_eq_u32_e32 vcc, 6, v92
	v_cndmask_b32_e32 v61, v61, v43, vcc
	v_cndmask_b32_e64 v96, v96, v40, s[2:3]
	v_cmp_eq_u32_e64 s[2:3], 7, v92
	v_cndmask_b32_e64 v61, v61, v45, s[2:3]
	v_cndmask_b32_e32 v96, v96, v42, vcc
	;; [unrolled: 6-line block ×3, first 2 shown]
	v_cmp_eq_u32_e32 vcc, 10, v92
	ds_read_b64 v[94:95], v60
	v_cndmask_b32_e32 v61, v61, v51, vcc
	v_cndmask_b32_e64 v96, v96, v48, s[2:3]
	v_cmp_eq_u32_e64 s[2:3], 11, v92
	v_cndmask_b32_e64 v61, v61, v53, s[2:3]
	v_cndmask_b32_e32 v96, v96, v50, vcc
	v_cmp_eq_u32_e32 vcc, 12, v92
	v_cndmask_b32_e32 v61, v61, v55, vcc
	v_cmp_eq_u32_e64 s[4:5], 13, v92
	v_cndmask_b32_e64 v96, v96, v52, s[2:3]
	v_cndmask_b32_e64 v97, v61, v57, s[4:5]
	v_cndmask_b32_e32 v61, v96, v54, vcc
	v_add_co_u32_e64 v92, s[2:3], 1, v92
	v_cndmask_b32_e64 v96, v61, v56, s[4:5]
	v_add_u32_e32 v60, 8, v60
	v_addc_co_u32_e64 v59, s[2:3], 0, v59, s[2:3]
	s_waitcnt lgkmcnt(0)
	v_fmac_f64_e32 v[90:91], v[96:97], v[94:95]
	s_andn2_b64 exec, exec, s[10:11]
	s_cbranch_execnz .LBB77_61
; %bb.62:
	s_or_b64 exec, exec, s[10:11]
.LBB77_63:
	s_or_b64 exec, exec, s[8:9]
.LBB77_64:
	s_or_b64 exec, exec, s[6:7]
	v_mov_b32_e32 v46, 0
	ds_read_b64 v[46:47], v46 offset:64
	s_waitcnt lgkmcnt(0)
	v_mul_f64 v[46:47], v[90:91], v[46:47]
.LBB77_65:
	s_or_b64 exec, exec, s[28:29]
	v_cmp_lt_u32_e64 s[2:3], 7, v0
	ds_write_b64 v93, v[44:45]
	s_waitcnt lgkmcnt(0)
	; wave barrier
	s_waitcnt lgkmcnt(0)
	s_and_saveexec_b64 s[28:29], s[2:3]
	s_cbranch_execz .LBB77_81
; %bb.66:
	s_andn2_b64 vcc, exec, s[30:31]
	s_cbranch_vccnz .LBB77_68
; %bb.67:
	v_cmp_eq_u32_e32 vcc, 1, v0
	v_cndmask_b32_e32 v90, v31, v33, vcc
	v_cmp_eq_u32_e64 s[4:5], 2, v0
	v_cndmask_b32_e64 v90, v90, v35, s[4:5]
	v_cmp_eq_u32_e64 s[6:7], 3, v0
	v_cndmask_b32_e64 v90, v90, v37, s[6:7]
	v_cmp_eq_u32_e64 s[8:9], 4, v0
	v_cndmask_b32_e64 v90, v90, v39, s[8:9]
	v_cmp_eq_u32_e64 s[10:11], 5, v0
	v_cndmask_b32_e64 v90, v90, v41, s[10:11]
	v_cmp_eq_u32_e64 s[12:13], 6, v0
	v_cndmask_b32_e64 v90, v90, v43, s[12:13]
	v_cmp_eq_u32_e64 s[14:15], 7, v0
	v_cndmask_b32_e64 v90, v90, v45, s[14:15]
	v_cmp_eq_u32_e64 s[16:17], 8, v0
	v_cndmask_b32_e64 v90, v90, v47, s[16:17]
	v_cmp_eq_u32_e64 s[18:19], 9, v0
	v_cndmask_b32_e64 v90, v90, v49, s[18:19]
	v_cmp_eq_u32_e64 s[20:21], 10, v0
	v_cndmask_b32_e64 v90, v90, v51, s[20:21]
	v_cmp_eq_u32_e64 s[22:23], 11, v0
	v_cndmask_b32_e64 v90, v90, v53, s[22:23]
	v_cmp_eq_u32_e64 s[24:25], 12, v0
	v_cndmask_b32_e64 v90, v90, v55, s[24:25]
	v_cmp_eq_u32_e64 s[26:27], 13, v0
	v_cndmask_b32_e64 v91, v90, v57, s[26:27]
	v_cndmask_b32_e32 v90, v30, v32, vcc
	v_cndmask_b32_e64 v90, v90, v34, s[4:5]
	v_cndmask_b32_e64 v90, v90, v36, s[6:7]
	;; [unrolled: 1-line block ×8, first 2 shown]
	ds_read_b64 v[94:95], v93
	v_cndmask_b32_e64 v90, v90, v50, s[20:21]
	v_cndmask_b32_e64 v90, v90, v52, s[22:23]
	;; [unrolled: 1-line block ×4, first 2 shown]
	s_waitcnt lgkmcnt(0)
	v_mul_f64 v[90:91], v[90:91], v[94:95]
	s_cbranch_execz .LBB77_69
	s_branch .LBB77_70
.LBB77_68:
                                        ; implicit-def: $vgpr90_vgpr91
.LBB77_69:
	ds_read_b64 v[90:91], v93
.LBB77_70:
	s_and_saveexec_b64 s[6:7], s[0:1]
	s_cbranch_execz .LBB77_80
; %bb.71:
	v_add_u32_e32 v92, -9, v0
	v_cmp_lt_u32_e32 vcc, 6, v92
	v_mov_b32_e32 v92, 8
	s_and_saveexec_b64 s[0:1], vcc
	s_cbranch_execz .LBB77_75
; %bb.72:
	v_and_b32_e32 v92, 8, v0
	v_sub_u32_e32 v94, 0, v92
	s_mov_b64 s[4:5], 15
	s_movk_i32 s10, 0xb0
	s_mov_b64 s[8:9], 0
.LBB77_73:                              ; =>This Inner Loop Header: Depth=1
	s_lshl_b32 s11, s4, 1
	s_add_i32 s12, s11, -13
	s_add_i32 s13, s11, -14
	s_set_gpr_idx_on s12, gpr_idx(SRC0)
	v_mov_b32_e32 v113, v30
	s_set_gpr_idx_off
	v_mov_b32_e32 v92, s10
	s_add_i32 s14, s11, -11
	s_set_gpr_idx_on s13, gpr_idx(SRC0)
	v_mov_b32_e32 v112, v30
	s_set_gpr_idx_off
	s_add_i32 s15, s11, -12
	ds_read_b128 v[96:99], v92
	ds_read_b128 v[100:103], v92 offset:16
	ds_read_b128 v[104:107], v92 offset:32
	;; [unrolled: 1-line block ×3, first 2 shown]
	s_set_gpr_idx_on s14, gpr_idx(SRC0)
	v_mov_b32_e32 v115, v30
	s_set_gpr_idx_off
	s_add_i32 s16, s11, -9
	s_set_gpr_idx_on s15, gpr_idx(SRC0)
	v_mov_b32_e32 v114, v30
	s_set_gpr_idx_off
	s_add_i32 s17, s11, -10
	;; [unrolled: 4-line block ×4, first 2 shown]
	s_waitcnt lgkmcnt(3)
	v_fmac_f64_e32 v[90:91], v[112:113], v[96:97]
	s_set_gpr_idx_on s18, gpr_idx(SRC0)
	v_mov_b32_e32 v97, v30
	s_set_gpr_idx_off
	s_add_i32 s20, s11, -5
	v_fmac_f64_e32 v[90:91], v[114:115], v[98:99]
	s_set_gpr_idx_on s19, gpr_idx(SRC0)
	v_mov_b32_e32 v96, v30
	s_set_gpr_idx_off
	s_add_i32 s21, s11, -6
	s_waitcnt lgkmcnt(2)
	v_fmac_f64_e32 v[90:91], v[116:117], v[100:101]
	s_set_gpr_idx_on s20, gpr_idx(SRC0)
	v_mov_b32_e32 v99, v30
	s_set_gpr_idx_off
	s_add_i32 s22, s11, -3
	v_fmac_f64_e32 v[90:91], v[96:97], v[102:103]
	s_set_gpr_idx_on s21, gpr_idx(SRC0)
	v_mov_b32_e32 v98, v30
	s_set_gpr_idx_off
	s_add_i32 s23, s11, -4
	s_waitcnt lgkmcnt(1)
	v_fmac_f64_e32 v[90:91], v[98:99], v[104:105]
	s_set_gpr_idx_on s22, gpr_idx(SRC0)
	v_mov_b32_e32 v97, v30
	s_set_gpr_idx_off
	s_add_i32 s24, s11, -1
	s_set_gpr_idx_on s23, gpr_idx(SRC0)
	v_mov_b32_e32 v96, v30
	s_set_gpr_idx_off
	s_add_i32 s25, s11, -2
	v_fmac_f64_e32 v[90:91], v[96:97], v[106:107]
	s_set_gpr_idx_on s24, gpr_idx(SRC0)
	v_mov_b32_e32 v97, v30
	s_set_gpr_idx_off
	s_add_u32 s4, s4, 8
	s_set_gpr_idx_on s25, gpr_idx(SRC0)
	v_mov_b32_e32 v96, v30
	s_set_gpr_idx_off
	v_add_u32_e32 v92, s4, v94
	s_waitcnt lgkmcnt(0)
	v_fmac_f64_e32 v[90:91], v[96:97], v[108:109]
	s_set_gpr_idx_on s11, gpr_idx(SRC0)
	v_mov_b32_e32 v97, v31
	s_set_gpr_idx_off
	s_addc_u32 s5, s5, 0
	s_add_i32 s10, s10, 64
	s_add_i32 s12, s4, -7
	v_cmp_eq_u32_e32 vcc, 7, v92
	s_set_gpr_idx_on s11, gpr_idx(SRC0)
	v_mov_b32_e32 v96, v30
	s_set_gpr_idx_off
	v_mov_b32_e32 v92, s12
	s_or_b64 s[8:9], vcc, s[8:9]
	v_fmac_f64_e32 v[90:91], v[96:97], v[110:111]
	s_andn2_b64 exec, exec, s[8:9]
	s_cbranch_execnz .LBB77_73
; %bb.74:
	s_or_b64 exec, exec, s[8:9]
.LBB77_75:
	s_or_b64 exec, exec, s[0:1]
	v_and_b32_e32 v58, 7, v0
	v_cmp_ne_u32_e32 vcc, 0, v58
	s_and_saveexec_b64 s[8:9], vcc
	s_cbranch_execz .LBB77_79
; %bb.76:
	v_mov_b32_e32 v59, 0x70
	v_lshl_add_u32 v60, v92, 3, v59
	v_mov_b32_e32 v59, 0
	s_mov_b64 s[10:11], 0
.LBB77_77:                              ; =>This Inner Loop Header: Depth=1
	v_cmp_eq_u32_e32 vcc, 1, v92
	v_cndmask_b32_e32 v61, v31, v33, vcc
	v_add_u32_e32 v58, -1, v58
	v_cmp_eq_u32_e64 s[0:1], 2, v92
	v_cndmask_b32_e64 v61, v61, v35, s[0:1]
	v_cndmask_b32_e32 v96, v30, v32, vcc
	v_cmp_eq_u32_e32 vcc, 0, v58
	v_cmp_eq_u32_e64 s[4:5], 3, v92
	v_cndmask_b32_e64 v61, v61, v37, s[4:5]
	v_cndmask_b32_e64 v96, v96, v34, s[0:1]
	s_or_b64 s[10:11], vcc, s[10:11]
	v_cmp_eq_u32_e32 vcc, 4, v92
	v_cndmask_b32_e32 v61, v61, v39, vcc
	v_cndmask_b32_e64 v96, v96, v36, s[4:5]
	v_cmp_eq_u32_e64 s[0:1], 5, v92
	v_cndmask_b32_e64 v61, v61, v41, s[0:1]
	v_cndmask_b32_e32 v96, v96, v38, vcc
	v_cmp_eq_u32_e32 vcc, 6, v92
	v_cndmask_b32_e32 v61, v61, v43, vcc
	v_cndmask_b32_e64 v96, v96, v40, s[0:1]
	v_cmp_eq_u32_e64 s[0:1], 7, v92
	v_cndmask_b32_e64 v61, v61, v45, s[0:1]
	v_cndmask_b32_e32 v96, v96, v42, vcc
	;; [unrolled: 6-line block ×3, first 2 shown]
	v_cmp_eq_u32_e32 vcc, 10, v92
	ds_read_b64 v[94:95], v60
	v_cndmask_b32_e32 v61, v61, v51, vcc
	v_cndmask_b32_e64 v96, v96, v48, s[0:1]
	v_cmp_eq_u32_e64 s[0:1], 11, v92
	v_cndmask_b32_e64 v61, v61, v53, s[0:1]
	v_cndmask_b32_e32 v96, v96, v50, vcc
	v_cmp_eq_u32_e32 vcc, 12, v92
	v_cndmask_b32_e32 v61, v61, v55, vcc
	v_cmp_eq_u32_e64 s[4:5], 13, v92
	v_cndmask_b32_e64 v96, v96, v52, s[0:1]
	v_cndmask_b32_e64 v97, v61, v57, s[4:5]
	v_cndmask_b32_e32 v61, v96, v54, vcc
	v_add_co_u32_e64 v92, s[0:1], 1, v92
	v_cndmask_b32_e64 v96, v61, v56, s[4:5]
	v_add_u32_e32 v60, 8, v60
	v_addc_co_u32_e64 v59, s[0:1], 0, v59, s[0:1]
	s_waitcnt lgkmcnt(0)
	v_fmac_f64_e32 v[90:91], v[96:97], v[94:95]
	s_andn2_b64 exec, exec, s[10:11]
	s_cbranch_execnz .LBB77_77
; %bb.78:
	s_or_b64 exec, exec, s[10:11]
.LBB77_79:
	s_or_b64 exec, exec, s[8:9]
.LBB77_80:
	s_or_b64 exec, exec, s[6:7]
	v_mov_b32_e32 v44, 0
	ds_read_b64 v[44:45], v44 offset:56
	s_waitcnt lgkmcnt(0)
	v_mul_f64 v[44:45], v[90:91], v[44:45]
.LBB77_81:
	s_or_b64 exec, exec, s[28:29]
	v_cmp_lt_u32_e64 s[0:1], 6, v0
	ds_write_b64 v93, v[42:43]
	s_waitcnt lgkmcnt(0)
	; wave barrier
	s_waitcnt lgkmcnt(0)
	s_and_saveexec_b64 s[28:29], s[0:1]
	s_cbranch_execz .LBB77_97
; %bb.82:
	s_andn2_b64 vcc, exec, s[30:31]
	s_cbranch_vccnz .LBB77_84
; %bb.83:
	v_cmp_eq_u32_e32 vcc, 1, v0
	v_cndmask_b32_e32 v90, v31, v33, vcc
	v_cmp_eq_u32_e64 s[4:5], 2, v0
	v_cndmask_b32_e64 v90, v90, v35, s[4:5]
	v_cmp_eq_u32_e64 s[6:7], 3, v0
	v_cndmask_b32_e64 v90, v90, v37, s[6:7]
	;; [unrolled: 2-line block ×12, first 2 shown]
	v_cndmask_b32_e32 v90, v30, v32, vcc
	v_cndmask_b32_e64 v90, v90, v34, s[4:5]
	v_cndmask_b32_e64 v90, v90, v36, s[6:7]
	v_cndmask_b32_e64 v90, v90, v38, s[8:9]
	v_cndmask_b32_e64 v90, v90, v40, s[10:11]
	v_cndmask_b32_e64 v90, v90, v42, s[12:13]
	v_cndmask_b32_e64 v90, v90, v44, s[14:15]
	v_cndmask_b32_e64 v90, v90, v46, s[16:17]
	v_cndmask_b32_e64 v90, v90, v48, s[18:19]
	ds_read_b64 v[94:95], v93
	v_cndmask_b32_e64 v90, v90, v50, s[20:21]
	v_cndmask_b32_e64 v90, v90, v52, s[22:23]
	;; [unrolled: 1-line block ×4, first 2 shown]
	s_waitcnt lgkmcnt(0)
	v_mul_f64 v[90:91], v[90:91], v[94:95]
	s_cbranch_execz .LBB77_85
	s_branch .LBB77_86
.LBB77_84:
                                        ; implicit-def: $vgpr90_vgpr91
.LBB77_85:
	ds_read_b64 v[90:91], v93
.LBB77_86:
	s_and_saveexec_b64 s[6:7], s[2:3]
	s_cbranch_execz .LBB77_96
; %bb.87:
	v_add_u32_e32 v92, -8, v0
	v_add_u32_e32 v95, -7, v0
	v_cmp_lt_u32_e32 vcc, 6, v92
	v_mov_b32_e32 v92, 7
	s_and_saveexec_b64 s[2:3], vcc
	s_cbranch_execz .LBB77_91
; %bb.88:
	v_and_b32_e32 v92, -8, v95
	v_sub_u32_e32 v94, 0, v92
	s_mov_b64 s[4:5], 14
	s_movk_i32 s10, 0xa8
	s_mov_b64 s[8:9], 0
.LBB77_89:                              ; =>This Inner Loop Header: Depth=1
	s_lshl_b32 s11, s4, 1
	s_add_i32 s12, s11, -13
	v_mov_b32_e32 v110, s10
	s_add_i32 s13, s11, -14
	s_set_gpr_idx_on s12, gpr_idx(SRC0)
	v_mov_b32_e32 v105, v30
	s_set_gpr_idx_off
	s_add_i32 s14, s11, -11
	s_set_gpr_idx_on s13, gpr_idx(SRC0)
	v_mov_b32_e32 v104, v30
	s_set_gpr_idx_off
	ds_read2_b64 v[96:99], v110 offset1:1
	s_add_i32 s15, s11, -12
	s_set_gpr_idx_on s14, gpr_idx(SRC0)
	v_mov_b32_e32 v107, v30
	s_set_gpr_idx_off
	s_add_i32 s16, s11, -9
	s_set_gpr_idx_on s15, gpr_idx(SRC0)
	v_mov_b32_e32 v106, v30
	s_set_gpr_idx_off
	;; [unrolled: 4-line block ×4, first 2 shown]
	ds_read2_b64 v[100:103], v110 offset0:2 offset1:3
	s_add_i32 s19, s11, -8
	s_waitcnt lgkmcnt(1)
	v_fmac_f64_e32 v[90:91], v[104:105], v[96:97]
	s_set_gpr_idx_on s18, gpr_idx(SRC0)
	v_mov_b32_e32 v105, v30
	s_set_gpr_idx_off
	s_add_i32 s20, s11, -5
	v_fmac_f64_e32 v[90:91], v[106:107], v[98:99]
	s_set_gpr_idx_on s19, gpr_idx(SRC0)
	v_mov_b32_e32 v104, v30
	s_set_gpr_idx_off
	s_add_i32 s21, s11, -6
	s_set_gpr_idx_on s20, gpr_idx(SRC0)
	v_mov_b32_e32 v107, v30
	s_set_gpr_idx_off
	s_add_i32 s22, s11, -3
	;; [unrolled: 4-line block ×3, first 2 shown]
	ds_read2_b64 v[96:99], v110 offset0:4 offset1:5
	s_waitcnt lgkmcnt(1)
	v_fmac_f64_e32 v[90:91], v[108:109], v[100:101]
	s_set_gpr_idx_on s22, gpr_idx(SRC0)
	v_mov_b32_e32 v109, v30
	s_set_gpr_idx_off
	s_add_i32 s24, s11, -1
	v_fmac_f64_e32 v[90:91], v[104:105], v[102:103]
	s_set_gpr_idx_on s23, gpr_idx(SRC0)
	v_mov_b32_e32 v108, v30
	s_set_gpr_idx_off
	s_add_i32 s25, s11, -2
	s_set_gpr_idx_on s24, gpr_idx(SRC0)
	v_mov_b32_e32 v105, v30
	s_set_gpr_idx_off
	s_set_gpr_idx_on s25, gpr_idx(SRC0)
	v_mov_b32_e32 v104, v30
	s_set_gpr_idx_off
	ds_read2_b64 v[100:103], v110 offset0:6 offset1:7
	s_add_u32 s4, s4, 8
	s_waitcnt lgkmcnt(1)
	v_fmac_f64_e32 v[90:91], v[106:107], v[96:97]
	s_set_gpr_idx_on s11, gpr_idx(SRC0)
	v_mov_b32_e32 v97, v31
	s_set_gpr_idx_off
	v_add_u32_e32 v92, s4, v94
	v_fmac_f64_e32 v[90:91], v[108:109], v[98:99]
	s_set_gpr_idx_on s11, gpr_idx(SRC0)
	v_mov_b32_e32 v96, v30
	s_set_gpr_idx_off
	s_addc_u32 s5, s5, 0
	s_add_i32 s10, s10, 64
	s_add_i32 s12, s4, -7
	v_cmp_eq_u32_e32 vcc, 14, v92
	s_waitcnt lgkmcnt(0)
	v_fmac_f64_e32 v[90:91], v[104:105], v[100:101]
	v_mov_b32_e32 v92, s12
	s_or_b64 s[8:9], vcc, s[8:9]
	v_fmac_f64_e32 v[90:91], v[96:97], v[102:103]
	s_andn2_b64 exec, exec, s[8:9]
	s_cbranch_execnz .LBB77_89
; %bb.90:
	s_or_b64 exec, exec, s[8:9]
.LBB77_91:
	s_or_b64 exec, exec, s[2:3]
	v_and_b32_e32 v58, 7, v95
	v_cmp_ne_u32_e32 vcc, 0, v58
	s_and_saveexec_b64 s[8:9], vcc
	s_cbranch_execz .LBB77_95
; %bb.92:
	v_mov_b32_e32 v59, 0x70
	v_lshl_add_u32 v60, v92, 3, v59
	v_mov_b32_e32 v59, 0
	s_mov_b64 s[10:11], 0
.LBB77_93:                              ; =>This Inner Loop Header: Depth=1
	v_cmp_eq_u32_e32 vcc, 1, v92
	v_cndmask_b32_e32 v61, v31, v33, vcc
	v_add_u32_e32 v58, -1, v58
	v_cmp_eq_u32_e64 s[2:3], 2, v92
	v_cndmask_b32_e64 v61, v61, v35, s[2:3]
	v_cndmask_b32_e32 v96, v30, v32, vcc
	v_cmp_eq_u32_e32 vcc, 0, v58
	v_cmp_eq_u32_e64 s[4:5], 3, v92
	v_cndmask_b32_e64 v61, v61, v37, s[4:5]
	v_cndmask_b32_e64 v96, v96, v34, s[2:3]
	s_or_b64 s[10:11], vcc, s[10:11]
	v_cmp_eq_u32_e32 vcc, 4, v92
	v_cndmask_b32_e32 v61, v61, v39, vcc
	v_cndmask_b32_e64 v96, v96, v36, s[4:5]
	v_cmp_eq_u32_e64 s[2:3], 5, v92
	v_cndmask_b32_e64 v61, v61, v41, s[2:3]
	v_cndmask_b32_e32 v96, v96, v38, vcc
	v_cmp_eq_u32_e32 vcc, 6, v92
	v_cndmask_b32_e32 v61, v61, v43, vcc
	v_cndmask_b32_e64 v96, v96, v40, s[2:3]
	v_cmp_eq_u32_e64 s[2:3], 7, v92
	v_cndmask_b32_e64 v61, v61, v45, s[2:3]
	v_cndmask_b32_e32 v96, v96, v42, vcc
	;; [unrolled: 6-line block ×3, first 2 shown]
	v_cmp_eq_u32_e32 vcc, 10, v92
	ds_read_b64 v[94:95], v60
	v_cndmask_b32_e32 v61, v61, v51, vcc
	v_cndmask_b32_e64 v96, v96, v48, s[2:3]
	v_cmp_eq_u32_e64 s[2:3], 11, v92
	v_cndmask_b32_e64 v61, v61, v53, s[2:3]
	v_cndmask_b32_e32 v96, v96, v50, vcc
	v_cmp_eq_u32_e32 vcc, 12, v92
	v_cndmask_b32_e32 v61, v61, v55, vcc
	v_cmp_eq_u32_e64 s[4:5], 13, v92
	v_cndmask_b32_e64 v96, v96, v52, s[2:3]
	v_cndmask_b32_e64 v97, v61, v57, s[4:5]
	v_cndmask_b32_e32 v61, v96, v54, vcc
	v_add_co_u32_e64 v92, s[2:3], 1, v92
	v_cndmask_b32_e64 v96, v61, v56, s[4:5]
	v_add_u32_e32 v60, 8, v60
	v_addc_co_u32_e64 v59, s[2:3], 0, v59, s[2:3]
	s_waitcnt lgkmcnt(0)
	v_fmac_f64_e32 v[90:91], v[96:97], v[94:95]
	s_andn2_b64 exec, exec, s[10:11]
	s_cbranch_execnz .LBB77_93
; %bb.94:
	s_or_b64 exec, exec, s[10:11]
.LBB77_95:
	s_or_b64 exec, exec, s[8:9]
.LBB77_96:
	s_or_b64 exec, exec, s[6:7]
	v_mov_b32_e32 v42, 0
	ds_read_b64 v[42:43], v42 offset:48
	s_waitcnt lgkmcnt(0)
	v_mul_f64 v[42:43], v[90:91], v[42:43]
.LBB77_97:
	s_or_b64 exec, exec, s[28:29]
	v_cmp_lt_u32_e64 s[2:3], 5, v0
	ds_write_b64 v93, v[40:41]
	s_waitcnt lgkmcnt(0)
	; wave barrier
	s_waitcnt lgkmcnt(0)
	s_and_saveexec_b64 s[28:29], s[2:3]
	s_cbranch_execz .LBB77_113
; %bb.98:
	s_andn2_b64 vcc, exec, s[30:31]
	s_cbranch_vccnz .LBB77_100
; %bb.99:
	v_cmp_eq_u32_e32 vcc, 1, v0
	v_cndmask_b32_e32 v90, v31, v33, vcc
	v_cmp_eq_u32_e64 s[4:5], 2, v0
	v_cndmask_b32_e64 v90, v90, v35, s[4:5]
	v_cmp_eq_u32_e64 s[6:7], 3, v0
	v_cndmask_b32_e64 v90, v90, v37, s[6:7]
	;; [unrolled: 2-line block ×12, first 2 shown]
	v_cndmask_b32_e32 v90, v30, v32, vcc
	v_cndmask_b32_e64 v90, v90, v34, s[4:5]
	v_cndmask_b32_e64 v90, v90, v36, s[6:7]
	;; [unrolled: 1-line block ×8, first 2 shown]
	ds_read_b64 v[94:95], v93
	v_cndmask_b32_e64 v90, v90, v50, s[20:21]
	v_cndmask_b32_e64 v90, v90, v52, s[22:23]
	;; [unrolled: 1-line block ×4, first 2 shown]
	s_waitcnt lgkmcnt(0)
	v_mul_f64 v[90:91], v[90:91], v[94:95]
	s_cbranch_execz .LBB77_101
	s_branch .LBB77_102
.LBB77_100:
                                        ; implicit-def: $vgpr90_vgpr91
.LBB77_101:
	ds_read_b64 v[90:91], v93
.LBB77_102:
	s_and_saveexec_b64 s[6:7], s[0:1]
	s_cbranch_execz .LBB77_112
; %bb.103:
	v_add_u32_e32 v92, -7, v0
	v_add_u32_e32 v95, -6, v0
	v_cmp_lt_u32_e32 vcc, 6, v92
	v_mov_b32_e32 v92, 6
	s_and_saveexec_b64 s[0:1], vcc
	s_cbranch_execz .LBB77_107
; %bb.104:
	v_and_b32_e32 v92, -8, v95
	v_sub_u32_e32 v94, 0, v92
	s_mov_b64 s[4:5], 13
	s_movk_i32 s10, 0xa0
	s_mov_b64 s[8:9], 0
.LBB77_105:                             ; =>This Inner Loop Header: Depth=1
	s_lshl_b32 s11, s4, 1
	s_add_i32 s12, s11, -13
	s_add_i32 s13, s11, -14
	s_set_gpr_idx_on s12, gpr_idx(SRC0)
	v_mov_b32_e32 v113, v30
	s_set_gpr_idx_off
	v_mov_b32_e32 v92, s10
	s_add_i32 s14, s11, -11
	s_set_gpr_idx_on s13, gpr_idx(SRC0)
	v_mov_b32_e32 v112, v30
	s_set_gpr_idx_off
	s_add_i32 s15, s11, -12
	ds_read_b128 v[96:99], v92
	ds_read_b128 v[100:103], v92 offset:16
	ds_read_b128 v[104:107], v92 offset:32
	;; [unrolled: 1-line block ×3, first 2 shown]
	s_set_gpr_idx_on s14, gpr_idx(SRC0)
	v_mov_b32_e32 v115, v30
	s_set_gpr_idx_off
	s_add_i32 s16, s11, -9
	s_set_gpr_idx_on s15, gpr_idx(SRC0)
	v_mov_b32_e32 v114, v30
	s_set_gpr_idx_off
	s_add_i32 s17, s11, -10
	;; [unrolled: 4-line block ×4, first 2 shown]
	s_waitcnt lgkmcnt(3)
	v_fmac_f64_e32 v[90:91], v[112:113], v[96:97]
	s_set_gpr_idx_on s18, gpr_idx(SRC0)
	v_mov_b32_e32 v97, v30
	s_set_gpr_idx_off
	s_add_i32 s20, s11, -5
	v_fmac_f64_e32 v[90:91], v[114:115], v[98:99]
	s_set_gpr_idx_on s19, gpr_idx(SRC0)
	v_mov_b32_e32 v96, v30
	s_set_gpr_idx_off
	s_add_i32 s21, s11, -6
	s_waitcnt lgkmcnt(2)
	v_fmac_f64_e32 v[90:91], v[116:117], v[100:101]
	s_set_gpr_idx_on s20, gpr_idx(SRC0)
	v_mov_b32_e32 v99, v30
	s_set_gpr_idx_off
	s_add_i32 s22, s11, -3
	v_fmac_f64_e32 v[90:91], v[96:97], v[102:103]
	s_set_gpr_idx_on s21, gpr_idx(SRC0)
	v_mov_b32_e32 v98, v30
	s_set_gpr_idx_off
	s_add_i32 s23, s11, -4
	s_waitcnt lgkmcnt(1)
	v_fmac_f64_e32 v[90:91], v[98:99], v[104:105]
	s_set_gpr_idx_on s22, gpr_idx(SRC0)
	v_mov_b32_e32 v97, v30
	s_set_gpr_idx_off
	s_add_i32 s24, s11, -1
	s_set_gpr_idx_on s23, gpr_idx(SRC0)
	v_mov_b32_e32 v96, v30
	s_set_gpr_idx_off
	s_add_i32 s25, s11, -2
	v_fmac_f64_e32 v[90:91], v[96:97], v[106:107]
	s_set_gpr_idx_on s24, gpr_idx(SRC0)
	v_mov_b32_e32 v97, v30
	s_set_gpr_idx_off
	s_add_u32 s4, s4, 8
	s_set_gpr_idx_on s25, gpr_idx(SRC0)
	v_mov_b32_e32 v96, v30
	s_set_gpr_idx_off
	v_add_u32_e32 v92, s4, v94
	s_waitcnt lgkmcnt(0)
	v_fmac_f64_e32 v[90:91], v[96:97], v[108:109]
	s_set_gpr_idx_on s11, gpr_idx(SRC0)
	v_mov_b32_e32 v97, v31
	s_set_gpr_idx_off
	s_addc_u32 s5, s5, 0
	s_add_i32 s10, s10, 64
	s_add_i32 s12, s4, -7
	v_cmp_eq_u32_e32 vcc, 13, v92
	s_set_gpr_idx_on s11, gpr_idx(SRC0)
	v_mov_b32_e32 v96, v30
	s_set_gpr_idx_off
	v_mov_b32_e32 v92, s12
	s_or_b64 s[8:9], vcc, s[8:9]
	v_fmac_f64_e32 v[90:91], v[96:97], v[110:111]
	s_andn2_b64 exec, exec, s[8:9]
	s_cbranch_execnz .LBB77_105
; %bb.106:
	s_or_b64 exec, exec, s[8:9]
.LBB77_107:
	s_or_b64 exec, exec, s[0:1]
	v_and_b32_e32 v58, 7, v95
	v_cmp_ne_u32_e32 vcc, 0, v58
	s_and_saveexec_b64 s[8:9], vcc
	s_cbranch_execz .LBB77_111
; %bb.108:
	v_mov_b32_e32 v59, 0x70
	v_lshl_add_u32 v60, v92, 3, v59
	v_mov_b32_e32 v59, 0
	s_mov_b64 s[10:11], 0
.LBB77_109:                             ; =>This Inner Loop Header: Depth=1
	v_cmp_eq_u32_e32 vcc, 1, v92
	v_cndmask_b32_e32 v61, v31, v33, vcc
	v_add_u32_e32 v58, -1, v58
	v_cmp_eq_u32_e64 s[0:1], 2, v92
	v_cndmask_b32_e64 v61, v61, v35, s[0:1]
	v_cndmask_b32_e32 v96, v30, v32, vcc
	v_cmp_eq_u32_e32 vcc, 0, v58
	v_cmp_eq_u32_e64 s[4:5], 3, v92
	v_cndmask_b32_e64 v61, v61, v37, s[4:5]
	v_cndmask_b32_e64 v96, v96, v34, s[0:1]
	s_or_b64 s[10:11], vcc, s[10:11]
	v_cmp_eq_u32_e32 vcc, 4, v92
	v_cndmask_b32_e32 v61, v61, v39, vcc
	v_cndmask_b32_e64 v96, v96, v36, s[4:5]
	v_cmp_eq_u32_e64 s[0:1], 5, v92
	v_cndmask_b32_e64 v61, v61, v41, s[0:1]
	v_cndmask_b32_e32 v96, v96, v38, vcc
	v_cmp_eq_u32_e32 vcc, 6, v92
	v_cndmask_b32_e32 v61, v61, v43, vcc
	v_cndmask_b32_e64 v96, v96, v40, s[0:1]
	v_cmp_eq_u32_e64 s[0:1], 7, v92
	v_cndmask_b32_e64 v61, v61, v45, s[0:1]
	v_cndmask_b32_e32 v96, v96, v42, vcc
	;; [unrolled: 6-line block ×3, first 2 shown]
	v_cmp_eq_u32_e32 vcc, 10, v92
	ds_read_b64 v[94:95], v60
	v_cndmask_b32_e32 v61, v61, v51, vcc
	v_cndmask_b32_e64 v96, v96, v48, s[0:1]
	v_cmp_eq_u32_e64 s[0:1], 11, v92
	v_cndmask_b32_e64 v61, v61, v53, s[0:1]
	v_cndmask_b32_e32 v96, v96, v50, vcc
	v_cmp_eq_u32_e32 vcc, 12, v92
	v_cndmask_b32_e32 v61, v61, v55, vcc
	v_cmp_eq_u32_e64 s[4:5], 13, v92
	v_cndmask_b32_e64 v96, v96, v52, s[0:1]
	v_cndmask_b32_e64 v97, v61, v57, s[4:5]
	v_cndmask_b32_e32 v61, v96, v54, vcc
	v_add_co_u32_e64 v92, s[0:1], 1, v92
	v_cndmask_b32_e64 v96, v61, v56, s[4:5]
	v_add_u32_e32 v60, 8, v60
	v_addc_co_u32_e64 v59, s[0:1], 0, v59, s[0:1]
	s_waitcnt lgkmcnt(0)
	v_fmac_f64_e32 v[90:91], v[96:97], v[94:95]
	s_andn2_b64 exec, exec, s[10:11]
	s_cbranch_execnz .LBB77_109
; %bb.110:
	s_or_b64 exec, exec, s[10:11]
.LBB77_111:
	s_or_b64 exec, exec, s[8:9]
.LBB77_112:
	s_or_b64 exec, exec, s[6:7]
	v_mov_b32_e32 v40, 0
	ds_read_b64 v[40:41], v40 offset:40
	s_waitcnt lgkmcnt(0)
	v_mul_f64 v[40:41], v[90:91], v[40:41]
.LBB77_113:
	s_or_b64 exec, exec, s[28:29]
	v_cmp_lt_u32_e64 s[0:1], 4, v0
	ds_write_b64 v93, v[38:39]
	s_waitcnt lgkmcnt(0)
	; wave barrier
	s_waitcnt lgkmcnt(0)
	s_and_saveexec_b64 s[28:29], s[0:1]
	s_cbranch_execz .LBB77_129
; %bb.114:
	s_andn2_b64 vcc, exec, s[30:31]
	s_cbranch_vccnz .LBB77_116
; %bb.115:
	v_cmp_eq_u32_e32 vcc, 1, v0
	v_cndmask_b32_e32 v90, v31, v33, vcc
	v_cmp_eq_u32_e64 s[4:5], 2, v0
	v_cndmask_b32_e64 v90, v90, v35, s[4:5]
	v_cmp_eq_u32_e64 s[6:7], 3, v0
	v_cndmask_b32_e64 v90, v90, v37, s[6:7]
	;; [unrolled: 2-line block ×12, first 2 shown]
	v_cndmask_b32_e32 v90, v30, v32, vcc
	v_cndmask_b32_e64 v90, v90, v34, s[4:5]
	v_cndmask_b32_e64 v90, v90, v36, s[6:7]
	;; [unrolled: 1-line block ×8, first 2 shown]
	ds_read_b64 v[94:95], v93
	v_cndmask_b32_e64 v90, v90, v50, s[20:21]
	v_cndmask_b32_e64 v90, v90, v52, s[22:23]
	;; [unrolled: 1-line block ×4, first 2 shown]
	s_waitcnt lgkmcnt(0)
	v_mul_f64 v[90:91], v[90:91], v[94:95]
	s_cbranch_execz .LBB77_117
	s_branch .LBB77_118
.LBB77_116:
                                        ; implicit-def: $vgpr90_vgpr91
.LBB77_117:
	ds_read_b64 v[90:91], v93
.LBB77_118:
	s_and_saveexec_b64 s[6:7], s[2:3]
	s_cbranch_execz .LBB77_128
; %bb.119:
	v_add_u32_e32 v92, -6, v0
	v_add_u32_e32 v95, -5, v0
	v_cmp_lt_u32_e32 vcc, 6, v92
	v_mov_b32_e32 v92, 5
	s_and_saveexec_b64 s[2:3], vcc
	s_cbranch_execz .LBB77_123
; %bb.120:
	v_and_b32_e32 v92, -8, v95
	v_sub_u32_e32 v94, 0, v92
	s_mov_b64 s[4:5], 12
	s_movk_i32 s10, 0x98
	s_mov_b64 s[8:9], 0
.LBB77_121:                             ; =>This Inner Loop Header: Depth=1
	s_lshl_b32 s11, s4, 1
	s_add_i32 s12, s11, -13
	v_mov_b32_e32 v110, s10
	s_add_i32 s13, s11, -14
	s_set_gpr_idx_on s12, gpr_idx(SRC0)
	v_mov_b32_e32 v105, v30
	s_set_gpr_idx_off
	s_add_i32 s14, s11, -11
	s_set_gpr_idx_on s13, gpr_idx(SRC0)
	v_mov_b32_e32 v104, v30
	s_set_gpr_idx_off
	ds_read2_b64 v[96:99], v110 offset1:1
	s_add_i32 s15, s11, -12
	s_set_gpr_idx_on s14, gpr_idx(SRC0)
	v_mov_b32_e32 v107, v30
	s_set_gpr_idx_off
	s_add_i32 s16, s11, -9
	s_set_gpr_idx_on s15, gpr_idx(SRC0)
	v_mov_b32_e32 v106, v30
	s_set_gpr_idx_off
	;; [unrolled: 4-line block ×4, first 2 shown]
	ds_read2_b64 v[100:103], v110 offset0:2 offset1:3
	s_add_i32 s19, s11, -8
	s_waitcnt lgkmcnt(1)
	v_fmac_f64_e32 v[90:91], v[104:105], v[96:97]
	s_set_gpr_idx_on s18, gpr_idx(SRC0)
	v_mov_b32_e32 v105, v30
	s_set_gpr_idx_off
	s_add_i32 s20, s11, -5
	v_fmac_f64_e32 v[90:91], v[106:107], v[98:99]
	s_set_gpr_idx_on s19, gpr_idx(SRC0)
	v_mov_b32_e32 v104, v30
	s_set_gpr_idx_off
	s_add_i32 s21, s11, -6
	s_set_gpr_idx_on s20, gpr_idx(SRC0)
	v_mov_b32_e32 v107, v30
	s_set_gpr_idx_off
	s_add_i32 s22, s11, -3
	;; [unrolled: 4-line block ×3, first 2 shown]
	ds_read2_b64 v[96:99], v110 offset0:4 offset1:5
	s_waitcnt lgkmcnt(1)
	v_fmac_f64_e32 v[90:91], v[108:109], v[100:101]
	s_set_gpr_idx_on s22, gpr_idx(SRC0)
	v_mov_b32_e32 v109, v30
	s_set_gpr_idx_off
	s_add_i32 s24, s11, -1
	v_fmac_f64_e32 v[90:91], v[104:105], v[102:103]
	s_set_gpr_idx_on s23, gpr_idx(SRC0)
	v_mov_b32_e32 v108, v30
	s_set_gpr_idx_off
	s_add_i32 s25, s11, -2
	s_set_gpr_idx_on s24, gpr_idx(SRC0)
	v_mov_b32_e32 v105, v30
	s_set_gpr_idx_off
	s_set_gpr_idx_on s25, gpr_idx(SRC0)
	v_mov_b32_e32 v104, v30
	s_set_gpr_idx_off
	ds_read2_b64 v[100:103], v110 offset0:6 offset1:7
	s_add_u32 s4, s4, 8
	s_waitcnt lgkmcnt(1)
	v_fmac_f64_e32 v[90:91], v[106:107], v[96:97]
	s_set_gpr_idx_on s11, gpr_idx(SRC0)
	v_mov_b32_e32 v97, v31
	s_set_gpr_idx_off
	v_add_u32_e32 v92, s4, v94
	v_fmac_f64_e32 v[90:91], v[108:109], v[98:99]
	s_set_gpr_idx_on s11, gpr_idx(SRC0)
	v_mov_b32_e32 v96, v30
	s_set_gpr_idx_off
	s_addc_u32 s5, s5, 0
	s_add_i32 s10, s10, 64
	s_add_i32 s12, s4, -7
	v_cmp_eq_u32_e32 vcc, 12, v92
	s_waitcnt lgkmcnt(0)
	v_fmac_f64_e32 v[90:91], v[104:105], v[100:101]
	v_mov_b32_e32 v92, s12
	s_or_b64 s[8:9], vcc, s[8:9]
	v_fmac_f64_e32 v[90:91], v[96:97], v[102:103]
	s_andn2_b64 exec, exec, s[8:9]
	s_cbranch_execnz .LBB77_121
; %bb.122:
	s_or_b64 exec, exec, s[8:9]
.LBB77_123:
	s_or_b64 exec, exec, s[2:3]
	v_and_b32_e32 v58, 7, v95
	v_cmp_ne_u32_e32 vcc, 0, v58
	s_and_saveexec_b64 s[8:9], vcc
	s_cbranch_execz .LBB77_127
; %bb.124:
	v_mov_b32_e32 v59, 0x70
	v_lshl_add_u32 v60, v92, 3, v59
	v_mov_b32_e32 v59, 0
	s_mov_b64 s[10:11], 0
.LBB77_125:                             ; =>This Inner Loop Header: Depth=1
	v_cmp_eq_u32_e32 vcc, 1, v92
	v_cndmask_b32_e32 v61, v31, v33, vcc
	v_add_u32_e32 v58, -1, v58
	v_cmp_eq_u32_e64 s[2:3], 2, v92
	v_cndmask_b32_e64 v61, v61, v35, s[2:3]
	v_cndmask_b32_e32 v96, v30, v32, vcc
	v_cmp_eq_u32_e32 vcc, 0, v58
	v_cmp_eq_u32_e64 s[4:5], 3, v92
	v_cndmask_b32_e64 v61, v61, v37, s[4:5]
	v_cndmask_b32_e64 v96, v96, v34, s[2:3]
	s_or_b64 s[10:11], vcc, s[10:11]
	v_cmp_eq_u32_e32 vcc, 4, v92
	v_cndmask_b32_e32 v61, v61, v39, vcc
	v_cndmask_b32_e64 v96, v96, v36, s[4:5]
	v_cmp_eq_u32_e64 s[2:3], 5, v92
	v_cndmask_b32_e64 v61, v61, v41, s[2:3]
	v_cndmask_b32_e32 v96, v96, v38, vcc
	v_cmp_eq_u32_e32 vcc, 6, v92
	v_cndmask_b32_e32 v61, v61, v43, vcc
	v_cndmask_b32_e64 v96, v96, v40, s[2:3]
	v_cmp_eq_u32_e64 s[2:3], 7, v92
	v_cndmask_b32_e64 v61, v61, v45, s[2:3]
	v_cndmask_b32_e32 v96, v96, v42, vcc
	;; [unrolled: 6-line block ×3, first 2 shown]
	v_cmp_eq_u32_e32 vcc, 10, v92
	ds_read_b64 v[94:95], v60
	v_cndmask_b32_e32 v61, v61, v51, vcc
	v_cndmask_b32_e64 v96, v96, v48, s[2:3]
	v_cmp_eq_u32_e64 s[2:3], 11, v92
	v_cndmask_b32_e64 v61, v61, v53, s[2:3]
	v_cndmask_b32_e32 v96, v96, v50, vcc
	v_cmp_eq_u32_e32 vcc, 12, v92
	v_cndmask_b32_e32 v61, v61, v55, vcc
	v_cmp_eq_u32_e64 s[4:5], 13, v92
	v_cndmask_b32_e64 v96, v96, v52, s[2:3]
	v_cndmask_b32_e64 v97, v61, v57, s[4:5]
	v_cndmask_b32_e32 v61, v96, v54, vcc
	v_add_co_u32_e64 v92, s[2:3], 1, v92
	v_cndmask_b32_e64 v96, v61, v56, s[4:5]
	v_add_u32_e32 v60, 8, v60
	v_addc_co_u32_e64 v59, s[2:3], 0, v59, s[2:3]
	s_waitcnt lgkmcnt(0)
	v_fmac_f64_e32 v[90:91], v[96:97], v[94:95]
	s_andn2_b64 exec, exec, s[10:11]
	s_cbranch_execnz .LBB77_125
; %bb.126:
	s_or_b64 exec, exec, s[10:11]
.LBB77_127:
	s_or_b64 exec, exec, s[8:9]
.LBB77_128:
	s_or_b64 exec, exec, s[6:7]
	v_mov_b32_e32 v38, 0
	ds_read_b64 v[38:39], v38 offset:32
	s_waitcnt lgkmcnt(0)
	v_mul_f64 v[38:39], v[90:91], v[38:39]
.LBB77_129:
	s_or_b64 exec, exec, s[28:29]
	v_cmp_lt_u32_e64 s[2:3], 3, v0
	ds_write_b64 v93, v[36:37]
	s_waitcnt lgkmcnt(0)
	; wave barrier
	s_waitcnt lgkmcnt(0)
	s_and_saveexec_b64 s[28:29], s[2:3]
	s_cbranch_execz .LBB77_145
; %bb.130:
	s_andn2_b64 vcc, exec, s[30:31]
	s_cbranch_vccnz .LBB77_132
; %bb.131:
	v_cmp_eq_u32_e32 vcc, 1, v0
	v_cndmask_b32_e32 v90, v31, v33, vcc
	v_cmp_eq_u32_e64 s[4:5], 2, v0
	v_cndmask_b32_e64 v90, v90, v35, s[4:5]
	v_cmp_eq_u32_e64 s[6:7], 3, v0
	v_cndmask_b32_e64 v90, v90, v37, s[6:7]
	;; [unrolled: 2-line block ×12, first 2 shown]
	v_cndmask_b32_e32 v90, v30, v32, vcc
	v_cndmask_b32_e64 v90, v90, v34, s[4:5]
	v_cndmask_b32_e64 v90, v90, v36, s[6:7]
	;; [unrolled: 1-line block ×8, first 2 shown]
	ds_read_b64 v[94:95], v93
	v_cndmask_b32_e64 v90, v90, v50, s[20:21]
	v_cndmask_b32_e64 v90, v90, v52, s[22:23]
	;; [unrolled: 1-line block ×4, first 2 shown]
	s_waitcnt lgkmcnt(0)
	v_mul_f64 v[90:91], v[90:91], v[94:95]
	s_cbranch_execz .LBB77_133
	s_branch .LBB77_134
.LBB77_132:
                                        ; implicit-def: $vgpr90_vgpr91
.LBB77_133:
	ds_read_b64 v[90:91], v93
.LBB77_134:
	s_and_saveexec_b64 s[6:7], s[0:1]
	s_cbranch_execz .LBB77_144
; %bb.135:
	v_add_u32_e32 v92, -5, v0
	v_add_u32_e32 v95, -4, v0
	v_cmp_lt_u32_e32 vcc, 6, v92
	v_mov_b32_e32 v92, 4
	s_and_saveexec_b64 s[0:1], vcc
	s_cbranch_execz .LBB77_139
; %bb.136:
	v_and_b32_e32 v92, -8, v95
	v_sub_u32_e32 v94, 0, v92
	s_mov_b64 s[4:5], 5
	s_movk_i32 s10, 0x90
	s_mov_b64 s[8:9], 0
.LBB77_137:                             ; =>This Inner Loop Header: Depth=1
	s_lshl_b32 s11, s4, 1
	s_add_i32 s12, s11, -1
	s_add_i32 s13, s11, -2
	s_set_gpr_idx_on s12, gpr_idx(SRC0)
	v_mov_b32_e32 v113, v30
	s_set_gpr_idx_off
	v_mov_b32_e32 v92, s10
	s_set_gpr_idx_on s13, gpr_idx(SRC0)
	v_mov_b32_e32 v112, v30
	s_set_gpr_idx_off
	ds_read_b128 v[96:99], v92
	ds_read_b128 v[100:103], v92 offset:16
	ds_read_b128 v[104:107], v92 offset:32
	ds_read_b128 v[108:111], v92 offset:48
	s_set_gpr_idx_on s11, gpr_idx(SRC0)
	v_mov_b32_e32 v115, v31
	s_add_i32 s14, s11, 3
	v_mov_b32_e32 v114, v30
	s_set_gpr_idx_off
	s_add_i32 s15, s11, 2
	s_set_gpr_idx_on s14, gpr_idx(SRC0)
	v_mov_b32_e32 v117, v30
	s_set_gpr_idx_off
	s_add_i32 s16, s11, 5
	s_set_gpr_idx_on s15, gpr_idx(SRC0)
	v_mov_b32_e32 v116, v30
	s_set_gpr_idx_off
	s_add_i32 s17, s11, 4
	s_waitcnt lgkmcnt(3)
	v_fmac_f64_e32 v[90:91], v[112:113], v[96:97]
	s_set_gpr_idx_on s16, gpr_idx(SRC0)
	v_mov_b32_e32 v97, v30
	s_set_gpr_idx_off
	s_add_i32 s18, s11, 7
	v_fmac_f64_e32 v[90:91], v[114:115], v[98:99]
	s_set_gpr_idx_on s17, gpr_idx(SRC0)
	v_mov_b32_e32 v96, v30
	s_set_gpr_idx_off
	s_add_i32 s19, s11, 6
	s_waitcnt lgkmcnt(2)
	v_fmac_f64_e32 v[90:91], v[116:117], v[100:101]
	s_set_gpr_idx_on s18, gpr_idx(SRC0)
	v_mov_b32_e32 v99, v30
	s_set_gpr_idx_off
	s_add_i32 s20, s11, 9
	v_fmac_f64_e32 v[90:91], v[96:97], v[102:103]
	s_set_gpr_idx_on s19, gpr_idx(SRC0)
	v_mov_b32_e32 v98, v30
	s_set_gpr_idx_off
	s_add_i32 s21, s11, 8
	s_waitcnt lgkmcnt(1)
	v_fmac_f64_e32 v[90:91], v[98:99], v[104:105]
	s_set_gpr_idx_on s20, gpr_idx(SRC0)
	v_mov_b32_e32 v97, v30
	s_set_gpr_idx_off
	s_add_i32 s22, s11, 11
	s_set_gpr_idx_on s21, gpr_idx(SRC0)
	v_mov_b32_e32 v96, v30
	s_set_gpr_idx_off
	s_add_i32 s23, s11, 10
	s_add_i32 s24, s11, 13
	;; [unrolled: 1-line block ×3, first 2 shown]
	v_fmac_f64_e32 v[90:91], v[96:97], v[106:107]
	s_set_gpr_idx_on s22, gpr_idx(SRC0)
	v_mov_b32_e32 v97, v30
	s_set_gpr_idx_off
	s_add_u32 s4, s4, 8
	s_set_gpr_idx_on s23, gpr_idx(SRC0)
	v_mov_b32_e32 v96, v30
	s_set_gpr_idx_off
	v_add_u32_e32 v92, s4, v94
	s_waitcnt lgkmcnt(0)
	v_fmac_f64_e32 v[90:91], v[96:97], v[108:109]
	s_set_gpr_idx_on s24, gpr_idx(SRC0)
	v_mov_b32_e32 v97, v30
	s_set_gpr_idx_off
	s_addc_u32 s5, s5, 0
	s_add_i32 s10, s10, 64
	s_add_i32 s12, s4, -1
	v_cmp_eq_u32_e32 vcc, 5, v92
	s_set_gpr_idx_on s25, gpr_idx(SRC0)
	v_mov_b32_e32 v96, v30
	s_set_gpr_idx_off
	v_mov_b32_e32 v92, s12
	s_or_b64 s[8:9], vcc, s[8:9]
	v_fmac_f64_e32 v[90:91], v[96:97], v[110:111]
	s_andn2_b64 exec, exec, s[8:9]
	s_cbranch_execnz .LBB77_137
; %bb.138:
	s_or_b64 exec, exec, s[8:9]
.LBB77_139:
	s_or_b64 exec, exec, s[0:1]
	v_and_b32_e32 v58, 7, v95
	v_cmp_ne_u32_e32 vcc, 0, v58
	s_and_saveexec_b64 s[8:9], vcc
	s_cbranch_execz .LBB77_143
; %bb.140:
	v_mov_b32_e32 v59, 0x70
	v_lshl_add_u32 v60, v92, 3, v59
	v_mov_b32_e32 v59, 0
	s_mov_b64 s[10:11], 0
.LBB77_141:                             ; =>This Inner Loop Header: Depth=1
	v_cmp_eq_u32_e32 vcc, 1, v92
	v_cndmask_b32_e32 v61, v31, v33, vcc
	v_add_u32_e32 v58, -1, v58
	v_cmp_eq_u32_e64 s[0:1], 2, v92
	v_cndmask_b32_e64 v61, v61, v35, s[0:1]
	v_cndmask_b32_e32 v96, v30, v32, vcc
	v_cmp_eq_u32_e32 vcc, 0, v58
	v_cmp_eq_u32_e64 s[4:5], 3, v92
	v_cndmask_b32_e64 v61, v61, v37, s[4:5]
	v_cndmask_b32_e64 v96, v96, v34, s[0:1]
	s_or_b64 s[10:11], vcc, s[10:11]
	v_cmp_eq_u32_e32 vcc, 4, v92
	v_cndmask_b32_e32 v61, v61, v39, vcc
	v_cndmask_b32_e64 v96, v96, v36, s[4:5]
	v_cmp_eq_u32_e64 s[0:1], 5, v92
	v_cndmask_b32_e64 v61, v61, v41, s[0:1]
	v_cndmask_b32_e32 v96, v96, v38, vcc
	v_cmp_eq_u32_e32 vcc, 6, v92
	v_cndmask_b32_e32 v61, v61, v43, vcc
	v_cndmask_b32_e64 v96, v96, v40, s[0:1]
	v_cmp_eq_u32_e64 s[0:1], 7, v92
	v_cndmask_b32_e64 v61, v61, v45, s[0:1]
	v_cndmask_b32_e32 v96, v96, v42, vcc
	;; [unrolled: 6-line block ×3, first 2 shown]
	v_cmp_eq_u32_e32 vcc, 10, v92
	ds_read_b64 v[94:95], v60
	v_cndmask_b32_e32 v61, v61, v51, vcc
	v_cndmask_b32_e64 v96, v96, v48, s[0:1]
	v_cmp_eq_u32_e64 s[0:1], 11, v92
	v_cndmask_b32_e64 v61, v61, v53, s[0:1]
	v_cndmask_b32_e32 v96, v96, v50, vcc
	v_cmp_eq_u32_e32 vcc, 12, v92
	v_cndmask_b32_e32 v61, v61, v55, vcc
	v_cmp_eq_u32_e64 s[4:5], 13, v92
	v_cndmask_b32_e64 v96, v96, v52, s[0:1]
	v_cndmask_b32_e64 v97, v61, v57, s[4:5]
	v_cndmask_b32_e32 v61, v96, v54, vcc
	v_add_co_u32_e64 v92, s[0:1], 1, v92
	v_cndmask_b32_e64 v96, v61, v56, s[4:5]
	v_add_u32_e32 v60, 8, v60
	v_addc_co_u32_e64 v59, s[0:1], 0, v59, s[0:1]
	s_waitcnt lgkmcnt(0)
	v_fmac_f64_e32 v[90:91], v[96:97], v[94:95]
	s_andn2_b64 exec, exec, s[10:11]
	s_cbranch_execnz .LBB77_141
; %bb.142:
	s_or_b64 exec, exec, s[10:11]
.LBB77_143:
	s_or_b64 exec, exec, s[8:9]
.LBB77_144:
	s_or_b64 exec, exec, s[6:7]
	v_mov_b32_e32 v36, 0
	ds_read_b64 v[36:37], v36 offset:24
	s_waitcnt lgkmcnt(0)
	v_mul_f64 v[36:37], v[90:91], v[36:37]
.LBB77_145:
	s_or_b64 exec, exec, s[28:29]
	v_cmp_lt_u32_e64 s[0:1], 2, v0
	ds_write_b64 v93, v[34:35]
	s_waitcnt lgkmcnt(0)
	; wave barrier
	s_waitcnt lgkmcnt(0)
	s_and_saveexec_b64 s[28:29], s[0:1]
	s_cbranch_execz .LBB77_161
; %bb.146:
	s_andn2_b64 vcc, exec, s[30:31]
	s_cbranch_vccnz .LBB77_148
; %bb.147:
	v_cmp_eq_u32_e32 vcc, 1, v0
	v_cndmask_b32_e32 v90, v31, v33, vcc
	v_cmp_eq_u32_e64 s[4:5], 2, v0
	v_cndmask_b32_e64 v90, v90, v35, s[4:5]
	v_cmp_eq_u32_e64 s[6:7], 3, v0
	v_cndmask_b32_e64 v90, v90, v37, s[6:7]
	;; [unrolled: 2-line block ×12, first 2 shown]
	v_cndmask_b32_e32 v90, v30, v32, vcc
	v_cndmask_b32_e64 v90, v90, v34, s[4:5]
	v_cndmask_b32_e64 v90, v90, v36, s[6:7]
	;; [unrolled: 1-line block ×8, first 2 shown]
	ds_read_b64 v[94:95], v93
	v_cndmask_b32_e64 v90, v90, v50, s[20:21]
	v_cndmask_b32_e64 v90, v90, v52, s[22:23]
	;; [unrolled: 1-line block ×4, first 2 shown]
	s_waitcnt lgkmcnt(0)
	v_mul_f64 v[90:91], v[90:91], v[94:95]
	s_cbranch_execz .LBB77_149
	s_branch .LBB77_150
.LBB77_148:
                                        ; implicit-def: $vgpr90_vgpr91
.LBB77_149:
	ds_read_b64 v[90:91], v93
.LBB77_150:
	s_and_saveexec_b64 s[6:7], s[2:3]
	s_cbranch_execz .LBB77_160
; %bb.151:
	v_add_u32_e32 v92, -4, v0
	v_add_u32_e32 v95, -3, v0
	v_cmp_lt_u32_e32 vcc, 6, v92
	v_mov_b32_e32 v92, 3
	s_and_saveexec_b64 s[2:3], vcc
	s_cbranch_execz .LBB77_155
; %bb.152:
	v_and_b32_e32 v92, -8, v95
	v_sub_u32_e32 v94, 0, v92
	s_mov_b64 s[4:5], 10
	s_movk_i32 s10, 0x88
	s_mov_b64 s[8:9], 0
.LBB77_153:                             ; =>This Inner Loop Header: Depth=1
	s_lshl_b32 s11, s4, 1
	s_add_i32 s12, s11, -13
	v_mov_b32_e32 v110, s10
	s_add_i32 s13, s11, -14
	s_set_gpr_idx_on s12, gpr_idx(SRC0)
	v_mov_b32_e32 v105, v30
	s_set_gpr_idx_off
	s_add_i32 s14, s11, -11
	s_set_gpr_idx_on s13, gpr_idx(SRC0)
	v_mov_b32_e32 v104, v30
	s_set_gpr_idx_off
	ds_read2_b64 v[96:99], v110 offset1:1
	s_add_i32 s15, s11, -12
	s_set_gpr_idx_on s14, gpr_idx(SRC0)
	v_mov_b32_e32 v107, v30
	s_set_gpr_idx_off
	s_add_i32 s16, s11, -9
	s_set_gpr_idx_on s15, gpr_idx(SRC0)
	v_mov_b32_e32 v106, v30
	s_set_gpr_idx_off
	;; [unrolled: 4-line block ×4, first 2 shown]
	ds_read2_b64 v[100:103], v110 offset0:2 offset1:3
	s_add_i32 s19, s11, -8
	s_waitcnt lgkmcnt(1)
	v_fmac_f64_e32 v[90:91], v[104:105], v[96:97]
	s_set_gpr_idx_on s18, gpr_idx(SRC0)
	v_mov_b32_e32 v105, v30
	s_set_gpr_idx_off
	s_add_i32 s20, s11, -5
	v_fmac_f64_e32 v[90:91], v[106:107], v[98:99]
	s_set_gpr_idx_on s19, gpr_idx(SRC0)
	v_mov_b32_e32 v104, v30
	s_set_gpr_idx_off
	s_add_i32 s21, s11, -6
	s_set_gpr_idx_on s20, gpr_idx(SRC0)
	v_mov_b32_e32 v107, v30
	s_set_gpr_idx_off
	s_add_i32 s22, s11, -3
	;; [unrolled: 4-line block ×3, first 2 shown]
	ds_read2_b64 v[96:99], v110 offset0:4 offset1:5
	s_waitcnt lgkmcnt(1)
	v_fmac_f64_e32 v[90:91], v[108:109], v[100:101]
	s_set_gpr_idx_on s22, gpr_idx(SRC0)
	v_mov_b32_e32 v109, v30
	s_set_gpr_idx_off
	s_add_i32 s24, s11, -1
	v_fmac_f64_e32 v[90:91], v[104:105], v[102:103]
	s_set_gpr_idx_on s23, gpr_idx(SRC0)
	v_mov_b32_e32 v108, v30
	s_set_gpr_idx_off
	s_add_i32 s25, s11, -2
	s_set_gpr_idx_on s24, gpr_idx(SRC0)
	v_mov_b32_e32 v105, v30
	s_set_gpr_idx_off
	s_set_gpr_idx_on s25, gpr_idx(SRC0)
	v_mov_b32_e32 v104, v30
	s_set_gpr_idx_off
	ds_read2_b64 v[100:103], v110 offset0:6 offset1:7
	s_add_u32 s4, s4, 8
	s_waitcnt lgkmcnt(1)
	v_fmac_f64_e32 v[90:91], v[106:107], v[96:97]
	s_set_gpr_idx_on s11, gpr_idx(SRC0)
	v_mov_b32_e32 v97, v31
	s_set_gpr_idx_off
	v_add_u32_e32 v92, s4, v94
	v_fmac_f64_e32 v[90:91], v[108:109], v[98:99]
	s_set_gpr_idx_on s11, gpr_idx(SRC0)
	v_mov_b32_e32 v96, v30
	s_set_gpr_idx_off
	s_addc_u32 s5, s5, 0
	s_add_i32 s10, s10, 64
	s_add_i32 s12, s4, -7
	v_cmp_eq_u32_e32 vcc, 10, v92
	s_waitcnt lgkmcnt(0)
	v_fmac_f64_e32 v[90:91], v[104:105], v[100:101]
	v_mov_b32_e32 v92, s12
	s_or_b64 s[8:9], vcc, s[8:9]
	v_fmac_f64_e32 v[90:91], v[96:97], v[102:103]
	s_andn2_b64 exec, exec, s[8:9]
	s_cbranch_execnz .LBB77_153
; %bb.154:
	s_or_b64 exec, exec, s[8:9]
.LBB77_155:
	s_or_b64 exec, exec, s[2:3]
	v_and_b32_e32 v58, 7, v95
	v_cmp_ne_u32_e32 vcc, 0, v58
	s_and_saveexec_b64 s[8:9], vcc
	s_cbranch_execz .LBB77_159
; %bb.156:
	v_mov_b32_e32 v59, 0x70
	v_lshl_add_u32 v60, v92, 3, v59
	v_mov_b32_e32 v59, 0
	s_mov_b64 s[10:11], 0
.LBB77_157:                             ; =>This Inner Loop Header: Depth=1
	v_cmp_eq_u32_e32 vcc, 1, v92
	v_cndmask_b32_e32 v61, v31, v33, vcc
	v_add_u32_e32 v58, -1, v58
	v_cmp_eq_u32_e64 s[2:3], 2, v92
	v_cndmask_b32_e64 v61, v61, v35, s[2:3]
	v_cndmask_b32_e32 v96, v30, v32, vcc
	v_cmp_eq_u32_e32 vcc, 0, v58
	v_cmp_eq_u32_e64 s[4:5], 3, v92
	v_cndmask_b32_e64 v61, v61, v37, s[4:5]
	v_cndmask_b32_e64 v96, v96, v34, s[2:3]
	s_or_b64 s[10:11], vcc, s[10:11]
	v_cmp_eq_u32_e32 vcc, 4, v92
	v_cndmask_b32_e32 v61, v61, v39, vcc
	v_cndmask_b32_e64 v96, v96, v36, s[4:5]
	v_cmp_eq_u32_e64 s[2:3], 5, v92
	v_cndmask_b32_e64 v61, v61, v41, s[2:3]
	v_cndmask_b32_e32 v96, v96, v38, vcc
	v_cmp_eq_u32_e32 vcc, 6, v92
	v_cndmask_b32_e32 v61, v61, v43, vcc
	v_cndmask_b32_e64 v96, v96, v40, s[2:3]
	v_cmp_eq_u32_e64 s[2:3], 7, v92
	v_cndmask_b32_e64 v61, v61, v45, s[2:3]
	v_cndmask_b32_e32 v96, v96, v42, vcc
	;; [unrolled: 6-line block ×3, first 2 shown]
	v_cmp_eq_u32_e32 vcc, 10, v92
	ds_read_b64 v[94:95], v60
	v_cndmask_b32_e32 v61, v61, v51, vcc
	v_cndmask_b32_e64 v96, v96, v48, s[2:3]
	v_cmp_eq_u32_e64 s[2:3], 11, v92
	v_cndmask_b32_e64 v61, v61, v53, s[2:3]
	v_cndmask_b32_e32 v96, v96, v50, vcc
	v_cmp_eq_u32_e32 vcc, 12, v92
	v_cndmask_b32_e32 v61, v61, v55, vcc
	v_cmp_eq_u32_e64 s[4:5], 13, v92
	v_cndmask_b32_e64 v96, v96, v52, s[2:3]
	v_cndmask_b32_e64 v97, v61, v57, s[4:5]
	v_cndmask_b32_e32 v61, v96, v54, vcc
	v_add_co_u32_e64 v92, s[2:3], 1, v92
	v_cndmask_b32_e64 v96, v61, v56, s[4:5]
	v_add_u32_e32 v60, 8, v60
	v_addc_co_u32_e64 v59, s[2:3], 0, v59, s[2:3]
	s_waitcnt lgkmcnt(0)
	v_fmac_f64_e32 v[90:91], v[96:97], v[94:95]
	s_andn2_b64 exec, exec, s[10:11]
	s_cbranch_execnz .LBB77_157
; %bb.158:
	s_or_b64 exec, exec, s[10:11]
.LBB77_159:
	s_or_b64 exec, exec, s[8:9]
.LBB77_160:
	s_or_b64 exec, exec, s[6:7]
	v_mov_b32_e32 v34, 0
	ds_read_b64 v[34:35], v34 offset:16
	s_waitcnt lgkmcnt(0)
	v_mul_f64 v[34:35], v[90:91], v[34:35]
.LBB77_161:
	s_or_b64 exec, exec, s[28:29]
	v_cmp_lt_u32_e64 s[2:3], 1, v0
	ds_write_b64 v93, v[32:33]
	s_waitcnt lgkmcnt(0)
	; wave barrier
	s_waitcnt lgkmcnt(0)
	s_and_saveexec_b64 s[28:29], s[2:3]
	s_cbranch_execz .LBB77_177
; %bb.162:
	s_andn2_b64 vcc, exec, s[30:31]
	s_cbranch_vccnz .LBB77_164
; %bb.163:
	v_cmp_eq_u32_e32 vcc, 1, v0
	v_cndmask_b32_e32 v90, v31, v33, vcc
	v_cmp_eq_u32_e64 s[4:5], 2, v0
	v_cndmask_b32_e64 v90, v90, v35, s[4:5]
	v_cmp_eq_u32_e64 s[6:7], 3, v0
	v_cndmask_b32_e64 v90, v90, v37, s[6:7]
	;; [unrolled: 2-line block ×12, first 2 shown]
	v_cndmask_b32_e32 v90, v30, v32, vcc
	v_cndmask_b32_e64 v90, v90, v34, s[4:5]
	v_cndmask_b32_e64 v90, v90, v36, s[6:7]
	;; [unrolled: 1-line block ×8, first 2 shown]
	ds_read_b64 v[94:95], v93
	v_cndmask_b32_e64 v90, v90, v50, s[20:21]
	v_cndmask_b32_e64 v90, v90, v52, s[22:23]
	;; [unrolled: 1-line block ×4, first 2 shown]
	s_waitcnt lgkmcnt(0)
	v_mul_f64 v[90:91], v[90:91], v[94:95]
	s_cbranch_execz .LBB77_165
	s_branch .LBB77_166
.LBB77_164:
                                        ; implicit-def: $vgpr90_vgpr91
.LBB77_165:
	ds_read_b64 v[90:91], v93
.LBB77_166:
	s_and_saveexec_b64 s[6:7], s[0:1]
	s_cbranch_execz .LBB77_176
; %bb.167:
	v_add_u32_e32 v92, -3, v0
	v_add_u32_e32 v95, -2, v0
	v_cmp_lt_u32_e32 vcc, 6, v92
	v_mov_b32_e32 v92, 2
	s_and_saveexec_b64 s[0:1], vcc
	s_cbranch_execz .LBB77_171
; %bb.168:
	v_and_b32_e32 v92, -8, v95
	v_sub_u32_e32 v94, 0, v92
	s_mov_b64 s[4:5], 9
	s_movk_i32 s10, 0x80
	s_mov_b64 s[8:9], 0
.LBB77_169:                             ; =>This Inner Loop Header: Depth=1
	s_lshl_b32 s11, s4, 1
	s_add_i32 s12, s11, -13
	s_add_i32 s13, s11, -14
	s_set_gpr_idx_on s12, gpr_idx(SRC0)
	v_mov_b32_e32 v113, v30
	s_set_gpr_idx_off
	v_mov_b32_e32 v92, s10
	s_add_i32 s14, s11, -11
	s_set_gpr_idx_on s13, gpr_idx(SRC0)
	v_mov_b32_e32 v112, v30
	s_set_gpr_idx_off
	s_add_i32 s15, s11, -12
	ds_read_b128 v[96:99], v92
	ds_read_b128 v[100:103], v92 offset:16
	ds_read_b128 v[104:107], v92 offset:32
	;; [unrolled: 1-line block ×3, first 2 shown]
	s_set_gpr_idx_on s14, gpr_idx(SRC0)
	v_mov_b32_e32 v115, v30
	s_set_gpr_idx_off
	s_add_i32 s16, s11, -9
	s_set_gpr_idx_on s15, gpr_idx(SRC0)
	v_mov_b32_e32 v114, v30
	s_set_gpr_idx_off
	s_add_i32 s17, s11, -10
	;; [unrolled: 4-line block ×4, first 2 shown]
	s_waitcnt lgkmcnt(3)
	v_fmac_f64_e32 v[90:91], v[112:113], v[96:97]
	s_set_gpr_idx_on s18, gpr_idx(SRC0)
	v_mov_b32_e32 v97, v30
	s_set_gpr_idx_off
	s_add_i32 s20, s11, -5
	v_fmac_f64_e32 v[90:91], v[114:115], v[98:99]
	s_set_gpr_idx_on s19, gpr_idx(SRC0)
	v_mov_b32_e32 v96, v30
	s_set_gpr_idx_off
	s_add_i32 s21, s11, -6
	s_waitcnt lgkmcnt(2)
	v_fmac_f64_e32 v[90:91], v[116:117], v[100:101]
	s_set_gpr_idx_on s20, gpr_idx(SRC0)
	v_mov_b32_e32 v99, v30
	s_set_gpr_idx_off
	s_add_i32 s22, s11, -3
	v_fmac_f64_e32 v[90:91], v[96:97], v[102:103]
	s_set_gpr_idx_on s21, gpr_idx(SRC0)
	v_mov_b32_e32 v98, v30
	s_set_gpr_idx_off
	s_add_i32 s23, s11, -4
	s_waitcnt lgkmcnt(1)
	v_fmac_f64_e32 v[90:91], v[98:99], v[104:105]
	s_set_gpr_idx_on s22, gpr_idx(SRC0)
	v_mov_b32_e32 v97, v30
	s_set_gpr_idx_off
	s_add_i32 s24, s11, -1
	s_set_gpr_idx_on s23, gpr_idx(SRC0)
	v_mov_b32_e32 v96, v30
	s_set_gpr_idx_off
	s_add_i32 s25, s11, -2
	v_fmac_f64_e32 v[90:91], v[96:97], v[106:107]
	s_set_gpr_idx_on s24, gpr_idx(SRC0)
	v_mov_b32_e32 v97, v30
	s_set_gpr_idx_off
	s_add_u32 s4, s4, 8
	s_set_gpr_idx_on s25, gpr_idx(SRC0)
	v_mov_b32_e32 v96, v30
	s_set_gpr_idx_off
	v_add_u32_e32 v92, s4, v94
	s_waitcnt lgkmcnt(0)
	v_fmac_f64_e32 v[90:91], v[96:97], v[108:109]
	s_set_gpr_idx_on s11, gpr_idx(SRC0)
	v_mov_b32_e32 v97, v31
	s_set_gpr_idx_off
	s_addc_u32 s5, s5, 0
	s_add_i32 s10, s10, 64
	s_add_i32 s12, s4, -7
	v_cmp_eq_u32_e32 vcc, 9, v92
	s_set_gpr_idx_on s11, gpr_idx(SRC0)
	v_mov_b32_e32 v96, v30
	s_set_gpr_idx_off
	v_mov_b32_e32 v92, s12
	s_or_b64 s[8:9], vcc, s[8:9]
	v_fmac_f64_e32 v[90:91], v[96:97], v[110:111]
	s_andn2_b64 exec, exec, s[8:9]
	s_cbranch_execnz .LBB77_169
; %bb.170:
	s_or_b64 exec, exec, s[8:9]
.LBB77_171:
	s_or_b64 exec, exec, s[0:1]
	v_and_b32_e32 v58, 7, v95
	v_cmp_ne_u32_e32 vcc, 0, v58
	s_and_saveexec_b64 s[8:9], vcc
	s_cbranch_execz .LBB77_175
; %bb.172:
	v_mov_b32_e32 v59, 0x70
	v_lshl_add_u32 v60, v92, 3, v59
	v_mov_b32_e32 v59, 0
	s_mov_b64 s[10:11], 0
.LBB77_173:                             ; =>This Inner Loop Header: Depth=1
	v_cmp_eq_u32_e32 vcc, 1, v92
	v_cndmask_b32_e32 v61, v31, v33, vcc
	v_add_u32_e32 v58, -1, v58
	v_cmp_eq_u32_e64 s[0:1], 2, v92
	v_cndmask_b32_e64 v61, v61, v35, s[0:1]
	v_cndmask_b32_e32 v96, v30, v32, vcc
	v_cmp_eq_u32_e32 vcc, 0, v58
	v_cmp_eq_u32_e64 s[4:5], 3, v92
	v_cndmask_b32_e64 v61, v61, v37, s[4:5]
	v_cndmask_b32_e64 v96, v96, v34, s[0:1]
	s_or_b64 s[10:11], vcc, s[10:11]
	v_cmp_eq_u32_e32 vcc, 4, v92
	v_cndmask_b32_e32 v61, v61, v39, vcc
	v_cndmask_b32_e64 v96, v96, v36, s[4:5]
	v_cmp_eq_u32_e64 s[0:1], 5, v92
	v_cndmask_b32_e64 v61, v61, v41, s[0:1]
	v_cndmask_b32_e32 v96, v96, v38, vcc
	v_cmp_eq_u32_e32 vcc, 6, v92
	v_cndmask_b32_e32 v61, v61, v43, vcc
	v_cndmask_b32_e64 v96, v96, v40, s[0:1]
	v_cmp_eq_u32_e64 s[0:1], 7, v92
	v_cndmask_b32_e64 v61, v61, v45, s[0:1]
	v_cndmask_b32_e32 v96, v96, v42, vcc
	;; [unrolled: 6-line block ×3, first 2 shown]
	v_cmp_eq_u32_e32 vcc, 10, v92
	ds_read_b64 v[94:95], v60
	v_cndmask_b32_e32 v61, v61, v51, vcc
	v_cndmask_b32_e64 v96, v96, v48, s[0:1]
	v_cmp_eq_u32_e64 s[0:1], 11, v92
	v_cndmask_b32_e64 v61, v61, v53, s[0:1]
	v_cndmask_b32_e32 v96, v96, v50, vcc
	v_cmp_eq_u32_e32 vcc, 12, v92
	v_cndmask_b32_e32 v61, v61, v55, vcc
	v_cmp_eq_u32_e64 s[4:5], 13, v92
	v_cndmask_b32_e64 v96, v96, v52, s[0:1]
	v_cndmask_b32_e64 v97, v61, v57, s[4:5]
	v_cndmask_b32_e32 v61, v96, v54, vcc
	v_add_co_u32_e64 v92, s[0:1], 1, v92
	v_cndmask_b32_e64 v96, v61, v56, s[4:5]
	v_add_u32_e32 v60, 8, v60
	v_addc_co_u32_e64 v59, s[0:1], 0, v59, s[0:1]
	s_waitcnt lgkmcnt(0)
	v_fmac_f64_e32 v[90:91], v[96:97], v[94:95]
	s_andn2_b64 exec, exec, s[10:11]
	s_cbranch_execnz .LBB77_173
; %bb.174:
	s_or_b64 exec, exec, s[10:11]
.LBB77_175:
	s_or_b64 exec, exec, s[8:9]
.LBB77_176:
	s_or_b64 exec, exec, s[6:7]
	v_mov_b32_e32 v32, 0
	ds_read_b64 v[32:33], v32 offset:8
	s_waitcnt lgkmcnt(0)
	v_mul_f64 v[32:33], v[90:91], v[32:33]
.LBB77_177:
	s_or_b64 exec, exec, s[28:29]
	v_cmp_ne_u32_e32 vcc, 0, v0
	ds_write_b64 v93, v[30:31]
	s_waitcnt lgkmcnt(0)
	; wave barrier
	s_waitcnt lgkmcnt(0)
	s_and_saveexec_b64 s[26:27], vcc
	s_cbranch_execz .LBB77_193
; %bb.178:
	s_andn2_b64 vcc, exec, s[30:31]
	s_cbranch_vccnz .LBB77_180
; %bb.179:
	v_cmp_eq_u32_e32 vcc, 1, v0
	v_cndmask_b32_e32 v90, v31, v33, vcc
	v_cmp_eq_u32_e64 s[0:1], 2, v0
	v_cndmask_b32_e64 v90, v90, v35, s[0:1]
	v_cmp_eq_u32_e64 s[4:5], 3, v0
	v_cndmask_b32_e64 v90, v90, v37, s[4:5]
	;; [unrolled: 2-line block ×12, first 2 shown]
	v_cndmask_b32_e32 v90, v30, v32, vcc
	v_cndmask_b32_e64 v90, v90, v34, s[0:1]
	v_cndmask_b32_e64 v90, v90, v36, s[4:5]
	;; [unrolled: 1-line block ×8, first 2 shown]
	ds_read_b64 v[94:95], v93
	v_cndmask_b32_e64 v90, v90, v50, s[18:19]
	v_cndmask_b32_e64 v90, v90, v52, s[20:21]
	;; [unrolled: 1-line block ×4, first 2 shown]
	s_waitcnt lgkmcnt(0)
	v_mul_f64 v[90:91], v[90:91], v[94:95]
	s_cbranch_execz .LBB77_181
	s_branch .LBB77_182
.LBB77_180:
                                        ; implicit-def: $vgpr90_vgpr91
.LBB77_181:
	ds_read_b64 v[90:91], v93
.LBB77_182:
	s_and_saveexec_b64 s[4:5], s[2:3]
	s_cbranch_execz .LBB77_192
; %bb.183:
	v_add_u32_e32 v92, -2, v0
	v_add_u32_e32 v95, -1, v0
	v_cmp_lt_u32_e32 vcc, 6, v92
	v_mov_b32_e32 v92, 1
	s_and_saveexec_b64 s[0:1], vcc
	s_cbranch_execz .LBB77_187
; %bb.184:
	v_and_b32_e32 v92, -8, v95
	v_sub_u32_e32 v94, 0, v92
	s_mov_b64 s[2:3], 8
	s_movk_i32 s8, 0x78
	s_mov_b64 s[6:7], 0
.LBB77_185:                             ; =>This Inner Loop Header: Depth=1
	s_lshl_b32 s9, s2, 1
	s_add_i32 s10, s9, -13
	v_mov_b32_e32 v110, s8
	s_add_i32 s11, s9, -14
	s_set_gpr_idx_on s10, gpr_idx(SRC0)
	v_mov_b32_e32 v105, v30
	s_set_gpr_idx_off
	s_add_i32 s12, s9, -11
	s_set_gpr_idx_on s11, gpr_idx(SRC0)
	v_mov_b32_e32 v104, v30
	s_set_gpr_idx_off
	ds_read2_b64 v[96:99], v110 offset1:1
	s_add_i32 s13, s9, -12
	s_set_gpr_idx_on s12, gpr_idx(SRC0)
	v_mov_b32_e32 v107, v30
	s_set_gpr_idx_off
	s_add_i32 s14, s9, -9
	s_set_gpr_idx_on s13, gpr_idx(SRC0)
	v_mov_b32_e32 v106, v30
	s_set_gpr_idx_off
	;; [unrolled: 4-line block ×4, first 2 shown]
	ds_read2_b64 v[100:103], v110 offset0:2 offset1:3
	s_add_i32 s17, s9, -8
	s_waitcnt lgkmcnt(1)
	v_fmac_f64_e32 v[90:91], v[104:105], v[96:97]
	s_set_gpr_idx_on s16, gpr_idx(SRC0)
	v_mov_b32_e32 v105, v30
	s_set_gpr_idx_off
	s_add_i32 s18, s9, -5
	v_fmac_f64_e32 v[90:91], v[106:107], v[98:99]
	s_set_gpr_idx_on s17, gpr_idx(SRC0)
	v_mov_b32_e32 v104, v30
	s_set_gpr_idx_off
	s_add_i32 s19, s9, -6
	s_set_gpr_idx_on s18, gpr_idx(SRC0)
	v_mov_b32_e32 v107, v30
	s_set_gpr_idx_off
	s_add_i32 s20, s9, -3
	;; [unrolled: 4-line block ×3, first 2 shown]
	ds_read2_b64 v[96:99], v110 offset0:4 offset1:5
	s_waitcnt lgkmcnt(1)
	v_fmac_f64_e32 v[90:91], v[108:109], v[100:101]
	s_set_gpr_idx_on s20, gpr_idx(SRC0)
	v_mov_b32_e32 v109, v30
	s_set_gpr_idx_off
	s_add_i32 s22, s9, -1
	v_fmac_f64_e32 v[90:91], v[104:105], v[102:103]
	s_set_gpr_idx_on s21, gpr_idx(SRC0)
	v_mov_b32_e32 v108, v30
	s_set_gpr_idx_off
	s_add_i32 s23, s9, -2
	s_set_gpr_idx_on s22, gpr_idx(SRC0)
	v_mov_b32_e32 v105, v30
	s_set_gpr_idx_off
	s_set_gpr_idx_on s23, gpr_idx(SRC0)
	v_mov_b32_e32 v104, v30
	s_set_gpr_idx_off
	ds_read2_b64 v[100:103], v110 offset0:6 offset1:7
	s_add_u32 s2, s2, 8
	s_waitcnt lgkmcnt(1)
	v_fmac_f64_e32 v[90:91], v[106:107], v[96:97]
	s_set_gpr_idx_on s9, gpr_idx(SRC0)
	v_mov_b32_e32 v97, v31
	s_set_gpr_idx_off
	v_add_u32_e32 v92, s2, v94
	v_fmac_f64_e32 v[90:91], v[108:109], v[98:99]
	s_set_gpr_idx_on s9, gpr_idx(SRC0)
	v_mov_b32_e32 v96, v30
	s_set_gpr_idx_off
	s_addc_u32 s3, s3, 0
	s_add_i32 s8, s8, 64
	s_add_i32 s10, s2, -7
	v_cmp_eq_u32_e32 vcc, 8, v92
	s_waitcnt lgkmcnt(0)
	v_fmac_f64_e32 v[90:91], v[104:105], v[100:101]
	v_mov_b32_e32 v92, s10
	s_or_b64 s[6:7], vcc, s[6:7]
	v_fmac_f64_e32 v[90:91], v[96:97], v[102:103]
	s_andn2_b64 exec, exec, s[6:7]
	s_cbranch_execnz .LBB77_185
; %bb.186:
	s_or_b64 exec, exec, s[6:7]
.LBB77_187:
	s_or_b64 exec, exec, s[0:1]
	v_and_b32_e32 v58, 7, v95
	v_cmp_ne_u32_e32 vcc, 0, v58
	s_and_saveexec_b64 s[6:7], vcc
	s_cbranch_execz .LBB77_191
; %bb.188:
	v_mov_b32_e32 v59, 0x70
	v_lshl_add_u32 v60, v92, 3, v59
	v_mov_b32_e32 v59, 0
	s_mov_b64 s[8:9], 0
.LBB77_189:                             ; =>This Inner Loop Header: Depth=1
	v_cmp_eq_u32_e32 vcc, 1, v92
	v_cndmask_b32_e32 v61, v31, v33, vcc
	v_add_u32_e32 v58, -1, v58
	v_cmp_eq_u32_e64 s[0:1], 2, v92
	v_cndmask_b32_e64 v61, v61, v35, s[0:1]
	v_cndmask_b32_e32 v96, v30, v32, vcc
	v_cmp_eq_u32_e32 vcc, 0, v58
	v_cmp_eq_u32_e64 s[2:3], 3, v92
	v_cndmask_b32_e64 v61, v61, v37, s[2:3]
	v_cndmask_b32_e64 v96, v96, v34, s[0:1]
	s_or_b64 s[8:9], vcc, s[8:9]
	v_cmp_eq_u32_e32 vcc, 4, v92
	v_cndmask_b32_e32 v61, v61, v39, vcc
	v_cndmask_b32_e64 v96, v96, v36, s[2:3]
	v_cmp_eq_u32_e64 s[0:1], 5, v92
	v_cndmask_b32_e64 v61, v61, v41, s[0:1]
	v_cndmask_b32_e32 v96, v96, v38, vcc
	v_cmp_eq_u32_e32 vcc, 6, v92
	v_cndmask_b32_e32 v61, v61, v43, vcc
	v_cndmask_b32_e64 v96, v96, v40, s[0:1]
	v_cmp_eq_u32_e64 s[0:1], 7, v92
	v_cndmask_b32_e64 v61, v61, v45, s[0:1]
	v_cndmask_b32_e32 v96, v96, v42, vcc
	;; [unrolled: 6-line block ×3, first 2 shown]
	v_cmp_eq_u32_e32 vcc, 10, v92
	ds_read_b64 v[94:95], v60
	v_cndmask_b32_e32 v61, v61, v51, vcc
	v_cndmask_b32_e64 v96, v96, v48, s[0:1]
	v_cmp_eq_u32_e64 s[0:1], 11, v92
	v_cndmask_b32_e64 v61, v61, v53, s[0:1]
	v_cndmask_b32_e32 v96, v96, v50, vcc
	v_cmp_eq_u32_e32 vcc, 12, v92
	v_cndmask_b32_e32 v61, v61, v55, vcc
	v_cmp_eq_u32_e64 s[2:3], 13, v92
	v_cndmask_b32_e64 v96, v96, v52, s[0:1]
	v_cndmask_b32_e64 v97, v61, v57, s[2:3]
	v_cndmask_b32_e32 v61, v96, v54, vcc
	v_add_co_u32_e64 v92, s[0:1], 1, v92
	v_cndmask_b32_e64 v96, v61, v56, s[2:3]
	v_add_u32_e32 v60, 8, v60
	v_addc_co_u32_e64 v59, s[0:1], 0, v59, s[0:1]
	s_waitcnt lgkmcnt(0)
	v_fmac_f64_e32 v[90:91], v[96:97], v[94:95]
	s_andn2_b64 exec, exec, s[8:9]
	s_cbranch_execnz .LBB77_189
; %bb.190:
	s_or_b64 exec, exec, s[8:9]
.LBB77_191:
	s_or_b64 exec, exec, s[6:7]
.LBB77_192:
	s_or_b64 exec, exec, s[4:5]
	v_mov_b32_e32 v30, 0
	ds_read_b64 v[30:31], v30
	s_waitcnt lgkmcnt(0)
	v_mul_f64 v[30:31], v[90:91], v[30:31]
.LBB77_193:
	s_or_b64 exec, exec, s[26:27]
	s_branch .LBB77_329
.LBB77_194:
	v_cmp_eq_u32_e64 s[2:3], 0, v0
	s_waitcnt vmcnt(13)
	ds_write_b64 v93, v[4:5]
	s_waitcnt lgkmcnt(0)
	; wave barrier
	s_waitcnt lgkmcnt(0)
	s_and_saveexec_b64 s[26:27], s[2:3]
	s_cbranch_execz .LBB77_200
; %bb.195:
	s_and_b64 vcc, exec, s[30:31]
	s_cbranch_vccz .LBB77_197
; %bb.196:
	v_cmp_eq_u32_e32 vcc, 1, v0
	s_waitcnt vmcnt(1)
	v_cndmask_b32_e32 v5, v3, v5, vcc
	v_cmp_eq_u32_e64 s[0:1], 2, v0
	v_cndmask_b32_e32 v4, v2, v4, vcc
	v_cndmask_b32_e64 v5, v5, v7, s[0:1]
	v_cmp_eq_u32_e64 s[4:5], 3, v0
	v_cndmask_b32_e64 v4, v4, v6, s[0:1]
	v_cndmask_b32_e64 v5, v5, v9, s[4:5]
	v_cmp_eq_u32_e64 s[6:7], 4, v0
	v_cndmask_b32_e64 v4, v4, v8, s[4:5]
	;; [unrolled: 3-line block ×8, first 2 shown]
	ds_read_b64 v[30:31], v93
	v_cndmask_b32_e64 v5, v5, v23, s[18:19]
	v_cmp_eq_u32_e64 s[20:21], 11, v0
	v_cndmask_b32_e64 v4, v4, v22, s[18:19]
	v_cndmask_b32_e64 v5, v5, v25, s[20:21]
	v_cmp_eq_u32_e64 s[22:23], 12, v0
	v_cndmask_b32_e64 v4, v4, v24, s[20:21]
	;; [unrolled: 3-line block ×3, first 2 shown]
	s_waitcnt vmcnt(0)
	v_cndmask_b32_e64 v5, v5, v29, s[24:25]
	v_cndmask_b32_e64 v4, v4, v28, s[24:25]
	s_waitcnt lgkmcnt(0)
	v_mul_f64 v[4:5], v[4:5], v[30:31]
	s_cbranch_execz .LBB77_198
	s_branch .LBB77_199
.LBB77_197:
                                        ; implicit-def: $vgpr4_vgpr5
.LBB77_198:
	ds_read_b64 v[4:5], v93
.LBB77_199:
	v_mov_b32_e32 v30, 0
	ds_read_b64 v[30:31], v30 offset:8
	s_waitcnt lgkmcnt(0)
	v_mul_f64 v[4:5], v[4:5], v[30:31]
.LBB77_200:
	s_or_b64 exec, exec, s[26:27]
	v_cndmask_b32_e64 v30, 0, 1, s[30:31]
	v_add_u32_e32 v34, 1, v0
	v_cmp_gt_u32_e32 vcc, 2, v0
	v_cmp_ne_u32_e64 s[0:1], 1, v30
	s_waitcnt vmcnt(12)
	ds_write_b64 v93, v[6:7]
	s_waitcnt lgkmcnt(0)
	; wave barrier
	s_waitcnt lgkmcnt(0)
	s_and_saveexec_b64 s[28:29], vcc
	s_cbranch_execz .LBB77_208
; %bb.201:
	s_and_b64 vcc, exec, s[0:1]
	s_cbranch_vccnz .LBB77_203
; %bb.202:
	v_cmp_eq_u32_e32 vcc, 1, v0
	s_waitcnt vmcnt(1)
	v_cndmask_b32_e32 v30, v3, v5, vcc
	v_cmp_eq_u32_e64 s[4:5], 2, v0
	v_cndmask_b32_e64 v30, v30, v7, s[4:5]
	v_cmp_eq_u32_e64 s[6:7], 3, v0
	v_cndmask_b32_e64 v30, v30, v9, s[6:7]
	;; [unrolled: 2-line block ×11, first 2 shown]
	v_cmp_eq_u32_e64 s[26:27], 13, v0
	s_waitcnt vmcnt(0)
	v_cndmask_b32_e64 v31, v30, v29, s[26:27]
	v_cndmask_b32_e32 v30, v2, v4, vcc
	v_cndmask_b32_e64 v30, v30, v6, s[4:5]
	v_cndmask_b32_e64 v30, v30, v8, s[6:7]
	;; [unrolled: 1-line block ×8, first 2 shown]
	ds_read_b64 v[32:33], v93
	v_cndmask_b32_e64 v30, v30, v22, s[20:21]
	v_cndmask_b32_e64 v30, v30, v24, s[22:23]
	;; [unrolled: 1-line block ×4, first 2 shown]
	s_waitcnt lgkmcnt(0)
	v_mul_f64 v[30:31], v[30:31], v[32:33]
	s_cbranch_execz .LBB77_204
	s_branch .LBB77_205
.LBB77_203:
                                        ; implicit-def: $vgpr30_vgpr31
.LBB77_204:
	ds_read_b64 v[30:31], v93
.LBB77_205:
	s_and_saveexec_b64 s[30:31], s[2:3]
	s_cbranch_execz .LBB77_207
; %bb.206:
	v_cmp_eq_u32_e32 vcc, 1, v34
	s_waitcnt vmcnt(1)
	v_cndmask_b32_e32 v32, v3, v5, vcc
	v_cmp_eq_u32_e64 s[4:5], 2, v34
	v_cndmask_b32_e64 v7, v32, v7, s[4:5]
	v_cndmask_b32_e32 v32, v2, v4, vcc
	v_cmp_eq_u32_e64 s[6:7], 3, v34
	v_cndmask_b32_e64 v6, v32, v6, s[4:5]
	v_cndmask_b32_e64 v7, v7, v9, s[6:7]
	v_cmp_eq_u32_e64 s[8:9], 4, v34
	v_cndmask_b32_e64 v6, v6, v8, s[6:7]
	v_cndmask_b32_e64 v7, v7, v11, s[8:9]
	;; [unrolled: 3-line block ×7, first 2 shown]
	v_cmp_eq_u32_e64 s[20:21], 10, v34
	v_cndmask_b32_e64 v6, v6, v20, s[18:19]
	ds_read_b64 v[32:33], v93 offset:8
	v_cndmask_b32_e64 v7, v7, v23, s[20:21]
	v_cmp_eq_u32_e64 s[22:23], 11, v34
	v_cndmask_b32_e64 v6, v6, v22, s[20:21]
	v_cndmask_b32_e64 v7, v7, v25, s[22:23]
	v_cmp_eq_u32_e64 s[24:25], 12, v34
	v_cndmask_b32_e64 v6, v6, v24, s[22:23]
	;; [unrolled: 3-line block ×3, first 2 shown]
	s_waitcnt vmcnt(0)
	v_cndmask_b32_e64 v7, v7, v29, s[26:27]
	v_cndmask_b32_e64 v6, v6, v28, s[26:27]
	s_waitcnt lgkmcnt(0)
	v_fmac_f64_e32 v[30:31], v[6:7], v[32:33]
.LBB77_207:
	s_or_b64 exec, exec, s[30:31]
	v_mov_b32_e32 v6, 0
	ds_read_b64 v[6:7], v6 offset:16
	s_waitcnt lgkmcnt(0)
	v_mul_f64 v[6:7], v[30:31], v[6:7]
.LBB77_208:
	s_or_b64 exec, exec, s[28:29]
	v_cmp_gt_u32_e64 s[4:5], 3, v0
	s_waitcnt vmcnt(11)
	ds_write_b64 v93, v[8:9]
	s_waitcnt lgkmcnt(0)
	; wave barrier
	s_waitcnt lgkmcnt(0)
	s_and_saveexec_b64 s[30:31], s[4:5]
	s_cbranch_execz .LBB77_216
; %bb.209:
	s_and_b64 vcc, exec, s[0:1]
	s_cbranch_vccnz .LBB77_211
; %bb.210:
	v_cmp_eq_u32_e32 vcc, 1, v0
	s_waitcnt vmcnt(1)
	v_cndmask_b32_e32 v30, v3, v5, vcc
	v_cmp_eq_u32_e64 s[6:7], 2, v0
	v_cndmask_b32_e64 v30, v30, v7, s[6:7]
	v_cmp_eq_u32_e64 s[8:9], 3, v0
	v_cndmask_b32_e64 v30, v30, v9, s[8:9]
	;; [unrolled: 2-line block ×11, first 2 shown]
	v_cmp_eq_u32_e64 s[28:29], 13, v0
	s_waitcnt vmcnt(0)
	v_cndmask_b32_e64 v31, v30, v29, s[28:29]
	v_cndmask_b32_e32 v30, v2, v4, vcc
	v_cndmask_b32_e64 v30, v30, v6, s[6:7]
	v_cndmask_b32_e64 v30, v30, v8, s[8:9]
	;; [unrolled: 1-line block ×8, first 2 shown]
	ds_read_b64 v[32:33], v93
	v_cndmask_b32_e64 v30, v30, v22, s[22:23]
	v_cndmask_b32_e64 v30, v30, v24, s[24:25]
	;; [unrolled: 1-line block ×4, first 2 shown]
	s_waitcnt lgkmcnt(0)
	v_mul_f64 v[30:31], v[30:31], v[32:33]
	s_cbranch_execz .LBB77_212
	s_branch .LBB77_213
.LBB77_211:
                                        ; implicit-def: $vgpr30_vgpr31
.LBB77_212:
	ds_read_b64 v[30:31], v93
.LBB77_213:
	v_cmp_ne_u32_e32 vcc, 2, v0
	s_and_saveexec_b64 s[34:35], vcc
	s_cbranch_execz .LBB77_215
; %bb.214:
	v_cmp_eq_u32_e32 vcc, 1, v34
	s_waitcnt vmcnt(1)
	v_cndmask_b32_e32 v32, v3, v5, vcc
	v_cmp_eq_u32_e64 s[6:7], 2, v34
	v_cndmask_b32_e64 v32, v32, v7, s[6:7]
	v_cmp_eq_u32_e64 s[8:9], 3, v34
	v_cndmask_b32_e64 v9, v32, v9, s[8:9]
	v_cndmask_b32_e32 v32, v2, v4, vcc
	v_cndmask_b32_e64 v32, v32, v6, s[6:7]
	v_cmp_eq_u32_e64 s[10:11], 4, v34
	v_cndmask_b32_e64 v8, v32, v8, s[8:9]
	v_cndmask_b32_e64 v9, v9, v11, s[10:11]
	v_cmp_eq_u32_e64 s[12:13], 5, v34
	v_cndmask_b32_e64 v8, v8, v10, s[10:11]
	;; [unrolled: 3-line block ×8, first 2 shown]
	v_mov_b32_e32 v35, 0
	ds_read_b64 v[32:33], v93 offset:8
	ds_read_b64 v[36:37], v35 offset:128
	v_cndmask_b32_e64 v9, v9, v25, s[24:25]
	v_cmp_eq_u32_e64 s[26:27], 12, v34
	v_cndmask_b32_e64 v8, v8, v24, s[24:25]
	v_cndmask_b32_e64 v9, v9, v27, s[26:27]
	v_cmp_eq_u32_e64 s[28:29], 13, v34
	v_cndmask_b32_e64 v8, v8, v26, s[26:27]
	s_waitcnt vmcnt(0)
	v_cndmask_b32_e64 v9, v9, v29, s[28:29]
	v_cndmask_b32_e64 v8, v8, v28, s[28:29]
	s_waitcnt lgkmcnt(1)
	v_fmac_f64_e32 v[30:31], v[8:9], v[32:33]
	s_waitcnt lgkmcnt(0)
	v_fma_f64 v[8:9], v[6:7], v[36:37], v[30:31]
	v_cndmask_b32_e64 v31, v31, v9, s[2:3]
	v_cndmask_b32_e64 v30, v30, v8, s[2:3]
.LBB77_215:
	s_or_b64 exec, exec, s[34:35]
	v_mov_b32_e32 v8, 0
	ds_read_b64 v[8:9], v8 offset:24
	s_waitcnt lgkmcnt(0)
	v_mul_f64 v[8:9], v[30:31], v[8:9]
.LBB77_216:
	s_or_b64 exec, exec, s[30:31]
	v_cmp_gt_u32_e32 vcc, 4, v0
	s_waitcnt vmcnt(10)
	ds_write_b64 v93, v[10:11]
	s_waitcnt lgkmcnt(0)
	; wave barrier
	s_waitcnt lgkmcnt(0)
	s_and_saveexec_b64 s[30:31], vcc
	s_cbranch_execz .LBB77_226
; %bb.217:
	s_and_b64 vcc, exec, s[0:1]
	s_cbranch_vccnz .LBB77_219
; %bb.218:
	v_cmp_eq_u32_e32 vcc, 1, v0
	s_waitcnt vmcnt(1)
	v_cndmask_b32_e32 v30, v3, v5, vcc
	v_cmp_eq_u32_e64 s[6:7], 2, v0
	v_cndmask_b32_e64 v30, v30, v7, s[6:7]
	v_cmp_eq_u32_e64 s[8:9], 3, v0
	v_cndmask_b32_e64 v30, v30, v9, s[8:9]
	;; [unrolled: 2-line block ×11, first 2 shown]
	v_cmp_eq_u32_e64 s[28:29], 13, v0
	s_waitcnt vmcnt(0)
	v_cndmask_b32_e64 v31, v30, v29, s[28:29]
	v_cndmask_b32_e32 v30, v2, v4, vcc
	v_cndmask_b32_e64 v30, v30, v6, s[6:7]
	v_cndmask_b32_e64 v30, v30, v8, s[8:9]
	;; [unrolled: 1-line block ×8, first 2 shown]
	ds_read_b64 v[32:33], v93
	v_cndmask_b32_e64 v30, v30, v22, s[22:23]
	v_cndmask_b32_e64 v30, v30, v24, s[24:25]
	v_cndmask_b32_e64 v30, v30, v26, s[26:27]
	v_cndmask_b32_e64 v30, v30, v28, s[28:29]
	s_waitcnt lgkmcnt(0)
	v_mul_f64 v[30:31], v[30:31], v[32:33]
	s_cbranch_execz .LBB77_220
	s_branch .LBB77_221
.LBB77_219:
                                        ; implicit-def: $vgpr30_vgpr31
.LBB77_220:
	ds_read_b64 v[30:31], v93
.LBB77_221:
	v_cmp_ne_u32_e32 vcc, 3, v0
	s_and_saveexec_b64 s[10:11], vcc
	s_cbranch_execz .LBB77_225
; %bb.222:
	v_mov_b32_e32 v32, 0x78
	v_lshl_add_u32 v35, v0, 3, v32
	s_mov_b64 s[12:13], 0
	v_pk_mov_b32 v[32:33], v[0:1], v[0:1] op_sel:[0,1]
.LBB77_223:                             ; =>This Inner Loop Header: Depth=1
	v_add_co_u32_e32 v32, vcc, 1, v32
	v_addc_co_u32_e32 v33, vcc, 0, v33, vcc
	v_cmp_eq_u32_e32 vcc, 1, v32
	s_waitcnt vmcnt(1)
	v_cndmask_b32_e32 v38, v3, v5, vcc
	v_cmp_eq_u32_e64 s[8:9], 2, v32
	v_cmp_lt_u32_e64 s[6:7], 2, v32
	v_cndmask_b32_e64 v38, v38, v7, s[8:9]
	v_cndmask_b32_e32 v39, v2, v4, vcc
	v_cmp_eq_u32_e32 vcc, 3, v32
	s_or_b64 s[12:13], s[6:7], s[12:13]
	v_cndmask_b32_e32 v38, v38, v9, vcc
	v_cndmask_b32_e64 v39, v39, v6, s[8:9]
	v_cmp_eq_u32_e64 s[6:7], 4, v32
	v_cndmask_b32_e64 v38, v38, v11, s[6:7]
	v_cndmask_b32_e32 v39, v39, v8, vcc
	v_cmp_eq_u32_e32 vcc, 5, v32
	v_cndmask_b32_e32 v38, v38, v13, vcc
	v_cndmask_b32_e64 v39, v39, v10, s[6:7]
	v_cmp_eq_u32_e64 s[6:7], 6, v32
	v_cndmask_b32_e64 v38, v38, v15, s[6:7]
	v_cndmask_b32_e32 v39, v39, v12, vcc
	v_cmp_eq_u32_e32 vcc, 7, v32
	v_cndmask_b32_e32 v38, v38, v17, vcc
	v_cndmask_b32_e64 v39, v39, v14, s[6:7]
	v_cmp_eq_u32_e64 s[6:7], 8, v32
	v_cndmask_b32_e64 v38, v38, v19, s[6:7]
	v_cndmask_b32_e32 v39, v39, v16, vcc
	v_cmp_eq_u32_e32 vcc, 9, v32
	v_cndmask_b32_e32 v38, v38, v21, vcc
	v_cndmask_b32_e64 v39, v39, v18, s[6:7]
	v_cmp_eq_u32_e64 s[6:7], 10, v32
	ds_read_b64 v[36:37], v35
	v_cndmask_b32_e64 v38, v38, v23, s[6:7]
	v_cndmask_b32_e32 v39, v39, v20, vcc
	v_cmp_eq_u32_e32 vcc, 11, v32
	v_cndmask_b32_e32 v38, v38, v25, vcc
	v_cndmask_b32_e64 v39, v39, v22, s[6:7]
	v_cmp_eq_u32_e64 s[6:7], 12, v32
	v_cndmask_b32_e64 v38, v38, v27, s[6:7]
	v_cndmask_b32_e32 v40, v39, v24, vcc
	v_cmp_eq_u32_e32 vcc, 13, v32
	s_waitcnt vmcnt(0)
	v_cndmask_b32_e32 v39, v38, v29, vcc
	v_cndmask_b32_e64 v38, v40, v26, s[6:7]
	v_cndmask_b32_e32 v38, v38, v28, vcc
	v_add_u32_e32 v35, 8, v35
	s_waitcnt lgkmcnt(0)
	v_fmac_f64_e32 v[30:31], v[38:39], v[36:37]
	s_andn2_b64 exec, exec, s[12:13]
	s_cbranch_execnz .LBB77_223
; %bb.224:
	s_or_b64 exec, exec, s[12:13]
.LBB77_225:
	s_or_b64 exec, exec, s[10:11]
	v_mov_b32_e32 v10, 0
	ds_read_b64 v[10:11], v10 offset:32
	s_waitcnt lgkmcnt(0)
	v_mul_f64 v[10:11], v[30:31], v[10:11]
.LBB77_226:
	s_or_b64 exec, exec, s[30:31]
	v_cmp_gt_u32_e64 s[6:7], 5, v0
	s_waitcnt vmcnt(9)
	ds_write_b64 v93, v[12:13]
	s_waitcnt lgkmcnt(0)
	; wave barrier
	s_waitcnt lgkmcnt(0)
	s_and_saveexec_b64 s[34:35], s[6:7]
	s_cbranch_execz .LBB77_236
; %bb.227:
	s_and_b64 vcc, exec, s[0:1]
	s_cbranch_vccnz .LBB77_229
; %bb.228:
	v_cmp_eq_u32_e32 vcc, 1, v0
	s_waitcnt vmcnt(1)
	v_cndmask_b32_e32 v30, v3, v5, vcc
	v_cmp_eq_u32_e64 s[8:9], 2, v0
	v_cndmask_b32_e64 v30, v30, v7, s[8:9]
	v_cmp_eq_u32_e64 s[10:11], 3, v0
	v_cndmask_b32_e64 v30, v30, v9, s[10:11]
	;; [unrolled: 2-line block ×11, first 2 shown]
	v_cmp_eq_u32_e64 s[30:31], 13, v0
	s_waitcnt vmcnt(0)
	v_cndmask_b32_e64 v31, v30, v29, s[30:31]
	v_cndmask_b32_e32 v30, v2, v4, vcc
	v_cndmask_b32_e64 v30, v30, v6, s[8:9]
	v_cndmask_b32_e64 v30, v30, v8, s[10:11]
	;; [unrolled: 1-line block ×8, first 2 shown]
	ds_read_b64 v[32:33], v93
	v_cndmask_b32_e64 v30, v30, v22, s[24:25]
	v_cndmask_b32_e64 v30, v30, v24, s[26:27]
	;; [unrolled: 1-line block ×4, first 2 shown]
	s_waitcnt lgkmcnt(0)
	v_mul_f64 v[30:31], v[30:31], v[32:33]
	s_cbranch_execz .LBB77_230
	s_branch .LBB77_231
.LBB77_229:
                                        ; implicit-def: $vgpr30_vgpr31
.LBB77_230:
	ds_read_b64 v[30:31], v93
.LBB77_231:
	v_cmp_ne_u32_e32 vcc, 4, v0
	s_and_saveexec_b64 s[12:13], vcc
	s_cbranch_execz .LBB77_235
; %bb.232:
	v_mov_b32_e32 v32, 0x78
	v_lshl_add_u32 v35, v0, 3, v32
	s_mov_b64 s[14:15], 0
	v_pk_mov_b32 v[32:33], v[0:1], v[0:1] op_sel:[0,1]
.LBB77_233:                             ; =>This Inner Loop Header: Depth=1
	v_add_co_u32_e32 v32, vcc, 1, v32
	v_addc_co_u32_e32 v33, vcc, 0, v33, vcc
	v_cmp_eq_u32_e32 vcc, 1, v32
	s_waitcnt vmcnt(1)
	v_cndmask_b32_e32 v38, v3, v5, vcc
	v_cmp_eq_u32_e64 s[10:11], 2, v32
	v_cmp_lt_u32_e64 s[8:9], 3, v32
	v_cndmask_b32_e64 v38, v38, v7, s[10:11]
	v_cndmask_b32_e32 v39, v2, v4, vcc
	v_cmp_eq_u32_e32 vcc, 3, v32
	s_or_b64 s[14:15], s[8:9], s[14:15]
	v_cndmask_b32_e32 v38, v38, v9, vcc
	v_cndmask_b32_e64 v39, v39, v6, s[10:11]
	v_cmp_eq_u32_e64 s[8:9], 4, v32
	v_cndmask_b32_e64 v38, v38, v11, s[8:9]
	v_cndmask_b32_e32 v39, v39, v8, vcc
	v_cmp_eq_u32_e32 vcc, 5, v32
	v_cndmask_b32_e32 v38, v38, v13, vcc
	v_cndmask_b32_e64 v39, v39, v10, s[8:9]
	v_cmp_eq_u32_e64 s[8:9], 6, v32
	v_cndmask_b32_e64 v38, v38, v15, s[8:9]
	v_cndmask_b32_e32 v39, v39, v12, vcc
	v_cmp_eq_u32_e32 vcc, 7, v32
	;; [unrolled: 6-line block ×3, first 2 shown]
	v_cndmask_b32_e32 v38, v38, v21, vcc
	v_cndmask_b32_e64 v39, v39, v18, s[8:9]
	v_cmp_eq_u32_e64 s[8:9], 10, v32
	ds_read_b64 v[36:37], v35
	v_cndmask_b32_e64 v38, v38, v23, s[8:9]
	v_cndmask_b32_e32 v39, v39, v20, vcc
	v_cmp_eq_u32_e32 vcc, 11, v32
	v_cndmask_b32_e32 v38, v38, v25, vcc
	v_cndmask_b32_e64 v39, v39, v22, s[8:9]
	v_cmp_eq_u32_e64 s[8:9], 12, v32
	v_cndmask_b32_e64 v38, v38, v27, s[8:9]
	v_cndmask_b32_e32 v40, v39, v24, vcc
	v_cmp_eq_u32_e32 vcc, 13, v32
	s_waitcnt vmcnt(0)
	v_cndmask_b32_e32 v39, v38, v29, vcc
	v_cndmask_b32_e64 v38, v40, v26, s[8:9]
	v_cndmask_b32_e32 v38, v38, v28, vcc
	v_add_u32_e32 v35, 8, v35
	s_waitcnt lgkmcnt(0)
	v_fmac_f64_e32 v[30:31], v[38:39], v[36:37]
	s_andn2_b64 exec, exec, s[14:15]
	s_cbranch_execnz .LBB77_233
; %bb.234:
	s_or_b64 exec, exec, s[14:15]
.LBB77_235:
	s_or_b64 exec, exec, s[12:13]
	v_mov_b32_e32 v12, 0
	ds_read_b64 v[12:13], v12 offset:40
	s_waitcnt lgkmcnt(0)
	v_mul_f64 v[12:13], v[30:31], v[12:13]
.LBB77_236:
	s_or_b64 exec, exec, s[34:35]
	v_cmp_gt_u32_e32 vcc, 6, v0
	s_waitcnt vmcnt(8)
	ds_write_b64 v93, v[14:15]
	s_waitcnt lgkmcnt(0)
	; wave barrier
	s_waitcnt lgkmcnt(0)
	s_and_saveexec_b64 s[34:35], vcc
	s_cbranch_execz .LBB77_246
; %bb.237:
	s_and_b64 vcc, exec, s[0:1]
	s_cbranch_vccnz .LBB77_239
; %bb.238:
	v_cmp_eq_u32_e32 vcc, 1, v0
	s_waitcnt vmcnt(1)
	v_cndmask_b32_e32 v30, v3, v5, vcc
	v_cmp_eq_u32_e64 s[8:9], 2, v0
	v_cndmask_b32_e64 v30, v30, v7, s[8:9]
	v_cmp_eq_u32_e64 s[10:11], 3, v0
	v_cndmask_b32_e64 v30, v30, v9, s[10:11]
	;; [unrolled: 2-line block ×11, first 2 shown]
	v_cmp_eq_u32_e64 s[30:31], 13, v0
	s_waitcnt vmcnt(0)
	v_cndmask_b32_e64 v31, v30, v29, s[30:31]
	v_cndmask_b32_e32 v30, v2, v4, vcc
	v_cndmask_b32_e64 v30, v30, v6, s[8:9]
	v_cndmask_b32_e64 v30, v30, v8, s[10:11]
	;; [unrolled: 1-line block ×8, first 2 shown]
	ds_read_b64 v[32:33], v93
	v_cndmask_b32_e64 v30, v30, v22, s[24:25]
	v_cndmask_b32_e64 v30, v30, v24, s[26:27]
	;; [unrolled: 1-line block ×4, first 2 shown]
	s_waitcnt lgkmcnt(0)
	v_mul_f64 v[30:31], v[30:31], v[32:33]
	s_cbranch_execz .LBB77_240
	s_branch .LBB77_241
.LBB77_239:
                                        ; implicit-def: $vgpr30_vgpr31
.LBB77_240:
	ds_read_b64 v[30:31], v93
.LBB77_241:
	v_cmp_ne_u32_e32 vcc, 5, v0
	s_and_saveexec_b64 s[12:13], vcc
	s_cbranch_execz .LBB77_245
; %bb.242:
	v_mov_b32_e32 v32, 0x78
	v_lshl_add_u32 v35, v0, 3, v32
	s_mov_b64 s[14:15], 0
	v_pk_mov_b32 v[32:33], v[0:1], v[0:1] op_sel:[0,1]
.LBB77_243:                             ; =>This Inner Loop Header: Depth=1
	v_add_co_u32_e32 v32, vcc, 1, v32
	v_addc_co_u32_e32 v33, vcc, 0, v33, vcc
	v_cmp_eq_u32_e32 vcc, 1, v32
	s_waitcnt vmcnt(1)
	v_cndmask_b32_e32 v38, v3, v5, vcc
	v_cmp_eq_u32_e64 s[10:11], 2, v32
	v_cmp_lt_u32_e64 s[8:9], 4, v32
	v_cndmask_b32_e64 v38, v38, v7, s[10:11]
	v_cndmask_b32_e32 v39, v2, v4, vcc
	v_cmp_eq_u32_e32 vcc, 3, v32
	s_or_b64 s[14:15], s[8:9], s[14:15]
	v_cndmask_b32_e32 v38, v38, v9, vcc
	v_cndmask_b32_e64 v39, v39, v6, s[10:11]
	v_cmp_eq_u32_e64 s[8:9], 4, v32
	v_cndmask_b32_e64 v38, v38, v11, s[8:9]
	v_cndmask_b32_e32 v39, v39, v8, vcc
	v_cmp_eq_u32_e32 vcc, 5, v32
	v_cndmask_b32_e32 v38, v38, v13, vcc
	v_cndmask_b32_e64 v39, v39, v10, s[8:9]
	v_cmp_eq_u32_e64 s[8:9], 6, v32
	v_cndmask_b32_e64 v38, v38, v15, s[8:9]
	v_cndmask_b32_e32 v39, v39, v12, vcc
	v_cmp_eq_u32_e32 vcc, 7, v32
	;; [unrolled: 6-line block ×3, first 2 shown]
	v_cndmask_b32_e32 v38, v38, v21, vcc
	v_cndmask_b32_e64 v39, v39, v18, s[8:9]
	v_cmp_eq_u32_e64 s[8:9], 10, v32
	ds_read_b64 v[36:37], v35
	v_cndmask_b32_e64 v38, v38, v23, s[8:9]
	v_cndmask_b32_e32 v39, v39, v20, vcc
	v_cmp_eq_u32_e32 vcc, 11, v32
	v_cndmask_b32_e32 v38, v38, v25, vcc
	v_cndmask_b32_e64 v39, v39, v22, s[8:9]
	v_cmp_eq_u32_e64 s[8:9], 12, v32
	v_cndmask_b32_e64 v38, v38, v27, s[8:9]
	v_cndmask_b32_e32 v40, v39, v24, vcc
	v_cmp_eq_u32_e32 vcc, 13, v32
	s_waitcnt vmcnt(0)
	v_cndmask_b32_e32 v39, v38, v29, vcc
	v_cndmask_b32_e64 v38, v40, v26, s[8:9]
	v_cndmask_b32_e32 v38, v38, v28, vcc
	v_add_u32_e32 v35, 8, v35
	s_waitcnt lgkmcnt(0)
	v_fmac_f64_e32 v[30:31], v[38:39], v[36:37]
	s_andn2_b64 exec, exec, s[14:15]
	s_cbranch_execnz .LBB77_243
; %bb.244:
	s_or_b64 exec, exec, s[14:15]
.LBB77_245:
	s_or_b64 exec, exec, s[12:13]
	v_mov_b32_e32 v14, 0
	ds_read_b64 v[14:15], v14 offset:48
	s_waitcnt lgkmcnt(0)
	v_mul_f64 v[14:15], v[30:31], v[14:15]
.LBB77_246:
	s_or_b64 exec, exec, s[34:35]
	v_cmp_gt_u32_e64 s[8:9], 7, v0
	s_waitcnt vmcnt(7)
	ds_write_b64 v93, v[16:17]
	s_waitcnt lgkmcnt(0)
	; wave barrier
	s_waitcnt lgkmcnt(0)
	s_and_saveexec_b64 s[36:37], s[8:9]
	s_cbranch_execz .LBB77_256
; %bb.247:
	s_and_b64 vcc, exec, s[0:1]
	s_cbranch_vccnz .LBB77_249
; %bb.248:
	v_cmp_eq_u32_e32 vcc, 1, v0
	s_waitcnt vmcnt(1)
	v_cndmask_b32_e32 v30, v3, v5, vcc
	v_cmp_eq_u32_e64 s[10:11], 2, v0
	v_cndmask_b32_e64 v30, v30, v7, s[10:11]
	v_cmp_eq_u32_e64 s[12:13], 3, v0
	v_cndmask_b32_e64 v30, v30, v9, s[12:13]
	;; [unrolled: 2-line block ×11, first 2 shown]
	v_cmp_eq_u32_e64 s[34:35], 13, v0
	s_waitcnt vmcnt(0)
	v_cndmask_b32_e64 v31, v30, v29, s[34:35]
	v_cndmask_b32_e32 v30, v2, v4, vcc
	v_cndmask_b32_e64 v30, v30, v6, s[10:11]
	v_cndmask_b32_e64 v30, v30, v8, s[12:13]
	;; [unrolled: 1-line block ×8, first 2 shown]
	ds_read_b64 v[32:33], v93
	v_cndmask_b32_e64 v30, v30, v22, s[26:27]
	v_cndmask_b32_e64 v30, v30, v24, s[28:29]
	;; [unrolled: 1-line block ×4, first 2 shown]
	s_waitcnt lgkmcnt(0)
	v_mul_f64 v[30:31], v[30:31], v[32:33]
	s_cbranch_execz .LBB77_250
	s_branch .LBB77_251
.LBB77_249:
                                        ; implicit-def: $vgpr30_vgpr31
.LBB77_250:
	ds_read_b64 v[30:31], v93
.LBB77_251:
	v_cmp_ne_u32_e32 vcc, 6, v0
	s_and_saveexec_b64 s[14:15], vcc
	s_cbranch_execz .LBB77_255
; %bb.252:
	v_mov_b32_e32 v32, 0x78
	v_lshl_add_u32 v35, v0, 3, v32
	s_mov_b64 s[16:17], 0
	v_pk_mov_b32 v[32:33], v[0:1], v[0:1] op_sel:[0,1]
.LBB77_253:                             ; =>This Inner Loop Header: Depth=1
	v_add_co_u32_e32 v32, vcc, 1, v32
	v_addc_co_u32_e32 v33, vcc, 0, v33, vcc
	v_cmp_eq_u32_e32 vcc, 1, v32
	s_waitcnt vmcnt(1)
	v_cndmask_b32_e32 v38, v3, v5, vcc
	v_cmp_eq_u32_e64 s[12:13], 2, v32
	v_cmp_lt_u32_e64 s[10:11], 5, v32
	v_cndmask_b32_e64 v38, v38, v7, s[12:13]
	v_cndmask_b32_e32 v39, v2, v4, vcc
	v_cmp_eq_u32_e32 vcc, 3, v32
	s_or_b64 s[16:17], s[10:11], s[16:17]
	v_cndmask_b32_e32 v38, v38, v9, vcc
	v_cndmask_b32_e64 v39, v39, v6, s[12:13]
	v_cmp_eq_u32_e64 s[10:11], 4, v32
	v_cndmask_b32_e64 v38, v38, v11, s[10:11]
	v_cndmask_b32_e32 v39, v39, v8, vcc
	v_cmp_eq_u32_e32 vcc, 5, v32
	v_cndmask_b32_e32 v38, v38, v13, vcc
	v_cndmask_b32_e64 v39, v39, v10, s[10:11]
	v_cmp_eq_u32_e64 s[10:11], 6, v32
	v_cndmask_b32_e64 v38, v38, v15, s[10:11]
	v_cndmask_b32_e32 v39, v39, v12, vcc
	v_cmp_eq_u32_e32 vcc, 7, v32
	;; [unrolled: 6-line block ×3, first 2 shown]
	v_cndmask_b32_e32 v38, v38, v21, vcc
	v_cndmask_b32_e64 v39, v39, v18, s[10:11]
	v_cmp_eq_u32_e64 s[10:11], 10, v32
	ds_read_b64 v[36:37], v35
	v_cndmask_b32_e64 v38, v38, v23, s[10:11]
	v_cndmask_b32_e32 v39, v39, v20, vcc
	v_cmp_eq_u32_e32 vcc, 11, v32
	v_cndmask_b32_e32 v38, v38, v25, vcc
	v_cndmask_b32_e64 v39, v39, v22, s[10:11]
	v_cmp_eq_u32_e64 s[10:11], 12, v32
	v_cndmask_b32_e64 v38, v38, v27, s[10:11]
	v_cndmask_b32_e32 v40, v39, v24, vcc
	v_cmp_eq_u32_e32 vcc, 13, v32
	s_waitcnt vmcnt(0)
	v_cndmask_b32_e32 v39, v38, v29, vcc
	v_cndmask_b32_e64 v38, v40, v26, s[10:11]
	v_cndmask_b32_e32 v38, v38, v28, vcc
	v_add_u32_e32 v35, 8, v35
	s_waitcnt lgkmcnt(0)
	v_fmac_f64_e32 v[30:31], v[38:39], v[36:37]
	s_andn2_b64 exec, exec, s[16:17]
	s_cbranch_execnz .LBB77_253
; %bb.254:
	s_or_b64 exec, exec, s[16:17]
.LBB77_255:
	s_or_b64 exec, exec, s[14:15]
	v_mov_b32_e32 v16, 0
	ds_read_b64 v[16:17], v16 offset:56
	s_waitcnt lgkmcnt(0)
	v_mul_f64 v[16:17], v[30:31], v[16:17]
.LBB77_256:
	s_or_b64 exec, exec, s[36:37]
	v_cmp_gt_u32_e32 vcc, 8, v0
	s_waitcnt vmcnt(6)
	ds_write_b64 v93, v[18:19]
	s_waitcnt lgkmcnt(0)
	; wave barrier
	s_waitcnt lgkmcnt(0)
	s_and_saveexec_b64 s[36:37], vcc
	s_cbranch_execz .LBB77_266
; %bb.257:
	s_and_b64 vcc, exec, s[0:1]
	s_cbranch_vccnz .LBB77_259
; %bb.258:
	v_cmp_eq_u32_e32 vcc, 1, v0
	s_waitcnt vmcnt(1)
	v_cndmask_b32_e32 v30, v3, v5, vcc
	v_cmp_eq_u32_e64 s[10:11], 2, v0
	v_cndmask_b32_e64 v30, v30, v7, s[10:11]
	v_cmp_eq_u32_e64 s[12:13], 3, v0
	v_cndmask_b32_e64 v30, v30, v9, s[12:13]
	;; [unrolled: 2-line block ×11, first 2 shown]
	v_cmp_eq_u32_e64 s[34:35], 13, v0
	s_waitcnt vmcnt(0)
	v_cndmask_b32_e64 v31, v30, v29, s[34:35]
	v_cndmask_b32_e32 v30, v2, v4, vcc
	v_cndmask_b32_e64 v30, v30, v6, s[10:11]
	v_cndmask_b32_e64 v30, v30, v8, s[12:13]
	;; [unrolled: 1-line block ×8, first 2 shown]
	ds_read_b64 v[32:33], v93
	v_cndmask_b32_e64 v30, v30, v22, s[26:27]
	v_cndmask_b32_e64 v30, v30, v24, s[28:29]
	;; [unrolled: 1-line block ×4, first 2 shown]
	s_waitcnt lgkmcnt(0)
	v_mul_f64 v[30:31], v[30:31], v[32:33]
	s_cbranch_execz .LBB77_260
	s_branch .LBB77_261
.LBB77_259:
                                        ; implicit-def: $vgpr30_vgpr31
.LBB77_260:
	ds_read_b64 v[30:31], v93
.LBB77_261:
	v_cmp_ne_u32_e32 vcc, 7, v0
	s_and_saveexec_b64 s[14:15], vcc
	s_cbranch_execz .LBB77_265
; %bb.262:
	v_mov_b32_e32 v32, 0x78
	v_lshl_add_u32 v35, v0, 3, v32
	s_mov_b64 s[16:17], 0
	v_pk_mov_b32 v[32:33], v[0:1], v[0:1] op_sel:[0,1]
.LBB77_263:                             ; =>This Inner Loop Header: Depth=1
	v_add_co_u32_e32 v32, vcc, 1, v32
	v_addc_co_u32_e32 v33, vcc, 0, v33, vcc
	v_cmp_eq_u32_e32 vcc, 1, v32
	s_waitcnt vmcnt(1)
	v_cndmask_b32_e32 v38, v3, v5, vcc
	v_cmp_eq_u32_e64 s[12:13], 2, v32
	v_cmp_lt_u32_e64 s[10:11], 6, v32
	v_cndmask_b32_e64 v38, v38, v7, s[12:13]
	v_cndmask_b32_e32 v39, v2, v4, vcc
	v_cmp_eq_u32_e32 vcc, 3, v32
	s_or_b64 s[16:17], s[10:11], s[16:17]
	v_cndmask_b32_e32 v38, v38, v9, vcc
	v_cndmask_b32_e64 v39, v39, v6, s[12:13]
	v_cmp_eq_u32_e64 s[10:11], 4, v32
	v_cndmask_b32_e64 v38, v38, v11, s[10:11]
	v_cndmask_b32_e32 v39, v39, v8, vcc
	v_cmp_eq_u32_e32 vcc, 5, v32
	v_cndmask_b32_e32 v38, v38, v13, vcc
	v_cndmask_b32_e64 v39, v39, v10, s[10:11]
	v_cmp_eq_u32_e64 s[10:11], 6, v32
	v_cndmask_b32_e64 v38, v38, v15, s[10:11]
	v_cndmask_b32_e32 v39, v39, v12, vcc
	v_cmp_eq_u32_e32 vcc, 7, v32
	;; [unrolled: 6-line block ×3, first 2 shown]
	v_cndmask_b32_e32 v38, v38, v21, vcc
	v_cndmask_b32_e64 v39, v39, v18, s[10:11]
	v_cmp_eq_u32_e64 s[10:11], 10, v32
	ds_read_b64 v[36:37], v35
	v_cndmask_b32_e64 v38, v38, v23, s[10:11]
	v_cndmask_b32_e32 v39, v39, v20, vcc
	v_cmp_eq_u32_e32 vcc, 11, v32
	v_cndmask_b32_e32 v38, v38, v25, vcc
	v_cndmask_b32_e64 v39, v39, v22, s[10:11]
	v_cmp_eq_u32_e64 s[10:11], 12, v32
	v_cndmask_b32_e64 v38, v38, v27, s[10:11]
	v_cndmask_b32_e32 v40, v39, v24, vcc
	v_cmp_eq_u32_e32 vcc, 13, v32
	s_waitcnt vmcnt(0)
	v_cndmask_b32_e32 v39, v38, v29, vcc
	v_cndmask_b32_e64 v38, v40, v26, s[10:11]
	v_cndmask_b32_e32 v38, v38, v28, vcc
	v_add_u32_e32 v35, 8, v35
	s_waitcnt lgkmcnt(0)
	v_fmac_f64_e32 v[30:31], v[38:39], v[36:37]
	s_andn2_b64 exec, exec, s[16:17]
	s_cbranch_execnz .LBB77_263
; %bb.264:
	s_or_b64 exec, exec, s[16:17]
.LBB77_265:
	s_or_b64 exec, exec, s[14:15]
	v_mov_b32_e32 v18, 0
	ds_read_b64 v[18:19], v18 offset:64
	s_waitcnt lgkmcnt(0)
	v_mul_f64 v[18:19], v[30:31], v[18:19]
.LBB77_266:
	s_or_b64 exec, exec, s[36:37]
	v_cmp_gt_u32_e32 vcc, 9, v0
	s_waitcnt vmcnt(5)
	ds_write_b64 v93, v[20:21]
	s_waitcnt lgkmcnt(0)
	; wave barrier
	s_waitcnt lgkmcnt(0)
	s_and_saveexec_b64 s[36:37], vcc
	s_cbranch_execz .LBB77_288
; %bb.267:
	s_and_b64 vcc, exec, s[0:1]
	s_cbranch_vccnz .LBB77_269
; %bb.268:
	v_cmp_eq_u32_e32 vcc, 1, v0
	s_waitcnt vmcnt(1)
	v_cndmask_b32_e32 v30, v3, v5, vcc
	v_cmp_eq_u32_e64 s[10:11], 2, v0
	v_cndmask_b32_e64 v30, v30, v7, s[10:11]
	v_cmp_eq_u32_e64 s[12:13], 3, v0
	v_cndmask_b32_e64 v30, v30, v9, s[12:13]
	;; [unrolled: 2-line block ×11, first 2 shown]
	v_cmp_eq_u32_e64 s[34:35], 13, v0
	s_waitcnt vmcnt(0)
	v_cndmask_b32_e64 v31, v30, v29, s[34:35]
	v_cndmask_b32_e32 v30, v2, v4, vcc
	v_cndmask_b32_e64 v30, v30, v6, s[10:11]
	v_cndmask_b32_e64 v30, v30, v8, s[12:13]
	;; [unrolled: 1-line block ×8, first 2 shown]
	ds_read_b64 v[32:33], v93
	v_cndmask_b32_e64 v30, v30, v22, s[26:27]
	v_cndmask_b32_e64 v30, v30, v24, s[28:29]
	;; [unrolled: 1-line block ×4, first 2 shown]
	s_waitcnt lgkmcnt(0)
	v_mul_f64 v[30:31], v[30:31], v[32:33]
	s_cbranch_execz .LBB77_270
	s_branch .LBB77_271
.LBB77_269:
                                        ; implicit-def: $vgpr30_vgpr31
.LBB77_270:
	ds_read_b64 v[30:31], v93
.LBB77_271:
	v_cmp_ne_u32_e32 vcc, 8, v0
	s_and_saveexec_b64 s[38:39], vcc
	s_cbranch_execz .LBB77_287
; %bb.272:
	v_cmp_eq_u32_e32 vcc, 1, v34
	s_waitcnt vmcnt(1)
	v_cndmask_b32_e32 v32, v3, v5, vcc
	v_cmp_eq_u32_e64 s[10:11], 2, v34
	v_cndmask_b32_e64 v32, v32, v7, s[10:11]
	v_cmp_eq_u32_e64 s[12:13], 3, v34
	v_cndmask_b32_e64 v32, v32, v9, s[12:13]
	;; [unrolled: 2-line block ×11, first 2 shown]
	v_cmp_eq_u32_e64 s[34:35], 13, v34
	s_waitcnt vmcnt(0)
	v_cndmask_b32_e64 v33, v32, v29, s[34:35]
	v_cndmask_b32_e32 v32, v2, v4, vcc
	v_cndmask_b32_e64 v32, v32, v6, s[10:11]
	v_cndmask_b32_e64 v32, v32, v8, s[12:13]
	;; [unrolled: 1-line block ×8, first 2 shown]
	ds_read_b64 v[34:35], v93 offset:8
	v_cndmask_b32_e64 v32, v32, v22, s[26:27]
	v_cndmask_b32_e64 v32, v32, v24, s[28:29]
	;; [unrolled: 1-line block ×4, first 2 shown]
	s_waitcnt lgkmcnt(0)
	v_fmac_f64_e32 v[30:31], v[32:33], v[34:35]
	s_and_saveexec_b64 s[34:35], s[8:9]
	s_cbranch_execz .LBB77_286
; %bb.273:
	v_add_u32_e32 v32, 2, v0
	v_cmp_eq_u32_e32 vcc, 1, v32
	v_cndmask_b32_e32 v33, v3, v5, vcc
	v_cmp_eq_u32_e64 s[8:9], 2, v32
	v_cmp_eq_u32_e64 s[10:11], 3, v32
	;; [unrolled: 1-line block ×12, first 2 shown]
	v_cndmask_b32_e32 v32, v2, v4, vcc
	v_cndmask_b32_e64 v33, v33, v7, s[8:9]
	v_cndmask_b32_e64 v32, v32, v6, s[8:9]
	;; [unrolled: 1-line block ×16, first 2 shown]
	ds_read_b64 v[34:35], v93 offset:16
	v_cndmask_b32_e64 v33, v33, v23, s[24:25]
	v_cndmask_b32_e64 v32, v32, v22, s[24:25]
	;; [unrolled: 1-line block ×8, first 2 shown]
	s_waitcnt lgkmcnt(0)
	v_fmac_f64_e32 v[30:31], v[32:33], v[34:35]
	v_cmp_ne_u32_e32 vcc, 6, v0
	s_and_saveexec_b64 s[40:41], vcc
	s_cbranch_execz .LBB77_285
; %bb.274:
	v_add_u32_e32 v32, 3, v0
	v_cmp_eq_u32_e32 vcc, 1, v32
	v_cndmask_b32_e32 v33, v3, v5, vcc
	v_cmp_eq_u32_e64 s[8:9], 2, v32
	v_cmp_eq_u32_e64 s[10:11], 3, v32
	;; [unrolled: 1-line block ×12, first 2 shown]
	v_cndmask_b32_e32 v32, v2, v4, vcc
	v_cndmask_b32_e64 v33, v33, v7, s[8:9]
	v_cndmask_b32_e64 v32, v32, v6, s[8:9]
	;; [unrolled: 1-line block ×16, first 2 shown]
	ds_read_b64 v[34:35], v93 offset:24
	v_cndmask_b32_e64 v33, v33, v23, s[24:25]
	v_cndmask_b32_e64 v32, v32, v22, s[24:25]
	;; [unrolled: 1-line block ×8, first 2 shown]
	s_waitcnt lgkmcnt(0)
	v_fmac_f64_e32 v[30:31], v[32:33], v[34:35]
	s_and_saveexec_b64 s[30:31], s[6:7]
	s_cbranch_execz .LBB77_284
; %bb.275:
	v_add_u32_e32 v32, 4, v0
	v_cmp_eq_u32_e32 vcc, 1, v32
	v_cndmask_b32_e32 v33, v3, v5, vcc
	v_cmp_eq_u32_e64 s[6:7], 2, v32
	v_cmp_eq_u32_e64 s[8:9], 3, v32
	;; [unrolled: 1-line block ×12, first 2 shown]
	v_cndmask_b32_e32 v32, v2, v4, vcc
	v_cndmask_b32_e64 v33, v33, v7, s[6:7]
	v_cndmask_b32_e64 v32, v32, v6, s[6:7]
	;; [unrolled: 1-line block ×16, first 2 shown]
	ds_read_b64 v[34:35], v93 offset:32
	v_cndmask_b32_e64 v33, v33, v23, s[22:23]
	v_cndmask_b32_e64 v32, v32, v22, s[22:23]
	;; [unrolled: 1-line block ×8, first 2 shown]
	s_waitcnt lgkmcnt(0)
	v_fmac_f64_e32 v[30:31], v[32:33], v[34:35]
	v_cmp_ne_u32_e32 vcc, 4, v0
	s_and_saveexec_b64 s[42:43], vcc
	s_cbranch_execz .LBB77_283
; %bb.276:
	v_add_u32_e32 v32, 5, v0
	v_cmp_eq_u32_e32 vcc, 1, v32
	v_cndmask_b32_e32 v33, v3, v5, vcc
	v_cmp_eq_u32_e64 s[6:7], 2, v32
	v_cmp_eq_u32_e64 s[8:9], 3, v32
	;; [unrolled: 1-line block ×12, first 2 shown]
	v_cndmask_b32_e32 v32, v2, v4, vcc
	v_cndmask_b32_e64 v33, v33, v7, s[6:7]
	v_cndmask_b32_e64 v32, v32, v6, s[6:7]
	v_cndmask_b32_e64 v33, v33, v9, s[8:9]
	v_cndmask_b32_e64 v32, v32, v8, s[8:9]
	v_cndmask_b32_e64 v33, v33, v11, s[10:11]
	v_cndmask_b32_e64 v32, v32, v10, s[10:11]
	v_cndmask_b32_e64 v33, v33, v13, s[12:13]
	v_cndmask_b32_e64 v32, v32, v12, s[12:13]
	v_cndmask_b32_e64 v33, v33, v15, s[14:15]
	v_cndmask_b32_e64 v32, v32, v14, s[14:15]
	v_cndmask_b32_e64 v33, v33, v17, s[16:17]
	v_cndmask_b32_e64 v32, v32, v16, s[16:17]
	v_cndmask_b32_e64 v33, v33, v19, s[18:19]
	v_cndmask_b32_e64 v32, v32, v18, s[18:19]
	v_cndmask_b32_e64 v33, v33, v21, s[20:21]
	v_cndmask_b32_e64 v32, v32, v20, s[20:21]
	ds_read_b64 v[34:35], v93 offset:40
	v_cndmask_b32_e64 v33, v33, v23, s[22:23]
	v_cndmask_b32_e64 v32, v32, v22, s[22:23]
	;; [unrolled: 1-line block ×8, first 2 shown]
	s_waitcnt lgkmcnt(0)
	v_fmac_f64_e32 v[30:31], v[32:33], v[34:35]
	s_and_saveexec_b64 s[28:29], s[4:5]
	s_cbranch_execz .LBB77_282
; %bb.277:
	v_add_u32_e32 v32, 6, v0
	v_cmp_eq_u32_e32 vcc, 1, v32
	v_cndmask_b32_e32 v33, v3, v5, vcc
	v_cmp_eq_u32_e64 s[4:5], 2, v32
	v_cmp_eq_u32_e64 s[6:7], 3, v32
	;; [unrolled: 1-line block ×12, first 2 shown]
	v_cndmask_b32_e32 v32, v2, v4, vcc
	v_cndmask_b32_e64 v33, v33, v7, s[4:5]
	v_cndmask_b32_e64 v32, v32, v6, s[4:5]
	;; [unrolled: 1-line block ×16, first 2 shown]
	ds_read_b64 v[34:35], v93 offset:48
	v_cndmask_b32_e64 v33, v33, v23, s[20:21]
	v_cndmask_b32_e64 v32, v32, v22, s[20:21]
	;; [unrolled: 1-line block ×8, first 2 shown]
	s_waitcnt lgkmcnt(0)
	v_fmac_f64_e32 v[30:31], v[32:33], v[34:35]
	v_cmp_ne_u32_e32 vcc, 2, v0
	s_and_saveexec_b64 s[44:45], vcc
	s_cbranch_execz .LBB77_281
; %bb.278:
	v_add_u32_e32 v32, 7, v0
	v_cmp_eq_u32_e32 vcc, 1, v32
	v_cndmask_b32_e32 v33, v3, v5, vcc
	v_cmp_eq_u32_e64 s[4:5], 2, v32
	v_cmp_eq_u32_e64 s[6:7], 3, v32
	;; [unrolled: 1-line block ×12, first 2 shown]
	v_cndmask_b32_e32 v32, v2, v4, vcc
	v_cndmask_b32_e64 v33, v33, v7, s[4:5]
	v_cndmask_b32_e64 v32, v32, v6, s[4:5]
	;; [unrolled: 1-line block ×16, first 2 shown]
	ds_read_b64 v[32:33], v93 offset:56
	v_cndmask_b32_e64 v21, v21, v23, s[20:21]
	v_cndmask_b32_e64 v20, v20, v22, s[20:21]
	;; [unrolled: 1-line block ×8, first 2 shown]
	s_waitcnt lgkmcnt(0)
	v_fmac_f64_e32 v[30:31], v[20:21], v[32:33]
	s_and_saveexec_b64 s[4:5], s[2:3]
	s_cbranch_execz .LBB77_280
; %bb.279:
	ds_read_b64 v[20:21], v93 offset:64
	s_waitcnt lgkmcnt(0)
	v_fmac_f64_e32 v[30:31], v[18:19], v[20:21]
.LBB77_280:
	s_or_b64 exec, exec, s[4:5]
.LBB77_281:
	s_or_b64 exec, exec, s[44:45]
.LBB77_282:
	s_or_b64 exec, exec, s[28:29]
.LBB77_283:
	s_or_b64 exec, exec, s[42:43]
.LBB77_284:
	s_or_b64 exec, exec, s[30:31]
.LBB77_285:
	s_or_b64 exec, exec, s[40:41]
.LBB77_286:
	s_or_b64 exec, exec, s[34:35]
.LBB77_287:
	s_or_b64 exec, exec, s[38:39]
	v_mov_b32_e32 v20, 0
	ds_read_b64 v[20:21], v20 offset:72
	s_waitcnt lgkmcnt(0)
	v_mul_f64 v[20:21], v[30:31], v[20:21]
.LBB77_288:
	s_or_b64 exec, exec, s[36:37]
	v_cmp_gt_u32_e32 vcc, 10, v0
	s_waitcnt vmcnt(4)
	ds_write_b64 v93, v[22:23]
	s_waitcnt lgkmcnt(0)
	; wave barrier
	s_waitcnt lgkmcnt(0)
	s_and_saveexec_b64 s[26:27], vcc
	s_cbranch_execz .LBB77_298
; %bb.289:
	s_and_b64 vcc, exec, s[0:1]
	s_cbranch_vccnz .LBB77_291
; %bb.290:
	v_cmp_eq_u32_e32 vcc, 1, v0
	s_waitcnt vmcnt(1)
	v_cndmask_b32_e32 v30, v3, v5, vcc
	v_cmp_eq_u32_e64 s[2:3], 2, v0
	v_cndmask_b32_e64 v30, v30, v7, s[2:3]
	v_cmp_eq_u32_e64 s[4:5], 3, v0
	v_cndmask_b32_e64 v30, v30, v9, s[4:5]
	;; [unrolled: 2-line block ×11, first 2 shown]
	v_cmp_eq_u32_e64 s[24:25], 13, v0
	s_waitcnt vmcnt(0)
	v_cndmask_b32_e64 v31, v30, v29, s[24:25]
	v_cndmask_b32_e32 v30, v2, v4, vcc
	v_cndmask_b32_e64 v30, v30, v6, s[2:3]
	v_cndmask_b32_e64 v30, v30, v8, s[4:5]
	v_cndmask_b32_e64 v30, v30, v10, s[6:7]
	v_cndmask_b32_e64 v30, v30, v12, s[8:9]
	v_cndmask_b32_e64 v30, v30, v14, s[10:11]
	v_cndmask_b32_e64 v30, v30, v16, s[12:13]
	v_cndmask_b32_e64 v30, v30, v18, s[14:15]
	v_cndmask_b32_e64 v30, v30, v20, s[16:17]
	ds_read_b64 v[32:33], v93
	v_cndmask_b32_e64 v30, v30, v22, s[18:19]
	v_cndmask_b32_e64 v30, v30, v24, s[20:21]
	;; [unrolled: 1-line block ×4, first 2 shown]
	s_waitcnt lgkmcnt(0)
	v_mul_f64 v[30:31], v[30:31], v[32:33]
	s_cbranch_execz .LBB77_292
	s_branch .LBB77_293
.LBB77_291:
                                        ; implicit-def: $vgpr30_vgpr31
.LBB77_292:
	ds_read_b64 v[30:31], v93
.LBB77_293:
	v_cmp_ne_u32_e32 vcc, 9, v0
	s_and_saveexec_b64 s[6:7], vcc
	s_cbranch_execz .LBB77_297
; %bb.294:
	v_mov_b32_e32 v32, 0x78
	v_lshl_add_u32 v34, v0, 3, v32
	s_mov_b64 s[8:9], 0
	v_pk_mov_b32 v[32:33], v[0:1], v[0:1] op_sel:[0,1]
.LBB77_295:                             ; =>This Inner Loop Header: Depth=1
	v_add_co_u32_e32 v32, vcc, 1, v32
	v_addc_co_u32_e32 v33, vcc, 0, v33, vcc
	v_cmp_eq_u32_e32 vcc, 1, v32
	s_waitcnt vmcnt(1)
	v_cndmask_b32_e32 v35, v3, v5, vcc
	v_cmp_eq_u32_e64 s[4:5], 2, v32
	v_cmp_lt_u32_e64 s[2:3], 8, v32
	v_cndmask_b32_e64 v35, v35, v7, s[4:5]
	v_cndmask_b32_e32 v38, v2, v4, vcc
	v_cmp_eq_u32_e32 vcc, 3, v32
	s_or_b64 s[8:9], s[2:3], s[8:9]
	v_cndmask_b32_e32 v35, v35, v9, vcc
	v_cndmask_b32_e64 v38, v38, v6, s[4:5]
	v_cmp_eq_u32_e64 s[2:3], 4, v32
	v_cndmask_b32_e64 v35, v35, v11, s[2:3]
	v_cndmask_b32_e32 v38, v38, v8, vcc
	v_cmp_eq_u32_e32 vcc, 5, v32
	v_cndmask_b32_e32 v35, v35, v13, vcc
	v_cndmask_b32_e64 v38, v38, v10, s[2:3]
	v_cmp_eq_u32_e64 s[2:3], 6, v32
	v_cndmask_b32_e64 v35, v35, v15, s[2:3]
	v_cndmask_b32_e32 v38, v38, v12, vcc
	v_cmp_eq_u32_e32 vcc, 7, v32
	;; [unrolled: 6-line block ×3, first 2 shown]
	v_cndmask_b32_e32 v35, v35, v21, vcc
	v_cndmask_b32_e64 v38, v38, v18, s[2:3]
	v_cmp_eq_u32_e64 s[2:3], 10, v32
	ds_read_b64 v[36:37], v34
	v_cndmask_b32_e64 v35, v35, v23, s[2:3]
	v_cndmask_b32_e32 v38, v38, v20, vcc
	v_cmp_eq_u32_e32 vcc, 11, v32
	v_cndmask_b32_e32 v35, v35, v25, vcc
	v_cndmask_b32_e64 v38, v38, v22, s[2:3]
	v_cmp_eq_u32_e64 s[2:3], 12, v32
	v_cndmask_b32_e64 v35, v35, v27, s[2:3]
	v_cndmask_b32_e32 v38, v38, v24, vcc
	v_cmp_eq_u32_e32 vcc, 13, v32
	s_waitcnt vmcnt(0)
	v_cndmask_b32_e32 v39, v35, v29, vcc
	v_cndmask_b32_e64 v35, v38, v26, s[2:3]
	v_cndmask_b32_e32 v38, v35, v28, vcc
	v_add_u32_e32 v34, 8, v34
	s_waitcnt lgkmcnt(0)
	v_fmac_f64_e32 v[30:31], v[38:39], v[36:37]
	s_andn2_b64 exec, exec, s[8:9]
	s_cbranch_execnz .LBB77_295
; %bb.296:
	s_or_b64 exec, exec, s[8:9]
.LBB77_297:
	s_or_b64 exec, exec, s[6:7]
	v_mov_b32_e32 v22, 0
	ds_read_b64 v[22:23], v22 offset:80
	s_waitcnt lgkmcnt(0)
	v_mul_f64 v[22:23], v[30:31], v[22:23]
.LBB77_298:
	s_or_b64 exec, exec, s[26:27]
	v_cmp_gt_u32_e32 vcc, 11, v0
	s_waitcnt vmcnt(3)
	ds_write_b64 v93, v[24:25]
	s_waitcnt lgkmcnt(0)
	; wave barrier
	s_waitcnt lgkmcnt(0)
	s_and_saveexec_b64 s[26:27], vcc
	s_cbranch_execz .LBB77_308
; %bb.299:
	s_and_b64 vcc, exec, s[0:1]
	s_cbranch_vccnz .LBB77_301
; %bb.300:
	v_cmp_eq_u32_e32 vcc, 1, v0
	s_waitcnt vmcnt(1)
	v_cndmask_b32_e32 v30, v3, v5, vcc
	v_cmp_eq_u32_e64 s[2:3], 2, v0
	v_cndmask_b32_e64 v30, v30, v7, s[2:3]
	v_cmp_eq_u32_e64 s[4:5], 3, v0
	v_cndmask_b32_e64 v30, v30, v9, s[4:5]
	;; [unrolled: 2-line block ×11, first 2 shown]
	v_cmp_eq_u32_e64 s[24:25], 13, v0
	s_waitcnt vmcnt(0)
	v_cndmask_b32_e64 v31, v30, v29, s[24:25]
	v_cndmask_b32_e32 v30, v2, v4, vcc
	v_cndmask_b32_e64 v30, v30, v6, s[2:3]
	v_cndmask_b32_e64 v30, v30, v8, s[4:5]
	;; [unrolled: 1-line block ×8, first 2 shown]
	ds_read_b64 v[32:33], v93
	v_cndmask_b32_e64 v30, v30, v22, s[18:19]
	v_cndmask_b32_e64 v30, v30, v24, s[20:21]
	;; [unrolled: 1-line block ×4, first 2 shown]
	s_waitcnt lgkmcnt(0)
	v_mul_f64 v[30:31], v[30:31], v[32:33]
	s_cbranch_execz .LBB77_302
	s_branch .LBB77_303
.LBB77_301:
                                        ; implicit-def: $vgpr30_vgpr31
.LBB77_302:
	ds_read_b64 v[30:31], v93
.LBB77_303:
	v_cmp_ne_u32_e32 vcc, 10, v0
	s_and_saveexec_b64 s[6:7], vcc
	s_cbranch_execz .LBB77_307
; %bb.304:
	v_mov_b32_e32 v32, 0x78
	v_lshl_add_u32 v34, v0, 3, v32
	s_mov_b64 s[8:9], 0
	v_pk_mov_b32 v[32:33], v[0:1], v[0:1] op_sel:[0,1]
.LBB77_305:                             ; =>This Inner Loop Header: Depth=1
	v_add_co_u32_e32 v32, vcc, 1, v32
	v_addc_co_u32_e32 v33, vcc, 0, v33, vcc
	v_cmp_eq_u32_e32 vcc, 1, v32
	s_waitcnt vmcnt(1)
	v_cndmask_b32_e32 v35, v3, v5, vcc
	v_cmp_eq_u32_e64 s[4:5], 2, v32
	v_cmp_lt_u32_e64 s[2:3], 9, v32
	v_cndmask_b32_e64 v35, v35, v7, s[4:5]
	v_cndmask_b32_e32 v38, v2, v4, vcc
	v_cmp_eq_u32_e32 vcc, 3, v32
	s_or_b64 s[8:9], s[2:3], s[8:9]
	v_cndmask_b32_e32 v35, v35, v9, vcc
	v_cndmask_b32_e64 v38, v38, v6, s[4:5]
	v_cmp_eq_u32_e64 s[2:3], 4, v32
	v_cndmask_b32_e64 v35, v35, v11, s[2:3]
	v_cndmask_b32_e32 v38, v38, v8, vcc
	v_cmp_eq_u32_e32 vcc, 5, v32
	v_cndmask_b32_e32 v35, v35, v13, vcc
	v_cndmask_b32_e64 v38, v38, v10, s[2:3]
	v_cmp_eq_u32_e64 s[2:3], 6, v32
	v_cndmask_b32_e64 v35, v35, v15, s[2:3]
	v_cndmask_b32_e32 v38, v38, v12, vcc
	v_cmp_eq_u32_e32 vcc, 7, v32
	;; [unrolled: 6-line block ×3, first 2 shown]
	v_cndmask_b32_e32 v35, v35, v21, vcc
	v_cndmask_b32_e64 v38, v38, v18, s[2:3]
	v_cmp_eq_u32_e64 s[2:3], 10, v32
	ds_read_b64 v[36:37], v34
	v_cndmask_b32_e64 v35, v35, v23, s[2:3]
	v_cndmask_b32_e32 v38, v38, v20, vcc
	v_cmp_eq_u32_e32 vcc, 11, v32
	v_cndmask_b32_e32 v35, v35, v25, vcc
	v_cndmask_b32_e64 v38, v38, v22, s[2:3]
	v_cmp_eq_u32_e64 s[2:3], 12, v32
	v_cndmask_b32_e64 v35, v35, v27, s[2:3]
	v_cndmask_b32_e32 v38, v38, v24, vcc
	v_cmp_eq_u32_e32 vcc, 13, v32
	s_waitcnt vmcnt(0)
	v_cndmask_b32_e32 v39, v35, v29, vcc
	v_cndmask_b32_e64 v35, v38, v26, s[2:3]
	v_cndmask_b32_e32 v38, v35, v28, vcc
	v_add_u32_e32 v34, 8, v34
	s_waitcnt lgkmcnt(0)
	v_fmac_f64_e32 v[30:31], v[38:39], v[36:37]
	s_andn2_b64 exec, exec, s[8:9]
	s_cbranch_execnz .LBB77_305
; %bb.306:
	s_or_b64 exec, exec, s[8:9]
.LBB77_307:
	s_or_b64 exec, exec, s[6:7]
	v_mov_b32_e32 v24, 0
	ds_read_b64 v[24:25], v24 offset:88
	s_waitcnt lgkmcnt(0)
	v_mul_f64 v[24:25], v[30:31], v[24:25]
.LBB77_308:
	s_or_b64 exec, exec, s[26:27]
	v_cmp_gt_u32_e64 s[2:3], 12, v0
	s_waitcnt vmcnt(2)
	ds_write_b64 v93, v[26:27]
	s_waitcnt lgkmcnt(0)
	; wave barrier
	s_waitcnt lgkmcnt(0)
	s_and_saveexec_b64 s[28:29], s[2:3]
	s_cbranch_execz .LBB77_318
; %bb.309:
	s_and_b64 vcc, exec, s[0:1]
	s_cbranch_vccnz .LBB77_311
; %bb.310:
	v_cmp_eq_u32_e32 vcc, 1, v0
	s_waitcnt vmcnt(1)
	v_cndmask_b32_e32 v30, v3, v5, vcc
	v_cmp_eq_u32_e64 s[4:5], 2, v0
	v_cndmask_b32_e64 v30, v30, v7, s[4:5]
	v_cmp_eq_u32_e64 s[6:7], 3, v0
	v_cndmask_b32_e64 v30, v30, v9, s[6:7]
	;; [unrolled: 2-line block ×11, first 2 shown]
	v_cmp_eq_u32_e64 s[26:27], 13, v0
	s_waitcnt vmcnt(0)
	v_cndmask_b32_e64 v31, v30, v29, s[26:27]
	v_cndmask_b32_e32 v30, v2, v4, vcc
	v_cndmask_b32_e64 v30, v30, v6, s[4:5]
	v_cndmask_b32_e64 v30, v30, v8, s[6:7]
	;; [unrolled: 1-line block ×8, first 2 shown]
	ds_read_b64 v[32:33], v93
	v_cndmask_b32_e64 v30, v30, v22, s[20:21]
	v_cndmask_b32_e64 v30, v30, v24, s[22:23]
	v_cndmask_b32_e64 v30, v30, v26, s[24:25]
	v_cndmask_b32_e64 v30, v30, v28, s[26:27]
	s_waitcnt lgkmcnt(0)
	v_mul_f64 v[30:31], v[30:31], v[32:33]
	s_cbranch_execz .LBB77_312
	s_branch .LBB77_313
.LBB77_311:
                                        ; implicit-def: $vgpr30_vgpr31
.LBB77_312:
	ds_read_b64 v[30:31], v93
.LBB77_313:
	v_cmp_ne_u32_e32 vcc, 11, v0
	s_and_saveexec_b64 s[8:9], vcc
	s_cbranch_execz .LBB77_317
; %bb.314:
	v_mov_b32_e32 v32, 0x78
	v_lshl_add_u32 v34, v0, 3, v32
	s_mov_b64 s[10:11], 0
	v_pk_mov_b32 v[32:33], v[0:1], v[0:1] op_sel:[0,1]
.LBB77_315:                             ; =>This Inner Loop Header: Depth=1
	v_add_co_u32_e32 v32, vcc, 1, v32
	v_addc_co_u32_e32 v33, vcc, 0, v33, vcc
	v_cmp_eq_u32_e32 vcc, 1, v32
	s_waitcnt vmcnt(1)
	v_cndmask_b32_e32 v35, v3, v5, vcc
	v_cmp_eq_u32_e64 s[6:7], 2, v32
	v_cmp_lt_u32_e64 s[4:5], 10, v32
	v_cndmask_b32_e64 v35, v35, v7, s[6:7]
	v_cndmask_b32_e32 v38, v2, v4, vcc
	v_cmp_eq_u32_e32 vcc, 3, v32
	s_or_b64 s[10:11], s[4:5], s[10:11]
	v_cndmask_b32_e32 v35, v35, v9, vcc
	v_cndmask_b32_e64 v38, v38, v6, s[6:7]
	v_cmp_eq_u32_e64 s[4:5], 4, v32
	v_cndmask_b32_e64 v35, v35, v11, s[4:5]
	v_cndmask_b32_e32 v38, v38, v8, vcc
	v_cmp_eq_u32_e32 vcc, 5, v32
	v_cndmask_b32_e32 v35, v35, v13, vcc
	v_cndmask_b32_e64 v38, v38, v10, s[4:5]
	v_cmp_eq_u32_e64 s[4:5], 6, v32
	v_cndmask_b32_e64 v35, v35, v15, s[4:5]
	v_cndmask_b32_e32 v38, v38, v12, vcc
	v_cmp_eq_u32_e32 vcc, 7, v32
	v_cndmask_b32_e32 v35, v35, v17, vcc
	v_cndmask_b32_e64 v38, v38, v14, s[4:5]
	v_cmp_eq_u32_e64 s[4:5], 8, v32
	v_cndmask_b32_e64 v35, v35, v19, s[4:5]
	v_cndmask_b32_e32 v38, v38, v16, vcc
	v_cmp_eq_u32_e32 vcc, 9, v32
	v_cndmask_b32_e32 v35, v35, v21, vcc
	v_cndmask_b32_e64 v38, v38, v18, s[4:5]
	v_cmp_eq_u32_e64 s[4:5], 10, v32
	ds_read_b64 v[36:37], v34
	v_cndmask_b32_e64 v35, v35, v23, s[4:5]
	v_cndmask_b32_e32 v38, v38, v20, vcc
	v_cmp_eq_u32_e32 vcc, 11, v32
	v_cndmask_b32_e32 v35, v35, v25, vcc
	v_cndmask_b32_e64 v38, v38, v22, s[4:5]
	v_cmp_eq_u32_e64 s[4:5], 12, v32
	v_cndmask_b32_e64 v35, v35, v27, s[4:5]
	v_cndmask_b32_e32 v38, v38, v24, vcc
	v_cmp_eq_u32_e32 vcc, 13, v32
	s_waitcnt vmcnt(0)
	v_cndmask_b32_e32 v39, v35, v29, vcc
	v_cndmask_b32_e64 v35, v38, v26, s[4:5]
	v_cndmask_b32_e32 v38, v35, v28, vcc
	v_add_u32_e32 v34, 8, v34
	s_waitcnt lgkmcnt(0)
	v_fmac_f64_e32 v[30:31], v[38:39], v[36:37]
	s_andn2_b64 exec, exec, s[10:11]
	s_cbranch_execnz .LBB77_315
; %bb.316:
	s_or_b64 exec, exec, s[10:11]
.LBB77_317:
	s_or_b64 exec, exec, s[8:9]
	v_mov_b32_e32 v26, 0
	ds_read_b64 v[26:27], v26 offset:96
	s_waitcnt lgkmcnt(0)
	v_mul_f64 v[26:27], v[30:31], v[26:27]
.LBB77_318:
	s_or_b64 exec, exec, s[28:29]
	v_cmp_ne_u32_e32 vcc, 13, v0
	s_waitcnt vmcnt(0)
	ds_write_b64 v93, v[28:29]
	s_waitcnt lgkmcnt(0)
	; wave barrier
	s_waitcnt lgkmcnt(0)
	s_and_saveexec_b64 s[26:27], vcc
	s_cbranch_execz .LBB77_328
; %bb.319:
	s_and_b64 vcc, exec, s[0:1]
	s_cbranch_vccnz .LBB77_321
; %bb.320:
	v_cmp_eq_u32_e32 vcc, 1, v0
	v_cndmask_b32_e32 v30, v3, v5, vcc
	v_cmp_eq_u32_e64 s[0:1], 2, v0
	v_cndmask_b32_e64 v30, v30, v7, s[0:1]
	v_cmp_eq_u32_e64 s[4:5], 3, v0
	v_cndmask_b32_e64 v30, v30, v9, s[4:5]
	;; [unrolled: 2-line block ×12, first 2 shown]
	v_cndmask_b32_e32 v30, v2, v4, vcc
	v_cndmask_b32_e64 v30, v30, v6, s[0:1]
	v_cndmask_b32_e64 v30, v30, v8, s[4:5]
	;; [unrolled: 1-line block ×8, first 2 shown]
	ds_read_b64 v[32:33], v93
	v_cndmask_b32_e64 v30, v30, v22, s[18:19]
	v_cndmask_b32_e64 v30, v30, v24, s[20:21]
	;; [unrolled: 1-line block ×4, first 2 shown]
	s_waitcnt lgkmcnt(0)
	v_mul_f64 v[30:31], v[30:31], v[32:33]
	s_cbranch_execz .LBB77_322
	s_branch .LBB77_323
.LBB77_321:
                                        ; implicit-def: $vgpr30_vgpr31
.LBB77_322:
	ds_read_b64 v[30:31], v93
.LBB77_323:
	s_and_saveexec_b64 s[4:5], s[2:3]
	s_cbranch_execz .LBB77_327
; %bb.324:
	v_mov_b32_e32 v32, 0x78
	v_lshl_add_u32 v32, v0, 3, v32
	s_mov_b64 s[6:7], 0
.LBB77_325:                             ; =>This Inner Loop Header: Depth=1
	v_add_co_u32_e32 v0, vcc, 1, v0
	v_addc_co_u32_e32 v1, vcc, 0, v1, vcc
	v_cmp_eq_u32_e32 vcc, 1, v0
	v_cndmask_b32_e32 v33, v3, v5, vcc
	v_cmp_eq_u32_e64 s[2:3], 2, v0
	v_cmp_lt_u32_e64 s[0:1], 11, v0
	v_cndmask_b32_e64 v33, v33, v7, s[2:3]
	v_cndmask_b32_e32 v36, v2, v4, vcc
	v_cmp_eq_u32_e32 vcc, 3, v0
	s_or_b64 s[6:7], s[0:1], s[6:7]
	v_cndmask_b32_e32 v33, v33, v9, vcc
	v_cndmask_b32_e64 v36, v36, v6, s[2:3]
	v_cmp_eq_u32_e64 s[0:1], 4, v0
	v_cndmask_b32_e64 v33, v33, v11, s[0:1]
	v_cndmask_b32_e32 v36, v36, v8, vcc
	v_cmp_eq_u32_e32 vcc, 5, v0
	v_cndmask_b32_e32 v33, v33, v13, vcc
	v_cndmask_b32_e64 v36, v36, v10, s[0:1]
	v_cmp_eq_u32_e64 s[0:1], 6, v0
	v_cndmask_b32_e64 v33, v33, v15, s[0:1]
	v_cndmask_b32_e32 v36, v36, v12, vcc
	v_cmp_eq_u32_e32 vcc, 7, v0
	;; [unrolled: 6-line block ×3, first 2 shown]
	v_cndmask_b32_e32 v33, v33, v21, vcc
	v_cndmask_b32_e64 v36, v36, v18, s[0:1]
	v_cmp_eq_u32_e64 s[0:1], 10, v0
	ds_read_b64 v[34:35], v32
	v_cndmask_b32_e64 v33, v33, v23, s[0:1]
	v_cndmask_b32_e32 v36, v36, v20, vcc
	v_cmp_eq_u32_e32 vcc, 11, v0
	v_cndmask_b32_e32 v33, v33, v25, vcc
	v_cndmask_b32_e64 v36, v36, v22, s[0:1]
	v_cmp_eq_u32_e64 s[0:1], 12, v0
	v_cndmask_b32_e64 v33, v33, v27, s[0:1]
	v_cndmask_b32_e32 v36, v36, v24, vcc
	v_cmp_eq_u32_e32 vcc, 13, v0
	v_cndmask_b32_e32 v37, v33, v29, vcc
	v_cndmask_b32_e64 v33, v36, v26, s[0:1]
	v_cndmask_b32_e32 v36, v33, v28, vcc
	v_add_u32_e32 v32, 8, v32
	s_waitcnt lgkmcnt(0)
	v_fmac_f64_e32 v[30:31], v[36:37], v[34:35]
	s_andn2_b64 exec, exec, s[6:7]
	s_cbranch_execnz .LBB77_325
; %bb.326:
	s_or_b64 exec, exec, s[6:7]
.LBB77_327:
	s_or_b64 exec, exec, s[4:5]
	v_mov_b32_e32 v0, 0
	ds_read_b64 v[0:1], v0 offset:104
	s_waitcnt lgkmcnt(0)
	v_mul_f64 v[28:29], v[30:31], v[0:1]
.LBB77_328:
	s_or_b64 exec, exec, s[26:27]
	v_pk_mov_b32 v[60:61], v[32:33], v[32:33] op_sel:[0,1]
	v_pk_mov_b32 v[58:59], v[30:31], v[30:31] op_sel:[0,1]
	;; [unrolled: 1-line block ×16, first 2 shown]
.LBB77_329:
	global_store_dwordx2 v[62:63], v[30:31], off
	global_store_dwordx2 v[64:65], v[32:33], off
	;; [unrolled: 1-line block ×14, first 2 shown]
.LBB77_330:
	s_endpgm
	.section	.rodata,"a",@progbits
	.p2align	6, 0x0
	.amdhsa_kernel _ZN9rocsolver6v33100L18trti2_kernel_smallILi14EdPKPdEEv13rocblas_fill_17rocblas_diagonal_T1_iil
		.amdhsa_group_segment_fixed_size 224
		.amdhsa_private_segment_fixed_size 0
		.amdhsa_kernarg_size 32
		.amdhsa_user_sgpr_count 6
		.amdhsa_user_sgpr_private_segment_buffer 1
		.amdhsa_user_sgpr_dispatch_ptr 0
		.amdhsa_user_sgpr_queue_ptr 0
		.amdhsa_user_sgpr_kernarg_segment_ptr 1
		.amdhsa_user_sgpr_dispatch_id 0
		.amdhsa_user_sgpr_flat_scratch_init 0
		.amdhsa_user_sgpr_kernarg_preload_length 0
		.amdhsa_user_sgpr_kernarg_preload_offset 0
		.amdhsa_user_sgpr_private_segment_size 0
		.amdhsa_uses_dynamic_stack 0
		.amdhsa_system_sgpr_private_segment_wavefront_offset 0
		.amdhsa_system_sgpr_workgroup_id_x 1
		.amdhsa_system_sgpr_workgroup_id_y 0
		.amdhsa_system_sgpr_workgroup_id_z 0
		.amdhsa_system_sgpr_workgroup_info 0
		.amdhsa_system_vgpr_workitem_id 0
		.amdhsa_next_free_vgpr 118
		.amdhsa_next_free_sgpr 46
		.amdhsa_accum_offset 120
		.amdhsa_reserve_vcc 1
		.amdhsa_reserve_flat_scratch 0
		.amdhsa_float_round_mode_32 0
		.amdhsa_float_round_mode_16_64 0
		.amdhsa_float_denorm_mode_32 3
		.amdhsa_float_denorm_mode_16_64 3
		.amdhsa_dx10_clamp 1
		.amdhsa_ieee_mode 1
		.amdhsa_fp16_overflow 0
		.amdhsa_tg_split 0
		.amdhsa_exception_fp_ieee_invalid_op 0
		.amdhsa_exception_fp_denorm_src 0
		.amdhsa_exception_fp_ieee_div_zero 0
		.amdhsa_exception_fp_ieee_overflow 0
		.amdhsa_exception_fp_ieee_underflow 0
		.amdhsa_exception_fp_ieee_inexact 0
		.amdhsa_exception_int_div_zero 0
	.end_amdhsa_kernel
	.section	.text._ZN9rocsolver6v33100L18trti2_kernel_smallILi14EdPKPdEEv13rocblas_fill_17rocblas_diagonal_T1_iil,"axG",@progbits,_ZN9rocsolver6v33100L18trti2_kernel_smallILi14EdPKPdEEv13rocblas_fill_17rocblas_diagonal_T1_iil,comdat
.Lfunc_end77:
	.size	_ZN9rocsolver6v33100L18trti2_kernel_smallILi14EdPKPdEEv13rocblas_fill_17rocblas_diagonal_T1_iil, .Lfunc_end77-_ZN9rocsolver6v33100L18trti2_kernel_smallILi14EdPKPdEEv13rocblas_fill_17rocblas_diagonal_T1_iil
                                        ; -- End function
	.section	.AMDGPU.csdata,"",@progbits
; Kernel info:
; codeLenInByte = 27044
; NumSgprs: 50
; NumVgprs: 118
; NumAgprs: 0
; TotalNumVgprs: 118
; ScratchSize: 0
; MemoryBound: 0
; FloatMode: 240
; IeeeMode: 1
; LDSByteSize: 224 bytes/workgroup (compile time only)
; SGPRBlocks: 6
; VGPRBlocks: 14
; NumSGPRsForWavesPerEU: 50
; NumVGPRsForWavesPerEU: 118
; AccumOffset: 120
; Occupancy: 4
; WaveLimiterHint : 1
; COMPUTE_PGM_RSRC2:SCRATCH_EN: 0
; COMPUTE_PGM_RSRC2:USER_SGPR: 6
; COMPUTE_PGM_RSRC2:TRAP_HANDLER: 0
; COMPUTE_PGM_RSRC2:TGID_X_EN: 1
; COMPUTE_PGM_RSRC2:TGID_Y_EN: 0
; COMPUTE_PGM_RSRC2:TGID_Z_EN: 0
; COMPUTE_PGM_RSRC2:TIDIG_COMP_CNT: 0
; COMPUTE_PGM_RSRC3_GFX90A:ACCUM_OFFSET: 29
; COMPUTE_PGM_RSRC3_GFX90A:TG_SPLIT: 0
	.section	.text._ZN9rocsolver6v33100L18trti2_kernel_smallILi15EdPKPdEEv13rocblas_fill_17rocblas_diagonal_T1_iil,"axG",@progbits,_ZN9rocsolver6v33100L18trti2_kernel_smallILi15EdPKPdEEv13rocblas_fill_17rocblas_diagonal_T1_iil,comdat
	.globl	_ZN9rocsolver6v33100L18trti2_kernel_smallILi15EdPKPdEEv13rocblas_fill_17rocblas_diagonal_T1_iil ; -- Begin function _ZN9rocsolver6v33100L18trti2_kernel_smallILi15EdPKPdEEv13rocblas_fill_17rocblas_diagonal_T1_iil
	.p2align	8
	.type	_ZN9rocsolver6v33100L18trti2_kernel_smallILi15EdPKPdEEv13rocblas_fill_17rocblas_diagonal_T1_iil,@function
_ZN9rocsolver6v33100L18trti2_kernel_smallILi15EdPKPdEEv13rocblas_fill_17rocblas_diagonal_T1_iil: ; @_ZN9rocsolver6v33100L18trti2_kernel_smallILi15EdPKPdEEv13rocblas_fill_17rocblas_diagonal_T1_iil
; %bb.0:
	v_cmp_gt_u32_e32 vcc, 15, v0
	s_and_saveexec_b64 s[0:1], vcc
	s_cbranch_execz .LBB78_356
; %bb.1:
	s_load_dwordx2 s[0:1], s[4:5], 0x10
	s_load_dwordx4 s[36:39], s[4:5], 0x0
	s_ashr_i32 s7, s6, 31
	s_lshl_b64 s[2:3], s[6:7], 3
	v_lshlrev_b32_e32 v34, 3, v0
	s_waitcnt lgkmcnt(0)
	s_ashr_i32 s5, s0, 31
	s_add_u32 s2, s38, s2
	s_addc_u32 s3, s39, s3
	s_load_dwordx2 s[2:3], s[2:3], 0x0
	s_mov_b32 s4, s0
	s_lshl_b64 s[4:5], s[4:5], 3
	v_mov_b32_e32 v32, 0
	v_mov_b32_e32 v33, 0xbff00000
	s_waitcnt lgkmcnt(0)
	s_add_u32 s2, s2, s4
	s_addc_u32 s3, s3, s5
	v_mov_b32_e32 v1, s3
	v_add_co_u32_e32 v64, vcc, s2, v34
	s_ashr_i32 s5, s1, 31
	s_mov_b32 s4, s1
	s_add_i32 s0, s1, s1
	v_addc_co_u32_e32 v65, vcc, 0, v1, vcc
	s_lshl_b64 s[4:5], s[4:5], 3
	v_add_u32_e32 v2, s0, v0
	v_mov_b32_e32 v1, s5
	v_add_co_u32_e32 v66, vcc, s4, v64
	v_ashrrev_i32_e32 v3, 31, v2
	v_addc_co_u32_e32 v67, vcc, v65, v1, vcc
	v_lshlrev_b64 v[4:5], 3, v[2:3]
	v_add_u32_e32 v2, s1, v2
	v_mov_b32_e32 v1, s3
	v_add_co_u32_e32 v68, vcc, s2, v4
	v_ashrrev_i32_e32 v3, 31, v2
	v_addc_co_u32_e32 v69, vcc, v1, v5, vcc
	v_lshlrev_b64 v[4:5], 3, v[2:3]
	v_add_u32_e32 v2, s1, v2
	v_add_co_u32_e32 v70, vcc, s2, v4
	v_ashrrev_i32_e32 v3, 31, v2
	v_addc_co_u32_e32 v71, vcc, v1, v5, vcc
	v_lshlrev_b64 v[4:5], 3, v[2:3]
	v_add_u32_e32 v2, s1, v2
	;; [unrolled: 5-line block ×11, first 2 shown]
	v_add_co_u32_e32 v90, vcc, s2, v4
	v_ashrrev_i32_e32 v3, 31, v2
	v_addc_co_u32_e32 v91, vcc, v1, v5, vcc
	v_lshlrev_b64 v[2:3], 3, v[2:3]
	v_add_co_u32_e32 v92, vcc, s2, v2
	v_addc_co_u32_e32 v93, vcc, v1, v3, vcc
	global_load_dwordx2 v[4:5], v[66:67], off
	global_load_dwordx2 v[6:7], v[68:69], off
	;; [unrolled: 1-line block ×13, first 2 shown]
	global_load_dwordx2 v[2:3], v34, s[2:3]
	global_load_dwordx2 v[30:31], v[92:93], off
	s_cmpk_lg_i32 s37, 0x84
	v_mov_b32_e32 v1, 0
	s_cselect_b64 s[30:31], -1, 0
	s_cmpk_eq_i32 s37, 0x84
	v_cmp_eq_u32_e64 s[0:1], 0, v0
	s_cbranch_scc1 .LBB78_3
; %bb.2:
	v_cmp_eq_u32_e64 s[2:3], 1, v0
	s_waitcnt vmcnt(1)
	v_cndmask_b32_e64 v32, v3, v5, s[2:3]
	v_cmp_eq_u32_e64 s[4:5], 2, v0
	v_cndmask_b32_e64 v32, v32, v7, s[4:5]
	v_cmp_eq_u32_e64 s[6:7], 3, v0
	;; [unrolled: 2-line block ×13, first 2 shown]
	s_waitcnt vmcnt(0)
	v_cndmask_b32_e64 v33, v32, v31, s[28:29]
	v_cndmask_b32_e64 v32, v2, v4, s[2:3]
	v_cndmask_b32_e64 v32, v32, v6, s[4:5]
	v_cndmask_b32_e64 v32, v32, v8, s[6:7]
	v_cndmask_b32_e64 v32, v32, v10, s[8:9]
	v_cndmask_b32_e64 v32, v32, v12, s[10:11]
	v_cndmask_b32_e64 v32, v32, v14, s[12:13]
	v_cndmask_b32_e64 v32, v32, v16, s[14:15]
	v_cndmask_b32_e64 v32, v32, v18, s[16:17]
	v_cndmask_b32_e64 v32, v32, v20, s[18:19]
	v_cndmask_b32_e64 v32, v32, v22, s[20:21]
	v_cndmask_b32_e64 v32, v32, v24, s[22:23]
	v_cndmask_b32_e64 v32, v32, v26, s[24:25]
	v_cndmask_b32_e64 v32, v32, v28, s[26:27]
	v_cndmask_b32_e64 v32, v32, v30, s[28:29]
	v_div_scale_f64 v[36:37], s[34:35], v[32:33], v[32:33], 1.0
	v_rcp_f64_e32 v[38:39], v[36:37]
	v_fma_f64 v[40:41], -v[36:37], v[38:39], 1.0
	v_fmac_f64_e32 v[38:39], v[38:39], v[40:41]
	v_fma_f64 v[40:41], -v[36:37], v[38:39], 1.0
	v_fmac_f64_e32 v[38:39], v[38:39], v[40:41]
	v_div_scale_f64 v[40:41], vcc, 1.0, v[32:33], 1.0
	v_mul_f64 v[42:43], v[40:41], v[38:39]
	v_fma_f64 v[36:37], -v[36:37], v[42:43], v[40:41]
	s_nop 1
	v_div_fmas_f64 v[36:37], v[36:37], v[38:39], v[42:43]
	v_div_fixup_f64 v[32:33], v[36:37], v[32:33], 1.0
	v_cndmask_b32_e64 v31, v31, v33, s[28:29]
	v_cndmask_b32_e64 v30, v30, v32, s[28:29]
	;; [unrolled: 1-line block ×30, first 2 shown]
	v_xor_b32_e32 v33, 0x80000000, v33
.LBB78_3:
	s_cmpk_eq_i32 s36, 0x79
	v_add_u32_e32 v97, 0x80, v34
	ds_write_b64 v34, v[32:33]
	s_cbranch_scc1 .LBB78_7
; %bb.4:
	s_waitcnt vmcnt(0)
	v_pk_mov_b32 v[62:63], v[32:33], v[32:33] op_sel:[0,1]
	v_cmp_eq_u32_e64 s[0:1], 14, v0
	v_pk_mov_b32 v[60:61], v[30:31], v[30:31] op_sel:[0,1]
	v_pk_mov_b32 v[58:59], v[28:29], v[28:29] op_sel:[0,1]
	;; [unrolled: 1-line block ×15, first 2 shown]
	ds_write_b64 v97, v[28:29]
	s_waitcnt lgkmcnt(0)
	; wave barrier
	s_waitcnt lgkmcnt(0)
	s_and_saveexec_b64 s[28:29], s[0:1]
	s_cbranch_execz .LBB78_11
; %bb.5:
	s_and_b64 vcc, exec, s[30:31]
	s_cbranch_vccz .LBB78_8
; %bb.6:
	v_cmp_eq_u32_e32 vcc, 1, v0
	v_cndmask_b32_e32 v32, v3, v5, vcc
	v_cmp_eq_u32_e64 s[2:3], 2, v0
	v_cndmask_b32_e64 v32, v32, v7, s[2:3]
	v_cmp_eq_u32_e64 s[4:5], 3, v0
	v_cndmask_b32_e64 v32, v32, v9, s[4:5]
	;; [unrolled: 2-line block ×13, first 2 shown]
	v_cndmask_b32_e32 v32, v2, v4, vcc
	v_cndmask_b32_e64 v32, v32, v6, s[2:3]
	v_cndmask_b32_e64 v32, v32, v8, s[4:5]
	;; [unrolled: 1-line block ×9, first 2 shown]
	ds_read_b64 v[34:35], v97
	v_cndmask_b32_e64 v32, v32, v24, s[20:21]
	v_cndmask_b32_e64 v32, v32, v26, s[22:23]
	;; [unrolled: 1-line block ×4, first 2 shown]
	s_waitcnt lgkmcnt(0)
	v_mul_f64 v[36:37], v[32:33], v[34:35]
	s_cbranch_execz .LBB78_9
	s_branch .LBB78_10
.LBB78_7:
                                        ; implicit-def: $vgpr32_vgpr33_vgpr34_vgpr35_vgpr36_vgpr37_vgpr38_vgpr39_vgpr40_vgpr41_vgpr42_vgpr43_vgpr44_vgpr45_vgpr46_vgpr47_vgpr48_vgpr49_vgpr50_vgpr51_vgpr52_vgpr53_vgpr54_vgpr55_vgpr56_vgpr57_vgpr58_vgpr59_vgpr60_vgpr61_vgpr62_vgpr63
	s_cbranch_execnz .LBB78_210
	s_branch .LBB78_355
.LBB78_8:
                                        ; implicit-def: $vgpr36_vgpr37
.LBB78_9:
	ds_read_b64 v[36:37], v97
.LBB78_10:
	v_mov_b32_e32 v32, 0
	ds_read_b64 v[38:39], v32 offset:104
	v_mov_b32_e32 v32, v2
	v_mov_b32_e32 v33, v3
	;; [unrolled: 1-line block ×4, first 2 shown]
	s_waitcnt lgkmcnt(0)
	v_mul_f64 v[58:59], v[36:37], v[38:39]
	v_mov_b32_e32 v36, v6
	v_mov_b32_e32 v37, v7
	;; [unrolled: 1-line block ×24, first 2 shown]
.LBB78_11:
	s_or_b64 exec, exec, s[28:29]
	v_cmp_lt_u32_e64 s[2:3], 12, v0
	ds_write_b64 v97, v[56:57]
	s_waitcnt lgkmcnt(0)
	; wave barrier
	s_waitcnt lgkmcnt(0)
	s_and_saveexec_b64 s[34:35], s[2:3]
	s_cbranch_execz .LBB78_17
; %bb.12:
	s_andn2_b64 vcc, exec, s[30:31]
	s_cbranch_vccnz .LBB78_14
; %bb.13:
	v_cmp_eq_u32_e32 vcc, 1, v0
	v_cndmask_b32_e32 v62, v33, v35, vcc
	v_cmp_eq_u32_e64 s[4:5], 2, v0
	v_cndmask_b32_e64 v62, v62, v37, s[4:5]
	v_cmp_eq_u32_e64 s[6:7], 3, v0
	v_cndmask_b32_e64 v62, v62, v39, s[6:7]
	;; [unrolled: 2-line block ×11, first 2 shown]
	v_cndmask_b32_e32 v62, v32, v34, vcc
	v_cndmask_b32_e64 v62, v62, v36, s[4:5]
	v_cndmask_b32_e64 v62, v62, v38, s[6:7]
	;; [unrolled: 1-line block ×9, first 2 shown]
	ds_read_b64 v[62:63], v97
	v_cndmask_b32_e64 v94, v94, v54, s[22:23]
	v_cmp_eq_u32_e64 s[26:27], 13, v0
	v_cndmask_b32_e64 v56, v94, v56, s[24:25]
	v_cndmask_b32_e64 v57, v57, v59, s[26:27]
	v_cmp_eq_u32_e64 s[28:29], 14, v0
	v_cndmask_b32_e64 v56, v56, v58, s[26:27]
	v_cndmask_b32_e64 v57, v57, v61, s[28:29]
	;; [unrolled: 1-line block ×3, first 2 shown]
	s_waitcnt lgkmcnt(0)
	v_mul_f64 v[56:57], v[56:57], v[62:63]
	s_cbranch_execz .LBB78_15
	s_branch .LBB78_16
.LBB78_14:
                                        ; implicit-def: $vgpr56_vgpr57
.LBB78_15:
	ds_read_b64 v[56:57], v97
.LBB78_16:
	v_mov_b32_e32 v62, 0
	ds_read2_b64 v[98:101], v62 offset0:12 offset1:29
	s_waitcnt lgkmcnt(0)
	v_fma_f64 v[62:63], v[58:59], v[100:101], v[56:57]
	v_cndmask_b32_e64 v57, v57, v63, s[0:1]
	v_cndmask_b32_e64 v56, v56, v62, s[0:1]
	v_mul_f64 v[56:57], v[56:57], v[98:99]
.LBB78_17:
	s_or_b64 exec, exec, s[34:35]
	v_cmp_lt_u32_e64 s[0:1], 11, v0
	ds_write_b64 v97, v[54:55]
	s_waitcnt lgkmcnt(0)
	; wave barrier
	s_waitcnt lgkmcnt(0)
	s_and_saveexec_b64 s[34:35], s[0:1]
	s_cbranch_execz .LBB78_33
; %bb.18:
	s_andn2_b64 vcc, exec, s[30:31]
	s_cbranch_vccnz .LBB78_20
; %bb.19:
	v_cmp_eq_u32_e32 vcc, 1, v0
	v_cndmask_b32_e32 v94, v33, v35, vcc
	v_cmp_eq_u32_e64 s[4:5], 2, v0
	v_cndmask_b32_e64 v94, v94, v37, s[4:5]
	v_cmp_eq_u32_e64 s[6:7], 3, v0
	v_cndmask_b32_e64 v94, v94, v39, s[6:7]
	;; [unrolled: 2-line block ×13, first 2 shown]
	v_cndmask_b32_e32 v94, v32, v34, vcc
	v_cndmask_b32_e64 v94, v94, v36, s[4:5]
	v_cndmask_b32_e64 v94, v94, v38, s[6:7]
	;; [unrolled: 1-line block ×9, first 2 shown]
	ds_read_b64 v[98:99], v97
	v_cndmask_b32_e64 v94, v94, v54, s[22:23]
	v_cndmask_b32_e64 v94, v94, v56, s[24:25]
	;; [unrolled: 1-line block ×4, first 2 shown]
	s_waitcnt lgkmcnt(0)
	v_mul_f64 v[94:95], v[94:95], v[98:99]
	s_cbranch_execz .LBB78_21
	s_branch .LBB78_22
.LBB78_20:
                                        ; implicit-def: $vgpr94_vgpr95
.LBB78_21:
	ds_read_b64 v[94:95], v97
.LBB78_22:
	s_and_saveexec_b64 s[6:7], s[2:3]
	s_cbranch_execz .LBB78_32
; %bb.23:
	v_add_u32_e32 v96, -13, v0
	v_add_u32_e32 v99, -12, v0
	v_cmp_lt_u32_e32 vcc, 6, v96
	v_mov_b32_e32 v96, 12
	s_and_saveexec_b64 s[2:3], vcc
	s_cbranch_execz .LBB78_27
; %bb.24:
	v_and_b32_e32 v96, -8, v99
	v_sub_u32_e32 v98, 0, v96
	s_mov_b64 s[4:5], 19
	s_movk_i32 s10, 0xe0
	s_mov_b64 s[8:9], 0
.LBB78_25:                              ; =>This Inner Loop Header: Depth=1
	s_lshl_b32 s11, s4, 1
	s_add_i32 s12, s11, -13
	s_add_i32 s13, s11, -14
	s_set_gpr_idx_on s12, gpr_idx(SRC0)
	v_mov_b32_e32 v117, v32
	s_set_gpr_idx_off
	v_mov_b32_e32 v96, s10
	s_add_i32 s14, s11, -11
	s_set_gpr_idx_on s13, gpr_idx(SRC0)
	v_mov_b32_e32 v116, v32
	s_set_gpr_idx_off
	s_add_i32 s15, s11, -12
	ds_read_b128 v[100:103], v96
	ds_read_b128 v[104:107], v96 offset:16
	ds_read_b128 v[108:111], v96 offset:32
	;; [unrolled: 1-line block ×3, first 2 shown]
	s_set_gpr_idx_on s14, gpr_idx(SRC0)
	v_mov_b32_e32 v119, v32
	s_set_gpr_idx_off
	s_add_i32 s16, s11, -9
	s_set_gpr_idx_on s15, gpr_idx(SRC0)
	v_mov_b32_e32 v118, v32
	s_set_gpr_idx_off
	s_add_i32 s17, s11, -10
	s_set_gpr_idx_on s16, gpr_idx(SRC0)
	v_mov_b32_e32 v121, v32
	s_set_gpr_idx_off
	s_add_i32 s18, s11, -7
	s_set_gpr_idx_on s17, gpr_idx(SRC0)
	v_mov_b32_e32 v120, v32
	s_set_gpr_idx_off
	s_add_i32 s19, s11, -8
	s_waitcnt lgkmcnt(3)
	v_fmac_f64_e32 v[94:95], v[116:117], v[100:101]
	s_set_gpr_idx_on s18, gpr_idx(SRC0)
	v_mov_b32_e32 v101, v32
	s_set_gpr_idx_off
	s_add_i32 s20, s11, -5
	v_fmac_f64_e32 v[94:95], v[118:119], v[102:103]
	s_set_gpr_idx_on s19, gpr_idx(SRC0)
	v_mov_b32_e32 v100, v32
	s_set_gpr_idx_off
	s_add_i32 s21, s11, -6
	s_waitcnt lgkmcnt(2)
	v_fmac_f64_e32 v[94:95], v[120:121], v[104:105]
	s_set_gpr_idx_on s20, gpr_idx(SRC0)
	v_mov_b32_e32 v103, v32
	s_set_gpr_idx_off
	s_add_i32 s22, s11, -3
	v_fmac_f64_e32 v[94:95], v[100:101], v[106:107]
	s_set_gpr_idx_on s21, gpr_idx(SRC0)
	v_mov_b32_e32 v102, v32
	s_set_gpr_idx_off
	s_add_i32 s23, s11, -4
	s_waitcnt lgkmcnt(1)
	v_fmac_f64_e32 v[94:95], v[102:103], v[108:109]
	s_set_gpr_idx_on s22, gpr_idx(SRC0)
	v_mov_b32_e32 v101, v32
	s_set_gpr_idx_off
	s_add_i32 s24, s11, -1
	s_set_gpr_idx_on s23, gpr_idx(SRC0)
	v_mov_b32_e32 v100, v32
	s_set_gpr_idx_off
	s_add_i32 s25, s11, -2
	v_fmac_f64_e32 v[94:95], v[100:101], v[110:111]
	s_set_gpr_idx_on s24, gpr_idx(SRC0)
	v_mov_b32_e32 v101, v32
	s_set_gpr_idx_off
	s_add_u32 s4, s4, 8
	s_set_gpr_idx_on s25, gpr_idx(SRC0)
	v_mov_b32_e32 v100, v32
	s_set_gpr_idx_off
	v_add_u32_e32 v96, s4, v98
	s_waitcnt lgkmcnt(0)
	v_fmac_f64_e32 v[94:95], v[100:101], v[112:113]
	s_set_gpr_idx_on s11, gpr_idx(SRC0)
	v_mov_b32_e32 v101, v33
	s_set_gpr_idx_off
	s_addc_u32 s5, s5, 0
	s_add_i32 s10, s10, 64
	s_add_i32 s12, s4, -7
	v_cmp_eq_u32_e32 vcc, 19, v96
	s_set_gpr_idx_on s11, gpr_idx(SRC0)
	v_mov_b32_e32 v100, v32
	s_set_gpr_idx_off
	v_mov_b32_e32 v96, s12
	s_or_b64 s[8:9], vcc, s[8:9]
	v_fmac_f64_e32 v[94:95], v[100:101], v[114:115]
	s_andn2_b64 exec, exec, s[8:9]
	s_cbranch_execnz .LBB78_25
; %bb.26:
	s_or_b64 exec, exec, s[8:9]
.LBB78_27:
	s_or_b64 exec, exec, s[2:3]
	v_and_b32_e32 v62, 7, v99
	v_cmp_ne_u32_e32 vcc, 0, v62
	s_and_saveexec_b64 s[8:9], vcc
	s_cbranch_execz .LBB78_31
; %bb.28:
	v_mov_b32_e32 v63, 0x80
	v_lshl_add_u32 v98, v96, 3, v63
	v_mov_b32_e32 v63, 0
	s_mov_b64 s[10:11], 0
.LBB78_29:                              ; =>This Inner Loop Header: Depth=1
	v_cmp_eq_u32_e32 vcc, 1, v96
	v_cndmask_b32_e32 v99, v33, v35, vcc
	v_add_u32_e32 v62, -1, v62
	v_cmp_eq_u32_e64 s[2:3], 2, v96
	v_cndmask_b32_e64 v99, v99, v37, s[2:3]
	v_cndmask_b32_e32 v102, v32, v34, vcc
	v_cmp_eq_u32_e32 vcc, 0, v62
	v_cmp_eq_u32_e64 s[4:5], 3, v96
	v_cndmask_b32_e64 v99, v99, v39, s[4:5]
	v_cndmask_b32_e64 v102, v102, v36, s[2:3]
	s_or_b64 s[10:11], vcc, s[10:11]
	v_cmp_eq_u32_e32 vcc, 4, v96
	v_cndmask_b32_e32 v99, v99, v41, vcc
	v_cndmask_b32_e64 v102, v102, v38, s[4:5]
	v_cmp_eq_u32_e64 s[2:3], 5, v96
	v_cndmask_b32_e64 v99, v99, v43, s[2:3]
	v_cndmask_b32_e32 v102, v102, v40, vcc
	v_cmp_eq_u32_e32 vcc, 6, v96
	v_cndmask_b32_e32 v99, v99, v45, vcc
	v_cndmask_b32_e64 v102, v102, v42, s[2:3]
	v_cmp_eq_u32_e64 s[2:3], 7, v96
	v_cndmask_b32_e64 v99, v99, v47, s[2:3]
	v_cndmask_b32_e32 v102, v102, v44, vcc
	v_cmp_eq_u32_e32 vcc, 8, v96
	v_cndmask_b32_e32 v99, v99, v49, vcc
	v_cndmask_b32_e64 v102, v102, v46, s[2:3]
	v_cmp_eq_u32_e64 s[2:3], 9, v96
	v_cndmask_b32_e64 v99, v99, v51, s[2:3]
	v_cndmask_b32_e32 v102, v102, v48, vcc
	v_cmp_eq_u32_e32 vcc, 10, v96
	v_cndmask_b32_e32 v99, v99, v53, vcc
	v_cndmask_b32_e64 v102, v102, v50, s[2:3]
	v_cmp_eq_u32_e64 s[2:3], 11, v96
	ds_read_b64 v[100:101], v98
	v_cndmask_b32_e64 v99, v99, v55, s[2:3]
	v_cndmask_b32_e32 v102, v102, v52, vcc
	v_cmp_eq_u32_e32 vcc, 12, v96
	v_cndmask_b32_e32 v99, v99, v57, vcc
	v_cndmask_b32_e64 v102, v102, v54, s[2:3]
	v_cmp_eq_u32_e64 s[2:3], 13, v96
	v_cndmask_b32_e64 v99, v99, v59, s[2:3]
	v_cmp_eq_u32_e64 s[4:5], 14, v96
	v_cndmask_b32_e32 v102, v102, v56, vcc
	v_cndmask_b32_e64 v103, v99, v61, s[4:5]
	v_cndmask_b32_e64 v99, v102, v58, s[2:3]
	v_add_co_u32_e32 v96, vcc, 1, v96
	v_cndmask_b32_e64 v102, v99, v60, s[4:5]
	v_add_u32_e32 v98, 8, v98
	v_addc_co_u32_e32 v63, vcc, 0, v63, vcc
	s_waitcnt lgkmcnt(0)
	v_fmac_f64_e32 v[94:95], v[102:103], v[100:101]
	s_andn2_b64 exec, exec, s[10:11]
	s_cbranch_execnz .LBB78_29
; %bb.30:
	s_or_b64 exec, exec, s[10:11]
.LBB78_31:
	s_or_b64 exec, exec, s[8:9]
.LBB78_32:
	s_or_b64 exec, exec, s[6:7]
	v_mov_b32_e32 v54, 0
	ds_read_b64 v[54:55], v54 offset:88
	s_waitcnt lgkmcnt(0)
	v_mul_f64 v[54:55], v[94:95], v[54:55]
.LBB78_33:
	s_or_b64 exec, exec, s[34:35]
	v_cmp_lt_u32_e64 s[2:3], 10, v0
	ds_write_b64 v97, v[52:53]
	s_waitcnt lgkmcnt(0)
	; wave barrier
	s_waitcnt lgkmcnt(0)
	s_and_saveexec_b64 s[34:35], s[2:3]
	s_cbranch_execz .LBB78_49
; %bb.34:
	s_andn2_b64 vcc, exec, s[30:31]
	s_cbranch_vccnz .LBB78_36
; %bb.35:
	v_cmp_eq_u32_e32 vcc, 1, v0
	v_cndmask_b32_e32 v94, v33, v35, vcc
	v_cmp_eq_u32_e64 s[4:5], 2, v0
	v_cndmask_b32_e64 v94, v94, v37, s[4:5]
	v_cmp_eq_u32_e64 s[6:7], 3, v0
	v_cndmask_b32_e64 v94, v94, v39, s[6:7]
	;; [unrolled: 2-line block ×13, first 2 shown]
	v_cndmask_b32_e32 v94, v32, v34, vcc
	v_cndmask_b32_e64 v94, v94, v36, s[4:5]
	v_cndmask_b32_e64 v94, v94, v38, s[6:7]
	;; [unrolled: 1-line block ×9, first 2 shown]
	ds_read_b64 v[98:99], v97
	v_cndmask_b32_e64 v94, v94, v54, s[22:23]
	v_cndmask_b32_e64 v94, v94, v56, s[24:25]
	;; [unrolled: 1-line block ×4, first 2 shown]
	s_waitcnt lgkmcnt(0)
	v_mul_f64 v[94:95], v[94:95], v[98:99]
	s_cbranch_execz .LBB78_37
	s_branch .LBB78_38
.LBB78_36:
                                        ; implicit-def: $vgpr94_vgpr95
.LBB78_37:
	ds_read_b64 v[94:95], v97
.LBB78_38:
	s_and_saveexec_b64 s[6:7], s[0:1]
	s_cbranch_execz .LBB78_48
; %bb.39:
	v_add_u32_e32 v96, -12, v0
	v_add_u32_e32 v99, -11, v0
	v_cmp_lt_u32_e32 vcc, 6, v96
	v_mov_b32_e32 v96, 11
	s_and_saveexec_b64 s[0:1], vcc
	s_cbranch_execz .LBB78_43
; %bb.40:
	v_and_b32_e32 v96, -8, v99
	v_sub_u32_e32 v98, 0, v96
	s_mov_b64 s[4:5], 18
	s_movk_i32 s10, 0xd8
	s_mov_b64 s[8:9], 0
.LBB78_41:                              ; =>This Inner Loop Header: Depth=1
	s_lshl_b32 s11, s4, 1
	s_add_i32 s12, s11, -13
	v_mov_b32_e32 v114, s10
	s_add_i32 s13, s11, -14
	s_set_gpr_idx_on s12, gpr_idx(SRC0)
	v_mov_b32_e32 v109, v32
	s_set_gpr_idx_off
	s_add_i32 s14, s11, -11
	s_set_gpr_idx_on s13, gpr_idx(SRC0)
	v_mov_b32_e32 v108, v32
	s_set_gpr_idx_off
	ds_read2_b64 v[100:103], v114 offset1:1
	s_add_i32 s15, s11, -12
	s_set_gpr_idx_on s14, gpr_idx(SRC0)
	v_mov_b32_e32 v111, v32
	s_set_gpr_idx_off
	s_add_i32 s16, s11, -9
	s_set_gpr_idx_on s15, gpr_idx(SRC0)
	v_mov_b32_e32 v110, v32
	s_set_gpr_idx_off
	;; [unrolled: 4-line block ×4, first 2 shown]
	ds_read2_b64 v[104:107], v114 offset0:2 offset1:3
	s_add_i32 s19, s11, -8
	s_waitcnt lgkmcnt(1)
	v_fmac_f64_e32 v[94:95], v[108:109], v[100:101]
	s_set_gpr_idx_on s18, gpr_idx(SRC0)
	v_mov_b32_e32 v109, v32
	s_set_gpr_idx_off
	s_add_i32 s20, s11, -5
	v_fmac_f64_e32 v[94:95], v[110:111], v[102:103]
	s_set_gpr_idx_on s19, gpr_idx(SRC0)
	v_mov_b32_e32 v108, v32
	s_set_gpr_idx_off
	s_add_i32 s21, s11, -6
	s_set_gpr_idx_on s20, gpr_idx(SRC0)
	v_mov_b32_e32 v111, v32
	s_set_gpr_idx_off
	s_add_i32 s22, s11, -3
	;; [unrolled: 4-line block ×3, first 2 shown]
	ds_read2_b64 v[100:103], v114 offset0:4 offset1:5
	s_waitcnt lgkmcnt(1)
	v_fmac_f64_e32 v[94:95], v[112:113], v[104:105]
	s_set_gpr_idx_on s22, gpr_idx(SRC0)
	v_mov_b32_e32 v113, v32
	s_set_gpr_idx_off
	s_add_i32 s24, s11, -1
	v_fmac_f64_e32 v[94:95], v[108:109], v[106:107]
	s_set_gpr_idx_on s23, gpr_idx(SRC0)
	v_mov_b32_e32 v112, v32
	s_set_gpr_idx_off
	s_add_i32 s25, s11, -2
	s_set_gpr_idx_on s24, gpr_idx(SRC0)
	v_mov_b32_e32 v109, v32
	s_set_gpr_idx_off
	s_set_gpr_idx_on s25, gpr_idx(SRC0)
	v_mov_b32_e32 v108, v32
	s_set_gpr_idx_off
	ds_read2_b64 v[104:107], v114 offset0:6 offset1:7
	s_add_u32 s4, s4, 8
	s_waitcnt lgkmcnt(1)
	v_fmac_f64_e32 v[94:95], v[110:111], v[100:101]
	s_set_gpr_idx_on s11, gpr_idx(SRC0)
	v_mov_b32_e32 v101, v33
	s_set_gpr_idx_off
	v_add_u32_e32 v96, s4, v98
	v_fmac_f64_e32 v[94:95], v[112:113], v[102:103]
	s_set_gpr_idx_on s11, gpr_idx(SRC0)
	v_mov_b32_e32 v100, v32
	s_set_gpr_idx_off
	s_addc_u32 s5, s5, 0
	s_add_i32 s10, s10, 64
	s_add_i32 s12, s4, -7
	v_cmp_eq_u32_e32 vcc, 18, v96
	s_waitcnt lgkmcnt(0)
	v_fmac_f64_e32 v[94:95], v[108:109], v[104:105]
	v_mov_b32_e32 v96, s12
	s_or_b64 s[8:9], vcc, s[8:9]
	v_fmac_f64_e32 v[94:95], v[100:101], v[106:107]
	s_andn2_b64 exec, exec, s[8:9]
	s_cbranch_execnz .LBB78_41
; %bb.42:
	s_or_b64 exec, exec, s[8:9]
.LBB78_43:
	s_or_b64 exec, exec, s[0:1]
	v_and_b32_e32 v62, 7, v99
	v_cmp_ne_u32_e32 vcc, 0, v62
	s_and_saveexec_b64 s[8:9], vcc
	s_cbranch_execz .LBB78_47
; %bb.44:
	v_mov_b32_e32 v63, 0x80
	v_lshl_add_u32 v98, v96, 3, v63
	v_mov_b32_e32 v63, 0
	s_mov_b64 s[10:11], 0
.LBB78_45:                              ; =>This Inner Loop Header: Depth=1
	v_cmp_eq_u32_e32 vcc, 1, v96
	v_cndmask_b32_e32 v99, v33, v35, vcc
	v_add_u32_e32 v62, -1, v62
	v_cmp_eq_u32_e64 s[0:1], 2, v96
	v_cndmask_b32_e64 v99, v99, v37, s[0:1]
	v_cndmask_b32_e32 v102, v32, v34, vcc
	v_cmp_eq_u32_e32 vcc, 0, v62
	v_cmp_eq_u32_e64 s[4:5], 3, v96
	v_cndmask_b32_e64 v99, v99, v39, s[4:5]
	v_cndmask_b32_e64 v102, v102, v36, s[0:1]
	s_or_b64 s[10:11], vcc, s[10:11]
	v_cmp_eq_u32_e32 vcc, 4, v96
	v_cndmask_b32_e32 v99, v99, v41, vcc
	v_cndmask_b32_e64 v102, v102, v38, s[4:5]
	v_cmp_eq_u32_e64 s[0:1], 5, v96
	v_cndmask_b32_e64 v99, v99, v43, s[0:1]
	v_cndmask_b32_e32 v102, v102, v40, vcc
	v_cmp_eq_u32_e32 vcc, 6, v96
	v_cndmask_b32_e32 v99, v99, v45, vcc
	v_cndmask_b32_e64 v102, v102, v42, s[0:1]
	v_cmp_eq_u32_e64 s[0:1], 7, v96
	v_cndmask_b32_e64 v99, v99, v47, s[0:1]
	v_cndmask_b32_e32 v102, v102, v44, vcc
	;; [unrolled: 6-line block ×3, first 2 shown]
	v_cmp_eq_u32_e32 vcc, 10, v96
	v_cndmask_b32_e32 v99, v99, v53, vcc
	v_cndmask_b32_e64 v102, v102, v50, s[0:1]
	v_cmp_eq_u32_e64 s[0:1], 11, v96
	ds_read_b64 v[100:101], v98
	v_cndmask_b32_e64 v99, v99, v55, s[0:1]
	v_cndmask_b32_e32 v102, v102, v52, vcc
	v_cmp_eq_u32_e32 vcc, 12, v96
	v_cndmask_b32_e32 v99, v99, v57, vcc
	v_cndmask_b32_e64 v102, v102, v54, s[0:1]
	v_cmp_eq_u32_e64 s[0:1], 13, v96
	v_cndmask_b32_e64 v99, v99, v59, s[0:1]
	v_cmp_eq_u32_e64 s[4:5], 14, v96
	v_cndmask_b32_e32 v102, v102, v56, vcc
	v_cndmask_b32_e64 v103, v99, v61, s[4:5]
	v_cndmask_b32_e64 v99, v102, v58, s[0:1]
	v_add_co_u32_e32 v96, vcc, 1, v96
	v_cndmask_b32_e64 v102, v99, v60, s[4:5]
	v_add_u32_e32 v98, 8, v98
	v_addc_co_u32_e32 v63, vcc, 0, v63, vcc
	s_waitcnt lgkmcnt(0)
	v_fmac_f64_e32 v[94:95], v[102:103], v[100:101]
	s_andn2_b64 exec, exec, s[10:11]
	s_cbranch_execnz .LBB78_45
; %bb.46:
	s_or_b64 exec, exec, s[10:11]
.LBB78_47:
	s_or_b64 exec, exec, s[8:9]
.LBB78_48:
	s_or_b64 exec, exec, s[6:7]
	v_mov_b32_e32 v52, 0
	ds_read_b64 v[52:53], v52 offset:80
	s_waitcnt lgkmcnt(0)
	v_mul_f64 v[52:53], v[94:95], v[52:53]
.LBB78_49:
	s_or_b64 exec, exec, s[34:35]
	v_cmp_lt_u32_e64 s[0:1], 9, v0
	ds_write_b64 v97, v[50:51]
	s_waitcnt lgkmcnt(0)
	; wave barrier
	s_waitcnt lgkmcnt(0)
	s_and_saveexec_b64 s[34:35], s[0:1]
	s_cbranch_execz .LBB78_65
; %bb.50:
	s_andn2_b64 vcc, exec, s[30:31]
	s_cbranch_vccnz .LBB78_52
; %bb.51:
	v_cmp_eq_u32_e32 vcc, 1, v0
	v_cndmask_b32_e32 v94, v33, v35, vcc
	v_cmp_eq_u32_e64 s[4:5], 2, v0
	v_cndmask_b32_e64 v94, v94, v37, s[4:5]
	v_cmp_eq_u32_e64 s[6:7], 3, v0
	v_cndmask_b32_e64 v94, v94, v39, s[6:7]
	;; [unrolled: 2-line block ×13, first 2 shown]
	v_cndmask_b32_e32 v94, v32, v34, vcc
	v_cndmask_b32_e64 v94, v94, v36, s[4:5]
	v_cndmask_b32_e64 v94, v94, v38, s[6:7]
	;; [unrolled: 1-line block ×9, first 2 shown]
	ds_read_b64 v[98:99], v97
	v_cndmask_b32_e64 v94, v94, v54, s[22:23]
	v_cndmask_b32_e64 v94, v94, v56, s[24:25]
	;; [unrolled: 1-line block ×4, first 2 shown]
	s_waitcnt lgkmcnt(0)
	v_mul_f64 v[94:95], v[94:95], v[98:99]
	s_cbranch_execz .LBB78_53
	s_branch .LBB78_54
.LBB78_52:
                                        ; implicit-def: $vgpr94_vgpr95
.LBB78_53:
	ds_read_b64 v[94:95], v97
.LBB78_54:
	s_and_saveexec_b64 s[6:7], s[2:3]
	s_cbranch_execz .LBB78_64
; %bb.55:
	v_add_u32_e32 v96, -11, v0
	v_add_u32_e32 v99, -10, v0
	v_cmp_lt_u32_e32 vcc, 6, v96
	v_mov_b32_e32 v96, 10
	s_and_saveexec_b64 s[2:3], vcc
	s_cbranch_execz .LBB78_59
; %bb.56:
	v_and_b32_e32 v96, -8, v99
	v_sub_u32_e32 v98, 0, v96
	s_mov_b64 s[4:5], 17
	s_movk_i32 s10, 0xd0
	s_mov_b64 s[8:9], 0
.LBB78_57:                              ; =>This Inner Loop Header: Depth=1
	s_lshl_b32 s11, s4, 1
	s_add_i32 s12, s11, -13
	s_add_i32 s13, s11, -14
	s_set_gpr_idx_on s12, gpr_idx(SRC0)
	v_mov_b32_e32 v117, v32
	s_set_gpr_idx_off
	v_mov_b32_e32 v96, s10
	s_add_i32 s14, s11, -11
	s_set_gpr_idx_on s13, gpr_idx(SRC0)
	v_mov_b32_e32 v116, v32
	s_set_gpr_idx_off
	s_add_i32 s15, s11, -12
	ds_read_b128 v[100:103], v96
	ds_read_b128 v[104:107], v96 offset:16
	ds_read_b128 v[108:111], v96 offset:32
	;; [unrolled: 1-line block ×3, first 2 shown]
	s_set_gpr_idx_on s14, gpr_idx(SRC0)
	v_mov_b32_e32 v119, v32
	s_set_gpr_idx_off
	s_add_i32 s16, s11, -9
	s_set_gpr_idx_on s15, gpr_idx(SRC0)
	v_mov_b32_e32 v118, v32
	s_set_gpr_idx_off
	s_add_i32 s17, s11, -10
	;; [unrolled: 4-line block ×4, first 2 shown]
	s_waitcnt lgkmcnt(3)
	v_fmac_f64_e32 v[94:95], v[116:117], v[100:101]
	s_set_gpr_idx_on s18, gpr_idx(SRC0)
	v_mov_b32_e32 v101, v32
	s_set_gpr_idx_off
	s_add_i32 s20, s11, -5
	v_fmac_f64_e32 v[94:95], v[118:119], v[102:103]
	s_set_gpr_idx_on s19, gpr_idx(SRC0)
	v_mov_b32_e32 v100, v32
	s_set_gpr_idx_off
	s_add_i32 s21, s11, -6
	s_waitcnt lgkmcnt(2)
	v_fmac_f64_e32 v[94:95], v[120:121], v[104:105]
	s_set_gpr_idx_on s20, gpr_idx(SRC0)
	v_mov_b32_e32 v103, v32
	s_set_gpr_idx_off
	s_add_i32 s22, s11, -3
	v_fmac_f64_e32 v[94:95], v[100:101], v[106:107]
	s_set_gpr_idx_on s21, gpr_idx(SRC0)
	v_mov_b32_e32 v102, v32
	s_set_gpr_idx_off
	s_add_i32 s23, s11, -4
	s_waitcnt lgkmcnt(1)
	v_fmac_f64_e32 v[94:95], v[102:103], v[108:109]
	s_set_gpr_idx_on s22, gpr_idx(SRC0)
	v_mov_b32_e32 v101, v32
	s_set_gpr_idx_off
	s_add_i32 s24, s11, -1
	s_set_gpr_idx_on s23, gpr_idx(SRC0)
	v_mov_b32_e32 v100, v32
	s_set_gpr_idx_off
	s_add_i32 s25, s11, -2
	v_fmac_f64_e32 v[94:95], v[100:101], v[110:111]
	s_set_gpr_idx_on s24, gpr_idx(SRC0)
	v_mov_b32_e32 v101, v32
	s_set_gpr_idx_off
	s_add_u32 s4, s4, 8
	s_set_gpr_idx_on s25, gpr_idx(SRC0)
	v_mov_b32_e32 v100, v32
	s_set_gpr_idx_off
	v_add_u32_e32 v96, s4, v98
	s_waitcnt lgkmcnt(0)
	v_fmac_f64_e32 v[94:95], v[100:101], v[112:113]
	s_set_gpr_idx_on s11, gpr_idx(SRC0)
	v_mov_b32_e32 v101, v33
	s_set_gpr_idx_off
	s_addc_u32 s5, s5, 0
	s_add_i32 s10, s10, 64
	s_add_i32 s12, s4, -7
	v_cmp_eq_u32_e32 vcc, 17, v96
	s_set_gpr_idx_on s11, gpr_idx(SRC0)
	v_mov_b32_e32 v100, v32
	s_set_gpr_idx_off
	v_mov_b32_e32 v96, s12
	s_or_b64 s[8:9], vcc, s[8:9]
	v_fmac_f64_e32 v[94:95], v[100:101], v[114:115]
	s_andn2_b64 exec, exec, s[8:9]
	s_cbranch_execnz .LBB78_57
; %bb.58:
	s_or_b64 exec, exec, s[8:9]
.LBB78_59:
	s_or_b64 exec, exec, s[2:3]
	v_and_b32_e32 v62, 7, v99
	v_cmp_ne_u32_e32 vcc, 0, v62
	s_and_saveexec_b64 s[8:9], vcc
	s_cbranch_execz .LBB78_63
; %bb.60:
	v_mov_b32_e32 v63, 0x80
	v_lshl_add_u32 v98, v96, 3, v63
	v_mov_b32_e32 v63, 0
	s_mov_b64 s[10:11], 0
.LBB78_61:                              ; =>This Inner Loop Header: Depth=1
	v_cmp_eq_u32_e32 vcc, 1, v96
	v_cndmask_b32_e32 v99, v33, v35, vcc
	v_add_u32_e32 v62, -1, v62
	v_cmp_eq_u32_e64 s[2:3], 2, v96
	v_cndmask_b32_e64 v99, v99, v37, s[2:3]
	v_cndmask_b32_e32 v102, v32, v34, vcc
	v_cmp_eq_u32_e32 vcc, 0, v62
	v_cmp_eq_u32_e64 s[4:5], 3, v96
	v_cndmask_b32_e64 v99, v99, v39, s[4:5]
	v_cndmask_b32_e64 v102, v102, v36, s[2:3]
	s_or_b64 s[10:11], vcc, s[10:11]
	v_cmp_eq_u32_e32 vcc, 4, v96
	v_cndmask_b32_e32 v99, v99, v41, vcc
	v_cndmask_b32_e64 v102, v102, v38, s[4:5]
	v_cmp_eq_u32_e64 s[2:3], 5, v96
	v_cndmask_b32_e64 v99, v99, v43, s[2:3]
	v_cndmask_b32_e32 v102, v102, v40, vcc
	v_cmp_eq_u32_e32 vcc, 6, v96
	v_cndmask_b32_e32 v99, v99, v45, vcc
	v_cndmask_b32_e64 v102, v102, v42, s[2:3]
	v_cmp_eq_u32_e64 s[2:3], 7, v96
	v_cndmask_b32_e64 v99, v99, v47, s[2:3]
	v_cndmask_b32_e32 v102, v102, v44, vcc
	;; [unrolled: 6-line block ×3, first 2 shown]
	v_cmp_eq_u32_e32 vcc, 10, v96
	v_cndmask_b32_e32 v99, v99, v53, vcc
	v_cndmask_b32_e64 v102, v102, v50, s[2:3]
	v_cmp_eq_u32_e64 s[2:3], 11, v96
	ds_read_b64 v[100:101], v98
	v_cndmask_b32_e64 v99, v99, v55, s[2:3]
	v_cndmask_b32_e32 v102, v102, v52, vcc
	v_cmp_eq_u32_e32 vcc, 12, v96
	v_cndmask_b32_e32 v99, v99, v57, vcc
	v_cndmask_b32_e64 v102, v102, v54, s[2:3]
	v_cmp_eq_u32_e64 s[2:3], 13, v96
	v_cndmask_b32_e64 v99, v99, v59, s[2:3]
	v_cmp_eq_u32_e64 s[4:5], 14, v96
	v_cndmask_b32_e32 v102, v102, v56, vcc
	v_cndmask_b32_e64 v103, v99, v61, s[4:5]
	v_cndmask_b32_e64 v99, v102, v58, s[2:3]
	v_add_co_u32_e32 v96, vcc, 1, v96
	v_cndmask_b32_e64 v102, v99, v60, s[4:5]
	v_add_u32_e32 v98, 8, v98
	v_addc_co_u32_e32 v63, vcc, 0, v63, vcc
	s_waitcnt lgkmcnt(0)
	v_fmac_f64_e32 v[94:95], v[102:103], v[100:101]
	s_andn2_b64 exec, exec, s[10:11]
	s_cbranch_execnz .LBB78_61
; %bb.62:
	s_or_b64 exec, exec, s[10:11]
.LBB78_63:
	s_or_b64 exec, exec, s[8:9]
.LBB78_64:
	s_or_b64 exec, exec, s[6:7]
	v_mov_b32_e32 v50, 0
	ds_read_b64 v[50:51], v50 offset:72
	s_waitcnt lgkmcnt(0)
	v_mul_f64 v[50:51], v[94:95], v[50:51]
.LBB78_65:
	s_or_b64 exec, exec, s[34:35]
	v_cmp_lt_u32_e64 s[2:3], 8, v0
	ds_write_b64 v97, v[48:49]
	s_waitcnt lgkmcnt(0)
	; wave barrier
	s_waitcnt lgkmcnt(0)
	s_and_saveexec_b64 s[34:35], s[2:3]
	s_cbranch_execz .LBB78_81
; %bb.66:
	s_andn2_b64 vcc, exec, s[30:31]
	s_cbranch_vccnz .LBB78_68
; %bb.67:
	v_cmp_eq_u32_e32 vcc, 1, v0
	v_cndmask_b32_e32 v94, v33, v35, vcc
	v_cmp_eq_u32_e64 s[4:5], 2, v0
	v_cndmask_b32_e64 v94, v94, v37, s[4:5]
	v_cmp_eq_u32_e64 s[6:7], 3, v0
	v_cndmask_b32_e64 v94, v94, v39, s[6:7]
	;; [unrolled: 2-line block ×13, first 2 shown]
	v_cndmask_b32_e32 v94, v32, v34, vcc
	v_cndmask_b32_e64 v94, v94, v36, s[4:5]
	v_cndmask_b32_e64 v94, v94, v38, s[6:7]
	;; [unrolled: 1-line block ×9, first 2 shown]
	ds_read_b64 v[98:99], v97
	v_cndmask_b32_e64 v94, v94, v54, s[22:23]
	v_cndmask_b32_e64 v94, v94, v56, s[24:25]
	;; [unrolled: 1-line block ×4, first 2 shown]
	s_waitcnt lgkmcnt(0)
	v_mul_f64 v[94:95], v[94:95], v[98:99]
	s_cbranch_execz .LBB78_69
	s_branch .LBB78_70
.LBB78_68:
                                        ; implicit-def: $vgpr94_vgpr95
.LBB78_69:
	ds_read_b64 v[94:95], v97
.LBB78_70:
	s_and_saveexec_b64 s[6:7], s[0:1]
	s_cbranch_execz .LBB78_80
; %bb.71:
	v_add_u32_e32 v96, -10, v0
	v_add_u32_e32 v99, -9, v0
	v_cmp_lt_u32_e32 vcc, 6, v96
	v_mov_b32_e32 v96, 9
	s_and_saveexec_b64 s[0:1], vcc
	s_cbranch_execz .LBB78_75
; %bb.72:
	v_and_b32_e32 v96, -8, v99
	v_sub_u32_e32 v98, 0, v96
	s_mov_b64 s[4:5], 16
	s_movk_i32 s10, 0xc8
	s_mov_b64 s[8:9], 0
.LBB78_73:                              ; =>This Inner Loop Header: Depth=1
	s_lshl_b32 s11, s4, 1
	s_add_i32 s12, s11, -13
	v_mov_b32_e32 v114, s10
	s_add_i32 s13, s11, -14
	s_set_gpr_idx_on s12, gpr_idx(SRC0)
	v_mov_b32_e32 v109, v32
	s_set_gpr_idx_off
	s_add_i32 s14, s11, -11
	s_set_gpr_idx_on s13, gpr_idx(SRC0)
	v_mov_b32_e32 v108, v32
	s_set_gpr_idx_off
	ds_read2_b64 v[100:103], v114 offset1:1
	s_add_i32 s15, s11, -12
	s_set_gpr_idx_on s14, gpr_idx(SRC0)
	v_mov_b32_e32 v111, v32
	s_set_gpr_idx_off
	s_add_i32 s16, s11, -9
	s_set_gpr_idx_on s15, gpr_idx(SRC0)
	v_mov_b32_e32 v110, v32
	s_set_gpr_idx_off
	;; [unrolled: 4-line block ×4, first 2 shown]
	ds_read2_b64 v[104:107], v114 offset0:2 offset1:3
	s_add_i32 s19, s11, -8
	s_waitcnt lgkmcnt(1)
	v_fmac_f64_e32 v[94:95], v[108:109], v[100:101]
	s_set_gpr_idx_on s18, gpr_idx(SRC0)
	v_mov_b32_e32 v109, v32
	s_set_gpr_idx_off
	s_add_i32 s20, s11, -5
	v_fmac_f64_e32 v[94:95], v[110:111], v[102:103]
	s_set_gpr_idx_on s19, gpr_idx(SRC0)
	v_mov_b32_e32 v108, v32
	s_set_gpr_idx_off
	s_add_i32 s21, s11, -6
	s_set_gpr_idx_on s20, gpr_idx(SRC0)
	v_mov_b32_e32 v111, v32
	s_set_gpr_idx_off
	s_add_i32 s22, s11, -3
	;; [unrolled: 4-line block ×3, first 2 shown]
	ds_read2_b64 v[100:103], v114 offset0:4 offset1:5
	s_waitcnt lgkmcnt(1)
	v_fmac_f64_e32 v[94:95], v[112:113], v[104:105]
	s_set_gpr_idx_on s22, gpr_idx(SRC0)
	v_mov_b32_e32 v113, v32
	s_set_gpr_idx_off
	s_add_i32 s24, s11, -1
	v_fmac_f64_e32 v[94:95], v[108:109], v[106:107]
	s_set_gpr_idx_on s23, gpr_idx(SRC0)
	v_mov_b32_e32 v112, v32
	s_set_gpr_idx_off
	s_add_i32 s25, s11, -2
	s_set_gpr_idx_on s24, gpr_idx(SRC0)
	v_mov_b32_e32 v109, v32
	s_set_gpr_idx_off
	s_set_gpr_idx_on s25, gpr_idx(SRC0)
	v_mov_b32_e32 v108, v32
	s_set_gpr_idx_off
	ds_read2_b64 v[104:107], v114 offset0:6 offset1:7
	s_add_u32 s4, s4, 8
	s_waitcnt lgkmcnt(1)
	v_fmac_f64_e32 v[94:95], v[110:111], v[100:101]
	s_set_gpr_idx_on s11, gpr_idx(SRC0)
	v_mov_b32_e32 v101, v33
	s_set_gpr_idx_off
	v_add_u32_e32 v96, s4, v98
	v_fmac_f64_e32 v[94:95], v[112:113], v[102:103]
	s_set_gpr_idx_on s11, gpr_idx(SRC0)
	v_mov_b32_e32 v100, v32
	s_set_gpr_idx_off
	s_addc_u32 s5, s5, 0
	s_add_i32 s10, s10, 64
	s_add_i32 s12, s4, -7
	v_cmp_eq_u32_e32 vcc, 16, v96
	s_waitcnt lgkmcnt(0)
	v_fmac_f64_e32 v[94:95], v[108:109], v[104:105]
	v_mov_b32_e32 v96, s12
	s_or_b64 s[8:9], vcc, s[8:9]
	v_fmac_f64_e32 v[94:95], v[100:101], v[106:107]
	s_andn2_b64 exec, exec, s[8:9]
	s_cbranch_execnz .LBB78_73
; %bb.74:
	s_or_b64 exec, exec, s[8:9]
.LBB78_75:
	s_or_b64 exec, exec, s[0:1]
	v_and_b32_e32 v62, 7, v99
	v_cmp_ne_u32_e32 vcc, 0, v62
	s_and_saveexec_b64 s[8:9], vcc
	s_cbranch_execz .LBB78_79
; %bb.76:
	v_mov_b32_e32 v63, 0x80
	v_lshl_add_u32 v98, v96, 3, v63
	v_mov_b32_e32 v63, 0
	s_mov_b64 s[10:11], 0
.LBB78_77:                              ; =>This Inner Loop Header: Depth=1
	v_cmp_eq_u32_e32 vcc, 1, v96
	v_cndmask_b32_e32 v99, v33, v35, vcc
	v_add_u32_e32 v62, -1, v62
	v_cmp_eq_u32_e64 s[0:1], 2, v96
	v_cndmask_b32_e64 v99, v99, v37, s[0:1]
	v_cndmask_b32_e32 v102, v32, v34, vcc
	v_cmp_eq_u32_e32 vcc, 0, v62
	v_cmp_eq_u32_e64 s[4:5], 3, v96
	v_cndmask_b32_e64 v99, v99, v39, s[4:5]
	v_cndmask_b32_e64 v102, v102, v36, s[0:1]
	s_or_b64 s[10:11], vcc, s[10:11]
	v_cmp_eq_u32_e32 vcc, 4, v96
	v_cndmask_b32_e32 v99, v99, v41, vcc
	v_cndmask_b32_e64 v102, v102, v38, s[4:5]
	v_cmp_eq_u32_e64 s[0:1], 5, v96
	v_cndmask_b32_e64 v99, v99, v43, s[0:1]
	v_cndmask_b32_e32 v102, v102, v40, vcc
	v_cmp_eq_u32_e32 vcc, 6, v96
	v_cndmask_b32_e32 v99, v99, v45, vcc
	v_cndmask_b32_e64 v102, v102, v42, s[0:1]
	v_cmp_eq_u32_e64 s[0:1], 7, v96
	v_cndmask_b32_e64 v99, v99, v47, s[0:1]
	v_cndmask_b32_e32 v102, v102, v44, vcc
	;; [unrolled: 6-line block ×3, first 2 shown]
	v_cmp_eq_u32_e32 vcc, 10, v96
	v_cndmask_b32_e32 v99, v99, v53, vcc
	v_cndmask_b32_e64 v102, v102, v50, s[0:1]
	v_cmp_eq_u32_e64 s[0:1], 11, v96
	ds_read_b64 v[100:101], v98
	v_cndmask_b32_e64 v99, v99, v55, s[0:1]
	v_cndmask_b32_e32 v102, v102, v52, vcc
	v_cmp_eq_u32_e32 vcc, 12, v96
	v_cndmask_b32_e32 v99, v99, v57, vcc
	v_cndmask_b32_e64 v102, v102, v54, s[0:1]
	v_cmp_eq_u32_e64 s[0:1], 13, v96
	v_cndmask_b32_e64 v99, v99, v59, s[0:1]
	v_cmp_eq_u32_e64 s[4:5], 14, v96
	v_cndmask_b32_e32 v102, v102, v56, vcc
	v_cndmask_b32_e64 v103, v99, v61, s[4:5]
	v_cndmask_b32_e64 v99, v102, v58, s[0:1]
	v_add_co_u32_e32 v96, vcc, 1, v96
	v_cndmask_b32_e64 v102, v99, v60, s[4:5]
	v_add_u32_e32 v98, 8, v98
	v_addc_co_u32_e32 v63, vcc, 0, v63, vcc
	s_waitcnt lgkmcnt(0)
	v_fmac_f64_e32 v[94:95], v[102:103], v[100:101]
	s_andn2_b64 exec, exec, s[10:11]
	s_cbranch_execnz .LBB78_77
; %bb.78:
	s_or_b64 exec, exec, s[10:11]
.LBB78_79:
	s_or_b64 exec, exec, s[8:9]
.LBB78_80:
	s_or_b64 exec, exec, s[6:7]
	v_mov_b32_e32 v48, 0
	ds_read_b64 v[48:49], v48 offset:64
	s_waitcnt lgkmcnt(0)
	v_mul_f64 v[48:49], v[94:95], v[48:49]
.LBB78_81:
	s_or_b64 exec, exec, s[34:35]
	v_cmp_lt_u32_e64 s[4:5], 7, v0
	ds_write_b64 v97, v[46:47]
	s_waitcnt lgkmcnt(0)
	; wave barrier
	s_waitcnt lgkmcnt(0)
	s_and_saveexec_b64 s[34:35], s[4:5]
	s_cbranch_execz .LBB78_97
; %bb.82:
	s_andn2_b64 vcc, exec, s[30:31]
	s_cbranch_vccnz .LBB78_84
; %bb.83:
	v_cmp_eq_u32_e32 vcc, 1, v0
	v_cndmask_b32_e32 v94, v33, v35, vcc
	v_cmp_eq_u32_e64 s[0:1], 2, v0
	v_cndmask_b32_e64 v94, v94, v37, s[0:1]
	v_cmp_eq_u32_e64 s[6:7], 3, v0
	v_cndmask_b32_e64 v94, v94, v39, s[6:7]
	;; [unrolled: 2-line block ×13, first 2 shown]
	v_cndmask_b32_e32 v94, v32, v34, vcc
	v_cndmask_b32_e64 v94, v94, v36, s[0:1]
	v_cndmask_b32_e64 v94, v94, v38, s[6:7]
	;; [unrolled: 1-line block ×9, first 2 shown]
	ds_read_b64 v[98:99], v97
	v_cndmask_b32_e64 v94, v94, v54, s[22:23]
	v_cndmask_b32_e64 v94, v94, v56, s[24:25]
	;; [unrolled: 1-line block ×4, first 2 shown]
	s_waitcnt lgkmcnt(0)
	v_mul_f64 v[94:95], v[94:95], v[98:99]
	s_cbranch_execz .LBB78_85
	s_branch .LBB78_86
.LBB78_84:
                                        ; implicit-def: $vgpr94_vgpr95
.LBB78_85:
	ds_read_b64 v[94:95], v97
.LBB78_86:
	s_and_saveexec_b64 s[6:7], s[2:3]
	s_cbranch_execz .LBB78_96
; %bb.87:
	v_add_u32_e32 v96, -9, v0
	v_cmp_lt_u32_e32 vcc, 6, v96
	v_mov_b32_e32 v96, 8
	s_and_saveexec_b64 s[0:1], vcc
	s_cbranch_execz .LBB78_91
; %bb.88:
	v_and_b32_e32 v96, 8, v0
	v_sub_u32_e32 v98, 0, v96
	s_mov_b64 s[2:3], 15
	s_movk_i32 s10, 0xc0
	s_mov_b64 s[8:9], 0
.LBB78_89:                              ; =>This Inner Loop Header: Depth=1
	s_lshl_b32 s11, s2, 1
	s_add_i32 s12, s11, -13
	s_add_i32 s13, s11, -14
	s_set_gpr_idx_on s12, gpr_idx(SRC0)
	v_mov_b32_e32 v117, v32
	s_set_gpr_idx_off
	v_mov_b32_e32 v96, s10
	s_add_i32 s14, s11, -11
	s_set_gpr_idx_on s13, gpr_idx(SRC0)
	v_mov_b32_e32 v116, v32
	s_set_gpr_idx_off
	s_add_i32 s15, s11, -12
	ds_read_b128 v[100:103], v96
	ds_read_b128 v[104:107], v96 offset:16
	ds_read_b128 v[108:111], v96 offset:32
	;; [unrolled: 1-line block ×3, first 2 shown]
	s_set_gpr_idx_on s14, gpr_idx(SRC0)
	v_mov_b32_e32 v119, v32
	s_set_gpr_idx_off
	s_add_i32 s16, s11, -9
	s_set_gpr_idx_on s15, gpr_idx(SRC0)
	v_mov_b32_e32 v118, v32
	s_set_gpr_idx_off
	s_add_i32 s17, s11, -10
	;; [unrolled: 4-line block ×4, first 2 shown]
	s_waitcnt lgkmcnt(3)
	v_fmac_f64_e32 v[94:95], v[116:117], v[100:101]
	s_set_gpr_idx_on s18, gpr_idx(SRC0)
	v_mov_b32_e32 v101, v32
	s_set_gpr_idx_off
	s_add_i32 s20, s11, -5
	v_fmac_f64_e32 v[94:95], v[118:119], v[102:103]
	s_set_gpr_idx_on s19, gpr_idx(SRC0)
	v_mov_b32_e32 v100, v32
	s_set_gpr_idx_off
	s_add_i32 s21, s11, -6
	s_waitcnt lgkmcnt(2)
	v_fmac_f64_e32 v[94:95], v[120:121], v[104:105]
	s_set_gpr_idx_on s20, gpr_idx(SRC0)
	v_mov_b32_e32 v103, v32
	s_set_gpr_idx_off
	s_add_i32 s22, s11, -3
	v_fmac_f64_e32 v[94:95], v[100:101], v[106:107]
	s_set_gpr_idx_on s21, gpr_idx(SRC0)
	v_mov_b32_e32 v102, v32
	s_set_gpr_idx_off
	s_add_i32 s23, s11, -4
	s_waitcnt lgkmcnt(1)
	v_fmac_f64_e32 v[94:95], v[102:103], v[108:109]
	s_set_gpr_idx_on s22, gpr_idx(SRC0)
	v_mov_b32_e32 v101, v32
	s_set_gpr_idx_off
	s_add_i32 s24, s11, -1
	s_set_gpr_idx_on s23, gpr_idx(SRC0)
	v_mov_b32_e32 v100, v32
	s_set_gpr_idx_off
	s_add_i32 s25, s11, -2
	v_fmac_f64_e32 v[94:95], v[100:101], v[110:111]
	s_set_gpr_idx_on s24, gpr_idx(SRC0)
	v_mov_b32_e32 v101, v32
	s_set_gpr_idx_off
	s_add_u32 s2, s2, 8
	s_set_gpr_idx_on s25, gpr_idx(SRC0)
	v_mov_b32_e32 v100, v32
	s_set_gpr_idx_off
	v_add_u32_e32 v96, s2, v98
	s_waitcnt lgkmcnt(0)
	v_fmac_f64_e32 v[94:95], v[100:101], v[112:113]
	s_set_gpr_idx_on s11, gpr_idx(SRC0)
	v_mov_b32_e32 v101, v33
	s_set_gpr_idx_off
	s_addc_u32 s3, s3, 0
	s_add_i32 s10, s10, 64
	s_add_i32 s12, s2, -7
	v_cmp_eq_u32_e32 vcc, 7, v96
	s_set_gpr_idx_on s11, gpr_idx(SRC0)
	v_mov_b32_e32 v100, v32
	s_set_gpr_idx_off
	v_mov_b32_e32 v96, s12
	s_or_b64 s[8:9], vcc, s[8:9]
	v_fmac_f64_e32 v[94:95], v[100:101], v[114:115]
	s_andn2_b64 exec, exec, s[8:9]
	s_cbranch_execnz .LBB78_89
; %bb.90:
	s_or_b64 exec, exec, s[8:9]
.LBB78_91:
	s_or_b64 exec, exec, s[0:1]
	v_and_b32_e32 v62, 7, v0
	v_cmp_ne_u32_e32 vcc, 0, v62
	s_and_saveexec_b64 s[8:9], vcc
	s_cbranch_execz .LBB78_95
; %bb.92:
	v_mov_b32_e32 v63, 0x80
	v_lshl_add_u32 v98, v96, 3, v63
	v_mov_b32_e32 v63, 0
	s_mov_b64 s[10:11], 0
.LBB78_93:                              ; =>This Inner Loop Header: Depth=1
	v_cmp_eq_u32_e32 vcc, 1, v96
	v_cndmask_b32_e32 v99, v33, v35, vcc
	v_add_u32_e32 v62, -1, v62
	v_cmp_eq_u32_e64 s[0:1], 2, v96
	v_cndmask_b32_e64 v99, v99, v37, s[0:1]
	v_cndmask_b32_e32 v102, v32, v34, vcc
	v_cmp_eq_u32_e32 vcc, 0, v62
	v_cmp_eq_u32_e64 s[2:3], 3, v96
	v_cndmask_b32_e64 v99, v99, v39, s[2:3]
	v_cndmask_b32_e64 v102, v102, v36, s[0:1]
	s_or_b64 s[10:11], vcc, s[10:11]
	v_cmp_eq_u32_e32 vcc, 4, v96
	v_cndmask_b32_e32 v99, v99, v41, vcc
	v_cndmask_b32_e64 v102, v102, v38, s[2:3]
	v_cmp_eq_u32_e64 s[0:1], 5, v96
	v_cndmask_b32_e64 v99, v99, v43, s[0:1]
	v_cndmask_b32_e32 v102, v102, v40, vcc
	v_cmp_eq_u32_e32 vcc, 6, v96
	v_cndmask_b32_e32 v99, v99, v45, vcc
	v_cndmask_b32_e64 v102, v102, v42, s[0:1]
	v_cmp_eq_u32_e64 s[0:1], 7, v96
	v_cndmask_b32_e64 v99, v99, v47, s[0:1]
	v_cndmask_b32_e32 v102, v102, v44, vcc
	;; [unrolled: 6-line block ×3, first 2 shown]
	v_cmp_eq_u32_e32 vcc, 10, v96
	v_cndmask_b32_e32 v99, v99, v53, vcc
	v_cndmask_b32_e64 v102, v102, v50, s[0:1]
	v_cmp_eq_u32_e64 s[0:1], 11, v96
	ds_read_b64 v[100:101], v98
	v_cndmask_b32_e64 v99, v99, v55, s[0:1]
	v_cndmask_b32_e32 v102, v102, v52, vcc
	v_cmp_eq_u32_e32 vcc, 12, v96
	v_cndmask_b32_e32 v99, v99, v57, vcc
	v_cndmask_b32_e64 v102, v102, v54, s[0:1]
	v_cmp_eq_u32_e64 s[0:1], 13, v96
	v_cndmask_b32_e64 v99, v99, v59, s[0:1]
	v_cmp_eq_u32_e64 s[2:3], 14, v96
	v_cndmask_b32_e32 v102, v102, v56, vcc
	v_cndmask_b32_e64 v103, v99, v61, s[2:3]
	v_cndmask_b32_e64 v99, v102, v58, s[0:1]
	v_add_co_u32_e32 v96, vcc, 1, v96
	v_cndmask_b32_e64 v102, v99, v60, s[2:3]
	v_add_u32_e32 v98, 8, v98
	v_addc_co_u32_e32 v63, vcc, 0, v63, vcc
	s_waitcnt lgkmcnt(0)
	v_fmac_f64_e32 v[94:95], v[102:103], v[100:101]
	s_andn2_b64 exec, exec, s[10:11]
	s_cbranch_execnz .LBB78_93
; %bb.94:
	s_or_b64 exec, exec, s[10:11]
.LBB78_95:
	s_or_b64 exec, exec, s[8:9]
.LBB78_96:
	s_or_b64 exec, exec, s[6:7]
	v_mov_b32_e32 v46, 0
	ds_read_b64 v[46:47], v46 offset:56
	s_waitcnt lgkmcnt(0)
	v_mul_f64 v[46:47], v[94:95], v[46:47]
.LBB78_97:
	s_or_b64 exec, exec, s[34:35]
	v_cmp_lt_u32_e64 s[0:1], 6, v0
	ds_write_b64 v97, v[44:45]
	s_waitcnt lgkmcnt(0)
	; wave barrier
	s_waitcnt lgkmcnt(0)
	s_and_saveexec_b64 s[34:35], s[0:1]
	s_cbranch_execz .LBB78_113
; %bb.98:
	s_andn2_b64 vcc, exec, s[30:31]
	s_cbranch_vccnz .LBB78_100
; %bb.99:
	v_cmp_eq_u32_e32 vcc, 1, v0
	v_cndmask_b32_e32 v94, v33, v35, vcc
	v_cmp_eq_u32_e64 s[2:3], 2, v0
	v_cndmask_b32_e64 v94, v94, v37, s[2:3]
	v_cmp_eq_u32_e64 s[6:7], 3, v0
	v_cndmask_b32_e64 v94, v94, v39, s[6:7]
	;; [unrolled: 2-line block ×13, first 2 shown]
	v_cndmask_b32_e32 v94, v32, v34, vcc
	v_cndmask_b32_e64 v94, v94, v36, s[2:3]
	v_cndmask_b32_e64 v94, v94, v38, s[6:7]
	;; [unrolled: 1-line block ×9, first 2 shown]
	ds_read_b64 v[98:99], v97
	v_cndmask_b32_e64 v94, v94, v54, s[22:23]
	v_cndmask_b32_e64 v94, v94, v56, s[24:25]
	;; [unrolled: 1-line block ×4, first 2 shown]
	s_waitcnt lgkmcnt(0)
	v_mul_f64 v[94:95], v[94:95], v[98:99]
	s_cbranch_execz .LBB78_101
	s_branch .LBB78_102
.LBB78_100:
                                        ; implicit-def: $vgpr94_vgpr95
.LBB78_101:
	ds_read_b64 v[94:95], v97
.LBB78_102:
	s_and_saveexec_b64 s[6:7], s[4:5]
	s_cbranch_execz .LBB78_112
; %bb.103:
	v_add_u32_e32 v96, -8, v0
	v_add_u32_e32 v99, -7, v0
	v_cmp_lt_u32_e32 vcc, 6, v96
	v_mov_b32_e32 v96, 7
	s_and_saveexec_b64 s[2:3], vcc
	s_cbranch_execz .LBB78_107
; %bb.104:
	v_and_b32_e32 v96, -8, v99
	v_sub_u32_e32 v98, 0, v96
	s_mov_b64 s[4:5], 14
	s_movk_i32 s10, 0xb8
	s_mov_b64 s[8:9], 0
.LBB78_105:                             ; =>This Inner Loop Header: Depth=1
	s_lshl_b32 s11, s4, 1
	s_add_i32 s12, s11, -13
	v_mov_b32_e32 v114, s10
	s_add_i32 s13, s11, -14
	s_set_gpr_idx_on s12, gpr_idx(SRC0)
	v_mov_b32_e32 v109, v32
	s_set_gpr_idx_off
	s_add_i32 s14, s11, -11
	s_set_gpr_idx_on s13, gpr_idx(SRC0)
	v_mov_b32_e32 v108, v32
	s_set_gpr_idx_off
	ds_read2_b64 v[100:103], v114 offset1:1
	s_add_i32 s15, s11, -12
	s_set_gpr_idx_on s14, gpr_idx(SRC0)
	v_mov_b32_e32 v111, v32
	s_set_gpr_idx_off
	s_add_i32 s16, s11, -9
	s_set_gpr_idx_on s15, gpr_idx(SRC0)
	v_mov_b32_e32 v110, v32
	s_set_gpr_idx_off
	;; [unrolled: 4-line block ×4, first 2 shown]
	ds_read2_b64 v[104:107], v114 offset0:2 offset1:3
	s_add_i32 s19, s11, -8
	s_waitcnt lgkmcnt(1)
	v_fmac_f64_e32 v[94:95], v[108:109], v[100:101]
	s_set_gpr_idx_on s18, gpr_idx(SRC0)
	v_mov_b32_e32 v109, v32
	s_set_gpr_idx_off
	s_add_i32 s20, s11, -5
	v_fmac_f64_e32 v[94:95], v[110:111], v[102:103]
	s_set_gpr_idx_on s19, gpr_idx(SRC0)
	v_mov_b32_e32 v108, v32
	s_set_gpr_idx_off
	s_add_i32 s21, s11, -6
	s_set_gpr_idx_on s20, gpr_idx(SRC0)
	v_mov_b32_e32 v111, v32
	s_set_gpr_idx_off
	s_add_i32 s22, s11, -3
	;; [unrolled: 4-line block ×3, first 2 shown]
	ds_read2_b64 v[100:103], v114 offset0:4 offset1:5
	s_waitcnt lgkmcnt(1)
	v_fmac_f64_e32 v[94:95], v[112:113], v[104:105]
	s_set_gpr_idx_on s22, gpr_idx(SRC0)
	v_mov_b32_e32 v113, v32
	s_set_gpr_idx_off
	s_add_i32 s24, s11, -1
	v_fmac_f64_e32 v[94:95], v[108:109], v[106:107]
	s_set_gpr_idx_on s23, gpr_idx(SRC0)
	v_mov_b32_e32 v112, v32
	s_set_gpr_idx_off
	s_add_i32 s25, s11, -2
	s_set_gpr_idx_on s24, gpr_idx(SRC0)
	v_mov_b32_e32 v109, v32
	s_set_gpr_idx_off
	s_set_gpr_idx_on s25, gpr_idx(SRC0)
	v_mov_b32_e32 v108, v32
	s_set_gpr_idx_off
	ds_read2_b64 v[104:107], v114 offset0:6 offset1:7
	s_add_u32 s4, s4, 8
	s_waitcnt lgkmcnt(1)
	v_fmac_f64_e32 v[94:95], v[110:111], v[100:101]
	s_set_gpr_idx_on s11, gpr_idx(SRC0)
	v_mov_b32_e32 v101, v33
	s_set_gpr_idx_off
	v_add_u32_e32 v96, s4, v98
	v_fmac_f64_e32 v[94:95], v[112:113], v[102:103]
	s_set_gpr_idx_on s11, gpr_idx(SRC0)
	v_mov_b32_e32 v100, v32
	s_set_gpr_idx_off
	s_addc_u32 s5, s5, 0
	s_add_i32 s10, s10, 64
	s_add_i32 s12, s4, -7
	v_cmp_eq_u32_e32 vcc, 14, v96
	s_waitcnt lgkmcnt(0)
	v_fmac_f64_e32 v[94:95], v[108:109], v[104:105]
	v_mov_b32_e32 v96, s12
	s_or_b64 s[8:9], vcc, s[8:9]
	v_fmac_f64_e32 v[94:95], v[100:101], v[106:107]
	s_andn2_b64 exec, exec, s[8:9]
	s_cbranch_execnz .LBB78_105
; %bb.106:
	s_or_b64 exec, exec, s[8:9]
.LBB78_107:
	s_or_b64 exec, exec, s[2:3]
	v_and_b32_e32 v62, 7, v99
	v_cmp_ne_u32_e32 vcc, 0, v62
	s_and_saveexec_b64 s[8:9], vcc
	s_cbranch_execz .LBB78_111
; %bb.108:
	v_mov_b32_e32 v63, 0x80
	v_lshl_add_u32 v98, v96, 3, v63
	v_mov_b32_e32 v63, 0
	s_mov_b64 s[10:11], 0
.LBB78_109:                             ; =>This Inner Loop Header: Depth=1
	v_cmp_eq_u32_e32 vcc, 1, v96
	v_cndmask_b32_e32 v99, v33, v35, vcc
	v_add_u32_e32 v62, -1, v62
	v_cmp_eq_u32_e64 s[2:3], 2, v96
	v_cndmask_b32_e64 v99, v99, v37, s[2:3]
	v_cndmask_b32_e32 v102, v32, v34, vcc
	v_cmp_eq_u32_e32 vcc, 0, v62
	v_cmp_eq_u32_e64 s[4:5], 3, v96
	v_cndmask_b32_e64 v99, v99, v39, s[4:5]
	v_cndmask_b32_e64 v102, v102, v36, s[2:3]
	s_or_b64 s[10:11], vcc, s[10:11]
	v_cmp_eq_u32_e32 vcc, 4, v96
	v_cndmask_b32_e32 v99, v99, v41, vcc
	v_cndmask_b32_e64 v102, v102, v38, s[4:5]
	v_cmp_eq_u32_e64 s[2:3], 5, v96
	v_cndmask_b32_e64 v99, v99, v43, s[2:3]
	v_cndmask_b32_e32 v102, v102, v40, vcc
	v_cmp_eq_u32_e32 vcc, 6, v96
	v_cndmask_b32_e32 v99, v99, v45, vcc
	v_cndmask_b32_e64 v102, v102, v42, s[2:3]
	v_cmp_eq_u32_e64 s[2:3], 7, v96
	v_cndmask_b32_e64 v99, v99, v47, s[2:3]
	v_cndmask_b32_e32 v102, v102, v44, vcc
	;; [unrolled: 6-line block ×3, first 2 shown]
	v_cmp_eq_u32_e32 vcc, 10, v96
	v_cndmask_b32_e32 v99, v99, v53, vcc
	v_cndmask_b32_e64 v102, v102, v50, s[2:3]
	v_cmp_eq_u32_e64 s[2:3], 11, v96
	ds_read_b64 v[100:101], v98
	v_cndmask_b32_e64 v99, v99, v55, s[2:3]
	v_cndmask_b32_e32 v102, v102, v52, vcc
	v_cmp_eq_u32_e32 vcc, 12, v96
	v_cndmask_b32_e32 v99, v99, v57, vcc
	v_cndmask_b32_e64 v102, v102, v54, s[2:3]
	v_cmp_eq_u32_e64 s[2:3], 13, v96
	v_cndmask_b32_e64 v99, v99, v59, s[2:3]
	v_cmp_eq_u32_e64 s[4:5], 14, v96
	v_cndmask_b32_e32 v102, v102, v56, vcc
	v_cndmask_b32_e64 v103, v99, v61, s[4:5]
	v_cndmask_b32_e64 v99, v102, v58, s[2:3]
	v_add_co_u32_e32 v96, vcc, 1, v96
	v_cndmask_b32_e64 v102, v99, v60, s[4:5]
	v_add_u32_e32 v98, 8, v98
	v_addc_co_u32_e32 v63, vcc, 0, v63, vcc
	s_waitcnt lgkmcnt(0)
	v_fmac_f64_e32 v[94:95], v[102:103], v[100:101]
	s_andn2_b64 exec, exec, s[10:11]
	s_cbranch_execnz .LBB78_109
; %bb.110:
	s_or_b64 exec, exec, s[10:11]
.LBB78_111:
	s_or_b64 exec, exec, s[8:9]
.LBB78_112:
	s_or_b64 exec, exec, s[6:7]
	v_mov_b32_e32 v44, 0
	ds_read_b64 v[44:45], v44 offset:48
	s_waitcnt lgkmcnt(0)
	v_mul_f64 v[44:45], v[94:95], v[44:45]
.LBB78_113:
	s_or_b64 exec, exec, s[34:35]
	v_cmp_lt_u32_e64 s[2:3], 5, v0
	ds_write_b64 v97, v[42:43]
	s_waitcnt lgkmcnt(0)
	; wave barrier
	s_waitcnt lgkmcnt(0)
	s_and_saveexec_b64 s[34:35], s[2:3]
	s_cbranch_execz .LBB78_129
; %bb.114:
	s_andn2_b64 vcc, exec, s[30:31]
	s_cbranch_vccnz .LBB78_116
; %bb.115:
	v_cmp_eq_u32_e32 vcc, 1, v0
	v_cndmask_b32_e32 v94, v33, v35, vcc
	v_cmp_eq_u32_e64 s[4:5], 2, v0
	v_cndmask_b32_e64 v94, v94, v37, s[4:5]
	v_cmp_eq_u32_e64 s[6:7], 3, v0
	v_cndmask_b32_e64 v94, v94, v39, s[6:7]
	;; [unrolled: 2-line block ×13, first 2 shown]
	v_cndmask_b32_e32 v94, v32, v34, vcc
	v_cndmask_b32_e64 v94, v94, v36, s[4:5]
	v_cndmask_b32_e64 v94, v94, v38, s[6:7]
	;; [unrolled: 1-line block ×9, first 2 shown]
	ds_read_b64 v[98:99], v97
	v_cndmask_b32_e64 v94, v94, v54, s[22:23]
	v_cndmask_b32_e64 v94, v94, v56, s[24:25]
	;; [unrolled: 1-line block ×4, first 2 shown]
	s_waitcnt lgkmcnt(0)
	v_mul_f64 v[94:95], v[94:95], v[98:99]
	s_cbranch_execz .LBB78_117
	s_branch .LBB78_118
.LBB78_116:
                                        ; implicit-def: $vgpr94_vgpr95
.LBB78_117:
	ds_read_b64 v[94:95], v97
.LBB78_118:
	s_and_saveexec_b64 s[6:7], s[0:1]
	s_cbranch_execz .LBB78_128
; %bb.119:
	v_add_u32_e32 v96, -7, v0
	v_add_u32_e32 v99, -6, v0
	v_cmp_lt_u32_e32 vcc, 6, v96
	v_mov_b32_e32 v96, 6
	s_and_saveexec_b64 s[0:1], vcc
	s_cbranch_execz .LBB78_123
; %bb.120:
	v_and_b32_e32 v96, -8, v99
	v_sub_u32_e32 v98, 0, v96
	s_mov_b64 s[4:5], 13
	s_movk_i32 s10, 0xb0
	s_mov_b64 s[8:9], 0
.LBB78_121:                             ; =>This Inner Loop Header: Depth=1
	s_lshl_b32 s11, s4, 1
	s_add_i32 s12, s11, -13
	s_add_i32 s13, s11, -14
	s_set_gpr_idx_on s12, gpr_idx(SRC0)
	v_mov_b32_e32 v117, v32
	s_set_gpr_idx_off
	v_mov_b32_e32 v96, s10
	s_add_i32 s14, s11, -11
	s_set_gpr_idx_on s13, gpr_idx(SRC0)
	v_mov_b32_e32 v116, v32
	s_set_gpr_idx_off
	s_add_i32 s15, s11, -12
	ds_read_b128 v[100:103], v96
	ds_read_b128 v[104:107], v96 offset:16
	ds_read_b128 v[108:111], v96 offset:32
	;; [unrolled: 1-line block ×3, first 2 shown]
	s_set_gpr_idx_on s14, gpr_idx(SRC0)
	v_mov_b32_e32 v119, v32
	s_set_gpr_idx_off
	s_add_i32 s16, s11, -9
	s_set_gpr_idx_on s15, gpr_idx(SRC0)
	v_mov_b32_e32 v118, v32
	s_set_gpr_idx_off
	s_add_i32 s17, s11, -10
	;; [unrolled: 4-line block ×4, first 2 shown]
	s_waitcnt lgkmcnt(3)
	v_fmac_f64_e32 v[94:95], v[116:117], v[100:101]
	s_set_gpr_idx_on s18, gpr_idx(SRC0)
	v_mov_b32_e32 v101, v32
	s_set_gpr_idx_off
	s_add_i32 s20, s11, -5
	v_fmac_f64_e32 v[94:95], v[118:119], v[102:103]
	s_set_gpr_idx_on s19, gpr_idx(SRC0)
	v_mov_b32_e32 v100, v32
	s_set_gpr_idx_off
	s_add_i32 s21, s11, -6
	s_waitcnt lgkmcnt(2)
	v_fmac_f64_e32 v[94:95], v[120:121], v[104:105]
	s_set_gpr_idx_on s20, gpr_idx(SRC0)
	v_mov_b32_e32 v103, v32
	s_set_gpr_idx_off
	s_add_i32 s22, s11, -3
	v_fmac_f64_e32 v[94:95], v[100:101], v[106:107]
	s_set_gpr_idx_on s21, gpr_idx(SRC0)
	v_mov_b32_e32 v102, v32
	s_set_gpr_idx_off
	s_add_i32 s23, s11, -4
	s_waitcnt lgkmcnt(1)
	v_fmac_f64_e32 v[94:95], v[102:103], v[108:109]
	s_set_gpr_idx_on s22, gpr_idx(SRC0)
	v_mov_b32_e32 v101, v32
	s_set_gpr_idx_off
	s_add_i32 s24, s11, -1
	s_set_gpr_idx_on s23, gpr_idx(SRC0)
	v_mov_b32_e32 v100, v32
	s_set_gpr_idx_off
	s_add_i32 s25, s11, -2
	v_fmac_f64_e32 v[94:95], v[100:101], v[110:111]
	s_set_gpr_idx_on s24, gpr_idx(SRC0)
	v_mov_b32_e32 v101, v32
	s_set_gpr_idx_off
	s_add_u32 s4, s4, 8
	s_set_gpr_idx_on s25, gpr_idx(SRC0)
	v_mov_b32_e32 v100, v32
	s_set_gpr_idx_off
	v_add_u32_e32 v96, s4, v98
	s_waitcnt lgkmcnt(0)
	v_fmac_f64_e32 v[94:95], v[100:101], v[112:113]
	s_set_gpr_idx_on s11, gpr_idx(SRC0)
	v_mov_b32_e32 v101, v33
	s_set_gpr_idx_off
	s_addc_u32 s5, s5, 0
	s_add_i32 s10, s10, 64
	s_add_i32 s12, s4, -7
	v_cmp_eq_u32_e32 vcc, 13, v96
	s_set_gpr_idx_on s11, gpr_idx(SRC0)
	v_mov_b32_e32 v100, v32
	s_set_gpr_idx_off
	v_mov_b32_e32 v96, s12
	s_or_b64 s[8:9], vcc, s[8:9]
	v_fmac_f64_e32 v[94:95], v[100:101], v[114:115]
	s_andn2_b64 exec, exec, s[8:9]
	s_cbranch_execnz .LBB78_121
; %bb.122:
	s_or_b64 exec, exec, s[8:9]
.LBB78_123:
	s_or_b64 exec, exec, s[0:1]
	v_and_b32_e32 v62, 7, v99
	v_cmp_ne_u32_e32 vcc, 0, v62
	s_and_saveexec_b64 s[8:9], vcc
	s_cbranch_execz .LBB78_127
; %bb.124:
	v_mov_b32_e32 v63, 0x80
	v_lshl_add_u32 v98, v96, 3, v63
	v_mov_b32_e32 v63, 0
	s_mov_b64 s[10:11], 0
.LBB78_125:                             ; =>This Inner Loop Header: Depth=1
	v_cmp_eq_u32_e32 vcc, 1, v96
	v_cndmask_b32_e32 v99, v33, v35, vcc
	v_add_u32_e32 v62, -1, v62
	v_cmp_eq_u32_e64 s[0:1], 2, v96
	v_cndmask_b32_e64 v99, v99, v37, s[0:1]
	v_cndmask_b32_e32 v102, v32, v34, vcc
	v_cmp_eq_u32_e32 vcc, 0, v62
	v_cmp_eq_u32_e64 s[4:5], 3, v96
	v_cndmask_b32_e64 v99, v99, v39, s[4:5]
	v_cndmask_b32_e64 v102, v102, v36, s[0:1]
	s_or_b64 s[10:11], vcc, s[10:11]
	v_cmp_eq_u32_e32 vcc, 4, v96
	v_cndmask_b32_e32 v99, v99, v41, vcc
	v_cndmask_b32_e64 v102, v102, v38, s[4:5]
	v_cmp_eq_u32_e64 s[0:1], 5, v96
	v_cndmask_b32_e64 v99, v99, v43, s[0:1]
	v_cndmask_b32_e32 v102, v102, v40, vcc
	v_cmp_eq_u32_e32 vcc, 6, v96
	v_cndmask_b32_e32 v99, v99, v45, vcc
	v_cndmask_b32_e64 v102, v102, v42, s[0:1]
	v_cmp_eq_u32_e64 s[0:1], 7, v96
	v_cndmask_b32_e64 v99, v99, v47, s[0:1]
	v_cndmask_b32_e32 v102, v102, v44, vcc
	;; [unrolled: 6-line block ×3, first 2 shown]
	v_cmp_eq_u32_e32 vcc, 10, v96
	v_cndmask_b32_e32 v99, v99, v53, vcc
	v_cndmask_b32_e64 v102, v102, v50, s[0:1]
	v_cmp_eq_u32_e64 s[0:1], 11, v96
	ds_read_b64 v[100:101], v98
	v_cndmask_b32_e64 v99, v99, v55, s[0:1]
	v_cndmask_b32_e32 v102, v102, v52, vcc
	v_cmp_eq_u32_e32 vcc, 12, v96
	v_cndmask_b32_e32 v99, v99, v57, vcc
	v_cndmask_b32_e64 v102, v102, v54, s[0:1]
	v_cmp_eq_u32_e64 s[0:1], 13, v96
	v_cndmask_b32_e64 v99, v99, v59, s[0:1]
	v_cmp_eq_u32_e64 s[4:5], 14, v96
	v_cndmask_b32_e32 v102, v102, v56, vcc
	v_cndmask_b32_e64 v103, v99, v61, s[4:5]
	v_cndmask_b32_e64 v99, v102, v58, s[0:1]
	v_add_co_u32_e32 v96, vcc, 1, v96
	v_cndmask_b32_e64 v102, v99, v60, s[4:5]
	v_add_u32_e32 v98, 8, v98
	v_addc_co_u32_e32 v63, vcc, 0, v63, vcc
	s_waitcnt lgkmcnt(0)
	v_fmac_f64_e32 v[94:95], v[102:103], v[100:101]
	s_andn2_b64 exec, exec, s[10:11]
	s_cbranch_execnz .LBB78_125
; %bb.126:
	s_or_b64 exec, exec, s[10:11]
.LBB78_127:
	s_or_b64 exec, exec, s[8:9]
.LBB78_128:
	s_or_b64 exec, exec, s[6:7]
	v_mov_b32_e32 v42, 0
	ds_read_b64 v[42:43], v42 offset:40
	s_waitcnt lgkmcnt(0)
	v_mul_f64 v[42:43], v[94:95], v[42:43]
.LBB78_129:
	s_or_b64 exec, exec, s[34:35]
	v_cmp_lt_u32_e64 s[0:1], 4, v0
	ds_write_b64 v97, v[40:41]
	s_waitcnt lgkmcnt(0)
	; wave barrier
	s_waitcnt lgkmcnt(0)
	s_and_saveexec_b64 s[34:35], s[0:1]
	s_cbranch_execz .LBB78_145
; %bb.130:
	s_andn2_b64 vcc, exec, s[30:31]
	s_cbranch_vccnz .LBB78_132
; %bb.131:
	v_cmp_eq_u32_e32 vcc, 1, v0
	v_cndmask_b32_e32 v94, v33, v35, vcc
	v_cmp_eq_u32_e64 s[4:5], 2, v0
	v_cndmask_b32_e64 v94, v94, v37, s[4:5]
	v_cmp_eq_u32_e64 s[6:7], 3, v0
	v_cndmask_b32_e64 v94, v94, v39, s[6:7]
	;; [unrolled: 2-line block ×13, first 2 shown]
	v_cndmask_b32_e32 v94, v32, v34, vcc
	v_cndmask_b32_e64 v94, v94, v36, s[4:5]
	v_cndmask_b32_e64 v94, v94, v38, s[6:7]
	;; [unrolled: 1-line block ×9, first 2 shown]
	ds_read_b64 v[98:99], v97
	v_cndmask_b32_e64 v94, v94, v54, s[22:23]
	v_cndmask_b32_e64 v94, v94, v56, s[24:25]
	;; [unrolled: 1-line block ×4, first 2 shown]
	s_waitcnt lgkmcnt(0)
	v_mul_f64 v[94:95], v[94:95], v[98:99]
	s_cbranch_execz .LBB78_133
	s_branch .LBB78_134
.LBB78_132:
                                        ; implicit-def: $vgpr94_vgpr95
.LBB78_133:
	ds_read_b64 v[94:95], v97
.LBB78_134:
	s_and_saveexec_b64 s[6:7], s[2:3]
	s_cbranch_execz .LBB78_144
; %bb.135:
	v_add_u32_e32 v96, -6, v0
	v_add_u32_e32 v99, -5, v0
	v_cmp_lt_u32_e32 vcc, 6, v96
	v_mov_b32_e32 v96, 5
	s_and_saveexec_b64 s[2:3], vcc
	s_cbranch_execz .LBB78_139
; %bb.136:
	v_and_b32_e32 v96, -8, v99
	v_sub_u32_e32 v98, 0, v96
	s_mov_b64 s[4:5], 12
	s_movk_i32 s10, 0xa8
	s_mov_b64 s[8:9], 0
.LBB78_137:                             ; =>This Inner Loop Header: Depth=1
	s_lshl_b32 s11, s4, 1
	s_add_i32 s12, s11, -13
	v_mov_b32_e32 v114, s10
	s_add_i32 s13, s11, -14
	s_set_gpr_idx_on s12, gpr_idx(SRC0)
	v_mov_b32_e32 v109, v32
	s_set_gpr_idx_off
	s_add_i32 s14, s11, -11
	s_set_gpr_idx_on s13, gpr_idx(SRC0)
	v_mov_b32_e32 v108, v32
	s_set_gpr_idx_off
	ds_read2_b64 v[100:103], v114 offset1:1
	s_add_i32 s15, s11, -12
	s_set_gpr_idx_on s14, gpr_idx(SRC0)
	v_mov_b32_e32 v111, v32
	s_set_gpr_idx_off
	s_add_i32 s16, s11, -9
	s_set_gpr_idx_on s15, gpr_idx(SRC0)
	v_mov_b32_e32 v110, v32
	s_set_gpr_idx_off
	;; [unrolled: 4-line block ×4, first 2 shown]
	ds_read2_b64 v[104:107], v114 offset0:2 offset1:3
	s_add_i32 s19, s11, -8
	s_waitcnt lgkmcnt(1)
	v_fmac_f64_e32 v[94:95], v[108:109], v[100:101]
	s_set_gpr_idx_on s18, gpr_idx(SRC0)
	v_mov_b32_e32 v109, v32
	s_set_gpr_idx_off
	s_add_i32 s20, s11, -5
	v_fmac_f64_e32 v[94:95], v[110:111], v[102:103]
	s_set_gpr_idx_on s19, gpr_idx(SRC0)
	v_mov_b32_e32 v108, v32
	s_set_gpr_idx_off
	s_add_i32 s21, s11, -6
	s_set_gpr_idx_on s20, gpr_idx(SRC0)
	v_mov_b32_e32 v111, v32
	s_set_gpr_idx_off
	s_add_i32 s22, s11, -3
	;; [unrolled: 4-line block ×3, first 2 shown]
	ds_read2_b64 v[100:103], v114 offset0:4 offset1:5
	s_waitcnt lgkmcnt(1)
	v_fmac_f64_e32 v[94:95], v[112:113], v[104:105]
	s_set_gpr_idx_on s22, gpr_idx(SRC0)
	v_mov_b32_e32 v113, v32
	s_set_gpr_idx_off
	s_add_i32 s24, s11, -1
	v_fmac_f64_e32 v[94:95], v[108:109], v[106:107]
	s_set_gpr_idx_on s23, gpr_idx(SRC0)
	v_mov_b32_e32 v112, v32
	s_set_gpr_idx_off
	s_add_i32 s25, s11, -2
	s_set_gpr_idx_on s24, gpr_idx(SRC0)
	v_mov_b32_e32 v109, v32
	s_set_gpr_idx_off
	s_set_gpr_idx_on s25, gpr_idx(SRC0)
	v_mov_b32_e32 v108, v32
	s_set_gpr_idx_off
	ds_read2_b64 v[104:107], v114 offset0:6 offset1:7
	s_add_u32 s4, s4, 8
	s_waitcnt lgkmcnt(1)
	v_fmac_f64_e32 v[94:95], v[110:111], v[100:101]
	s_set_gpr_idx_on s11, gpr_idx(SRC0)
	v_mov_b32_e32 v101, v33
	s_set_gpr_idx_off
	v_add_u32_e32 v96, s4, v98
	v_fmac_f64_e32 v[94:95], v[112:113], v[102:103]
	s_set_gpr_idx_on s11, gpr_idx(SRC0)
	v_mov_b32_e32 v100, v32
	s_set_gpr_idx_off
	s_addc_u32 s5, s5, 0
	s_add_i32 s10, s10, 64
	s_add_i32 s12, s4, -7
	v_cmp_eq_u32_e32 vcc, 12, v96
	s_waitcnt lgkmcnt(0)
	v_fmac_f64_e32 v[94:95], v[108:109], v[104:105]
	v_mov_b32_e32 v96, s12
	s_or_b64 s[8:9], vcc, s[8:9]
	v_fmac_f64_e32 v[94:95], v[100:101], v[106:107]
	s_andn2_b64 exec, exec, s[8:9]
	s_cbranch_execnz .LBB78_137
; %bb.138:
	s_or_b64 exec, exec, s[8:9]
.LBB78_139:
	s_or_b64 exec, exec, s[2:3]
	v_and_b32_e32 v62, 7, v99
	v_cmp_ne_u32_e32 vcc, 0, v62
	s_and_saveexec_b64 s[8:9], vcc
	s_cbranch_execz .LBB78_143
; %bb.140:
	v_mov_b32_e32 v63, 0x80
	v_lshl_add_u32 v98, v96, 3, v63
	v_mov_b32_e32 v63, 0
	s_mov_b64 s[10:11], 0
.LBB78_141:                             ; =>This Inner Loop Header: Depth=1
	v_cmp_eq_u32_e32 vcc, 1, v96
	v_cndmask_b32_e32 v99, v33, v35, vcc
	v_add_u32_e32 v62, -1, v62
	v_cmp_eq_u32_e64 s[2:3], 2, v96
	v_cndmask_b32_e64 v99, v99, v37, s[2:3]
	v_cndmask_b32_e32 v102, v32, v34, vcc
	v_cmp_eq_u32_e32 vcc, 0, v62
	v_cmp_eq_u32_e64 s[4:5], 3, v96
	v_cndmask_b32_e64 v99, v99, v39, s[4:5]
	v_cndmask_b32_e64 v102, v102, v36, s[2:3]
	s_or_b64 s[10:11], vcc, s[10:11]
	v_cmp_eq_u32_e32 vcc, 4, v96
	v_cndmask_b32_e32 v99, v99, v41, vcc
	v_cndmask_b32_e64 v102, v102, v38, s[4:5]
	v_cmp_eq_u32_e64 s[2:3], 5, v96
	v_cndmask_b32_e64 v99, v99, v43, s[2:3]
	v_cndmask_b32_e32 v102, v102, v40, vcc
	v_cmp_eq_u32_e32 vcc, 6, v96
	v_cndmask_b32_e32 v99, v99, v45, vcc
	v_cndmask_b32_e64 v102, v102, v42, s[2:3]
	v_cmp_eq_u32_e64 s[2:3], 7, v96
	v_cndmask_b32_e64 v99, v99, v47, s[2:3]
	v_cndmask_b32_e32 v102, v102, v44, vcc
	;; [unrolled: 6-line block ×3, first 2 shown]
	v_cmp_eq_u32_e32 vcc, 10, v96
	v_cndmask_b32_e32 v99, v99, v53, vcc
	v_cndmask_b32_e64 v102, v102, v50, s[2:3]
	v_cmp_eq_u32_e64 s[2:3], 11, v96
	ds_read_b64 v[100:101], v98
	v_cndmask_b32_e64 v99, v99, v55, s[2:3]
	v_cndmask_b32_e32 v102, v102, v52, vcc
	v_cmp_eq_u32_e32 vcc, 12, v96
	v_cndmask_b32_e32 v99, v99, v57, vcc
	v_cndmask_b32_e64 v102, v102, v54, s[2:3]
	v_cmp_eq_u32_e64 s[2:3], 13, v96
	v_cndmask_b32_e64 v99, v99, v59, s[2:3]
	v_cmp_eq_u32_e64 s[4:5], 14, v96
	v_cndmask_b32_e32 v102, v102, v56, vcc
	v_cndmask_b32_e64 v103, v99, v61, s[4:5]
	v_cndmask_b32_e64 v99, v102, v58, s[2:3]
	v_add_co_u32_e32 v96, vcc, 1, v96
	v_cndmask_b32_e64 v102, v99, v60, s[4:5]
	v_add_u32_e32 v98, 8, v98
	v_addc_co_u32_e32 v63, vcc, 0, v63, vcc
	s_waitcnt lgkmcnt(0)
	v_fmac_f64_e32 v[94:95], v[102:103], v[100:101]
	s_andn2_b64 exec, exec, s[10:11]
	s_cbranch_execnz .LBB78_141
; %bb.142:
	s_or_b64 exec, exec, s[10:11]
.LBB78_143:
	s_or_b64 exec, exec, s[8:9]
.LBB78_144:
	s_or_b64 exec, exec, s[6:7]
	v_mov_b32_e32 v40, 0
	ds_read_b64 v[40:41], v40 offset:32
	s_waitcnt lgkmcnt(0)
	v_mul_f64 v[40:41], v[94:95], v[40:41]
.LBB78_145:
	s_or_b64 exec, exec, s[34:35]
	v_cmp_lt_u32_e64 s[2:3], 3, v0
	ds_write_b64 v97, v[38:39]
	s_waitcnt lgkmcnt(0)
	; wave barrier
	s_waitcnt lgkmcnt(0)
	s_and_saveexec_b64 s[34:35], s[2:3]
	s_cbranch_execz .LBB78_161
; %bb.146:
	s_andn2_b64 vcc, exec, s[30:31]
	s_cbranch_vccnz .LBB78_148
; %bb.147:
	v_cmp_eq_u32_e32 vcc, 1, v0
	v_cndmask_b32_e32 v94, v33, v35, vcc
	v_cmp_eq_u32_e64 s[4:5], 2, v0
	v_cndmask_b32_e64 v94, v94, v37, s[4:5]
	v_cmp_eq_u32_e64 s[6:7], 3, v0
	v_cndmask_b32_e64 v94, v94, v39, s[6:7]
	;; [unrolled: 2-line block ×13, first 2 shown]
	v_cndmask_b32_e32 v94, v32, v34, vcc
	v_cndmask_b32_e64 v94, v94, v36, s[4:5]
	v_cndmask_b32_e64 v94, v94, v38, s[6:7]
	;; [unrolled: 1-line block ×9, first 2 shown]
	ds_read_b64 v[98:99], v97
	v_cndmask_b32_e64 v94, v94, v54, s[22:23]
	v_cndmask_b32_e64 v94, v94, v56, s[24:25]
	;; [unrolled: 1-line block ×4, first 2 shown]
	s_waitcnt lgkmcnt(0)
	v_mul_f64 v[94:95], v[94:95], v[98:99]
	s_cbranch_execz .LBB78_149
	s_branch .LBB78_150
.LBB78_148:
                                        ; implicit-def: $vgpr94_vgpr95
.LBB78_149:
	ds_read_b64 v[94:95], v97
.LBB78_150:
	s_and_saveexec_b64 s[6:7], s[0:1]
	s_cbranch_execz .LBB78_160
; %bb.151:
	v_add_u32_e32 v96, -5, v0
	v_add_u32_e32 v99, -4, v0
	v_cmp_lt_u32_e32 vcc, 6, v96
	v_mov_b32_e32 v96, 4
	s_and_saveexec_b64 s[0:1], vcc
	s_cbranch_execz .LBB78_155
; %bb.152:
	v_and_b32_e32 v96, -8, v99
	v_sub_u32_e32 v98, 0, v96
	s_mov_b64 s[4:5], 5
	s_movk_i32 s10, 0xa0
	s_mov_b64 s[8:9], 0
.LBB78_153:                             ; =>This Inner Loop Header: Depth=1
	s_lshl_b32 s11, s4, 1
	s_add_i32 s12, s11, -1
	s_add_i32 s13, s11, -2
	s_set_gpr_idx_on s12, gpr_idx(SRC0)
	v_mov_b32_e32 v117, v32
	s_set_gpr_idx_off
	v_mov_b32_e32 v96, s10
	s_set_gpr_idx_on s13, gpr_idx(SRC0)
	v_mov_b32_e32 v116, v32
	s_set_gpr_idx_off
	ds_read_b128 v[100:103], v96
	ds_read_b128 v[104:107], v96 offset:16
	ds_read_b128 v[108:111], v96 offset:32
	;; [unrolled: 1-line block ×3, first 2 shown]
	s_set_gpr_idx_on s11, gpr_idx(SRC0)
	v_mov_b32_e32 v119, v33
	s_add_i32 s14, s11, 3
	v_mov_b32_e32 v118, v32
	s_set_gpr_idx_off
	s_add_i32 s15, s11, 2
	s_set_gpr_idx_on s14, gpr_idx(SRC0)
	v_mov_b32_e32 v121, v32
	s_set_gpr_idx_off
	s_add_i32 s16, s11, 5
	s_set_gpr_idx_on s15, gpr_idx(SRC0)
	v_mov_b32_e32 v120, v32
	s_set_gpr_idx_off
	s_add_i32 s17, s11, 4
	s_waitcnt lgkmcnt(3)
	v_fmac_f64_e32 v[94:95], v[116:117], v[100:101]
	s_set_gpr_idx_on s16, gpr_idx(SRC0)
	v_mov_b32_e32 v101, v32
	s_set_gpr_idx_off
	s_add_i32 s18, s11, 7
	v_fmac_f64_e32 v[94:95], v[118:119], v[102:103]
	s_set_gpr_idx_on s17, gpr_idx(SRC0)
	v_mov_b32_e32 v100, v32
	s_set_gpr_idx_off
	s_add_i32 s19, s11, 6
	s_waitcnt lgkmcnt(2)
	v_fmac_f64_e32 v[94:95], v[120:121], v[104:105]
	s_set_gpr_idx_on s18, gpr_idx(SRC0)
	v_mov_b32_e32 v103, v32
	s_set_gpr_idx_off
	s_add_i32 s20, s11, 9
	v_fmac_f64_e32 v[94:95], v[100:101], v[106:107]
	s_set_gpr_idx_on s19, gpr_idx(SRC0)
	v_mov_b32_e32 v102, v32
	s_set_gpr_idx_off
	s_add_i32 s21, s11, 8
	s_waitcnt lgkmcnt(1)
	v_fmac_f64_e32 v[94:95], v[102:103], v[108:109]
	s_set_gpr_idx_on s20, gpr_idx(SRC0)
	v_mov_b32_e32 v101, v32
	s_set_gpr_idx_off
	s_add_i32 s22, s11, 11
	s_set_gpr_idx_on s21, gpr_idx(SRC0)
	v_mov_b32_e32 v100, v32
	s_set_gpr_idx_off
	s_add_i32 s23, s11, 10
	s_add_i32 s24, s11, 13
	;; [unrolled: 1-line block ×3, first 2 shown]
	v_fmac_f64_e32 v[94:95], v[100:101], v[110:111]
	s_set_gpr_idx_on s22, gpr_idx(SRC0)
	v_mov_b32_e32 v101, v32
	s_set_gpr_idx_off
	s_add_u32 s4, s4, 8
	s_set_gpr_idx_on s23, gpr_idx(SRC0)
	v_mov_b32_e32 v100, v32
	s_set_gpr_idx_off
	v_add_u32_e32 v96, s4, v98
	s_waitcnt lgkmcnt(0)
	v_fmac_f64_e32 v[94:95], v[100:101], v[112:113]
	s_set_gpr_idx_on s24, gpr_idx(SRC0)
	v_mov_b32_e32 v101, v32
	s_set_gpr_idx_off
	s_addc_u32 s5, s5, 0
	s_add_i32 s10, s10, 64
	s_add_i32 s12, s4, -1
	v_cmp_eq_u32_e32 vcc, 5, v96
	s_set_gpr_idx_on s25, gpr_idx(SRC0)
	v_mov_b32_e32 v100, v32
	s_set_gpr_idx_off
	v_mov_b32_e32 v96, s12
	s_or_b64 s[8:9], vcc, s[8:9]
	v_fmac_f64_e32 v[94:95], v[100:101], v[114:115]
	s_andn2_b64 exec, exec, s[8:9]
	s_cbranch_execnz .LBB78_153
; %bb.154:
	s_or_b64 exec, exec, s[8:9]
.LBB78_155:
	s_or_b64 exec, exec, s[0:1]
	v_and_b32_e32 v62, 7, v99
	v_cmp_ne_u32_e32 vcc, 0, v62
	s_and_saveexec_b64 s[8:9], vcc
	s_cbranch_execz .LBB78_159
; %bb.156:
	v_mov_b32_e32 v63, 0x80
	v_lshl_add_u32 v98, v96, 3, v63
	v_mov_b32_e32 v63, 0
	s_mov_b64 s[10:11], 0
.LBB78_157:                             ; =>This Inner Loop Header: Depth=1
	v_cmp_eq_u32_e32 vcc, 1, v96
	v_cndmask_b32_e32 v99, v33, v35, vcc
	v_add_u32_e32 v62, -1, v62
	v_cmp_eq_u32_e64 s[0:1], 2, v96
	v_cndmask_b32_e64 v99, v99, v37, s[0:1]
	v_cndmask_b32_e32 v102, v32, v34, vcc
	v_cmp_eq_u32_e32 vcc, 0, v62
	v_cmp_eq_u32_e64 s[4:5], 3, v96
	v_cndmask_b32_e64 v99, v99, v39, s[4:5]
	v_cndmask_b32_e64 v102, v102, v36, s[0:1]
	s_or_b64 s[10:11], vcc, s[10:11]
	v_cmp_eq_u32_e32 vcc, 4, v96
	v_cndmask_b32_e32 v99, v99, v41, vcc
	v_cndmask_b32_e64 v102, v102, v38, s[4:5]
	v_cmp_eq_u32_e64 s[0:1], 5, v96
	v_cndmask_b32_e64 v99, v99, v43, s[0:1]
	v_cndmask_b32_e32 v102, v102, v40, vcc
	v_cmp_eq_u32_e32 vcc, 6, v96
	v_cndmask_b32_e32 v99, v99, v45, vcc
	v_cndmask_b32_e64 v102, v102, v42, s[0:1]
	v_cmp_eq_u32_e64 s[0:1], 7, v96
	v_cndmask_b32_e64 v99, v99, v47, s[0:1]
	v_cndmask_b32_e32 v102, v102, v44, vcc
	;; [unrolled: 6-line block ×3, first 2 shown]
	v_cmp_eq_u32_e32 vcc, 10, v96
	v_cndmask_b32_e32 v99, v99, v53, vcc
	v_cndmask_b32_e64 v102, v102, v50, s[0:1]
	v_cmp_eq_u32_e64 s[0:1], 11, v96
	ds_read_b64 v[100:101], v98
	v_cndmask_b32_e64 v99, v99, v55, s[0:1]
	v_cndmask_b32_e32 v102, v102, v52, vcc
	v_cmp_eq_u32_e32 vcc, 12, v96
	v_cndmask_b32_e32 v99, v99, v57, vcc
	v_cndmask_b32_e64 v102, v102, v54, s[0:1]
	v_cmp_eq_u32_e64 s[0:1], 13, v96
	v_cndmask_b32_e64 v99, v99, v59, s[0:1]
	v_cmp_eq_u32_e64 s[4:5], 14, v96
	v_cndmask_b32_e32 v102, v102, v56, vcc
	v_cndmask_b32_e64 v103, v99, v61, s[4:5]
	v_cndmask_b32_e64 v99, v102, v58, s[0:1]
	v_add_co_u32_e32 v96, vcc, 1, v96
	v_cndmask_b32_e64 v102, v99, v60, s[4:5]
	v_add_u32_e32 v98, 8, v98
	v_addc_co_u32_e32 v63, vcc, 0, v63, vcc
	s_waitcnt lgkmcnt(0)
	v_fmac_f64_e32 v[94:95], v[102:103], v[100:101]
	s_andn2_b64 exec, exec, s[10:11]
	s_cbranch_execnz .LBB78_157
; %bb.158:
	s_or_b64 exec, exec, s[10:11]
.LBB78_159:
	s_or_b64 exec, exec, s[8:9]
.LBB78_160:
	s_or_b64 exec, exec, s[6:7]
	v_mov_b32_e32 v38, 0
	ds_read_b64 v[38:39], v38 offset:24
	s_waitcnt lgkmcnt(0)
	v_mul_f64 v[38:39], v[94:95], v[38:39]
.LBB78_161:
	s_or_b64 exec, exec, s[34:35]
	v_cmp_lt_u32_e64 s[0:1], 2, v0
	ds_write_b64 v97, v[36:37]
	s_waitcnt lgkmcnt(0)
	; wave barrier
	s_waitcnt lgkmcnt(0)
	s_and_saveexec_b64 s[34:35], s[0:1]
	s_cbranch_execz .LBB78_177
; %bb.162:
	s_andn2_b64 vcc, exec, s[30:31]
	s_cbranch_vccnz .LBB78_164
; %bb.163:
	v_cmp_eq_u32_e32 vcc, 1, v0
	v_cndmask_b32_e32 v94, v33, v35, vcc
	v_cmp_eq_u32_e64 s[4:5], 2, v0
	v_cndmask_b32_e64 v94, v94, v37, s[4:5]
	v_cmp_eq_u32_e64 s[6:7], 3, v0
	v_cndmask_b32_e64 v94, v94, v39, s[6:7]
	;; [unrolled: 2-line block ×13, first 2 shown]
	v_cndmask_b32_e32 v94, v32, v34, vcc
	v_cndmask_b32_e64 v94, v94, v36, s[4:5]
	v_cndmask_b32_e64 v94, v94, v38, s[6:7]
	;; [unrolled: 1-line block ×9, first 2 shown]
	ds_read_b64 v[98:99], v97
	v_cndmask_b32_e64 v94, v94, v54, s[22:23]
	v_cndmask_b32_e64 v94, v94, v56, s[24:25]
	;; [unrolled: 1-line block ×4, first 2 shown]
	s_waitcnt lgkmcnt(0)
	v_mul_f64 v[94:95], v[94:95], v[98:99]
	s_cbranch_execz .LBB78_165
	s_branch .LBB78_166
.LBB78_164:
                                        ; implicit-def: $vgpr94_vgpr95
.LBB78_165:
	ds_read_b64 v[94:95], v97
.LBB78_166:
	s_and_saveexec_b64 s[6:7], s[2:3]
	s_cbranch_execz .LBB78_176
; %bb.167:
	v_add_u32_e32 v96, -4, v0
	v_add_u32_e32 v99, -3, v0
	v_cmp_lt_u32_e32 vcc, 6, v96
	v_mov_b32_e32 v96, 3
	s_and_saveexec_b64 s[2:3], vcc
	s_cbranch_execz .LBB78_171
; %bb.168:
	v_and_b32_e32 v96, -8, v99
	v_sub_u32_e32 v98, 0, v96
	s_mov_b64 s[4:5], 10
	s_movk_i32 s10, 0x98
	s_mov_b64 s[8:9], 0
.LBB78_169:                             ; =>This Inner Loop Header: Depth=1
	s_lshl_b32 s11, s4, 1
	s_add_i32 s12, s11, -13
	v_mov_b32_e32 v114, s10
	s_add_i32 s13, s11, -14
	s_set_gpr_idx_on s12, gpr_idx(SRC0)
	v_mov_b32_e32 v109, v32
	s_set_gpr_idx_off
	s_add_i32 s14, s11, -11
	s_set_gpr_idx_on s13, gpr_idx(SRC0)
	v_mov_b32_e32 v108, v32
	s_set_gpr_idx_off
	ds_read2_b64 v[100:103], v114 offset1:1
	s_add_i32 s15, s11, -12
	s_set_gpr_idx_on s14, gpr_idx(SRC0)
	v_mov_b32_e32 v111, v32
	s_set_gpr_idx_off
	s_add_i32 s16, s11, -9
	s_set_gpr_idx_on s15, gpr_idx(SRC0)
	v_mov_b32_e32 v110, v32
	s_set_gpr_idx_off
	;; [unrolled: 4-line block ×4, first 2 shown]
	ds_read2_b64 v[104:107], v114 offset0:2 offset1:3
	s_add_i32 s19, s11, -8
	s_waitcnt lgkmcnt(1)
	v_fmac_f64_e32 v[94:95], v[108:109], v[100:101]
	s_set_gpr_idx_on s18, gpr_idx(SRC0)
	v_mov_b32_e32 v109, v32
	s_set_gpr_idx_off
	s_add_i32 s20, s11, -5
	v_fmac_f64_e32 v[94:95], v[110:111], v[102:103]
	s_set_gpr_idx_on s19, gpr_idx(SRC0)
	v_mov_b32_e32 v108, v32
	s_set_gpr_idx_off
	s_add_i32 s21, s11, -6
	s_set_gpr_idx_on s20, gpr_idx(SRC0)
	v_mov_b32_e32 v111, v32
	s_set_gpr_idx_off
	s_add_i32 s22, s11, -3
	;; [unrolled: 4-line block ×3, first 2 shown]
	ds_read2_b64 v[100:103], v114 offset0:4 offset1:5
	s_waitcnt lgkmcnt(1)
	v_fmac_f64_e32 v[94:95], v[112:113], v[104:105]
	s_set_gpr_idx_on s22, gpr_idx(SRC0)
	v_mov_b32_e32 v113, v32
	s_set_gpr_idx_off
	s_add_i32 s24, s11, -1
	v_fmac_f64_e32 v[94:95], v[108:109], v[106:107]
	s_set_gpr_idx_on s23, gpr_idx(SRC0)
	v_mov_b32_e32 v112, v32
	s_set_gpr_idx_off
	s_add_i32 s25, s11, -2
	s_set_gpr_idx_on s24, gpr_idx(SRC0)
	v_mov_b32_e32 v109, v32
	s_set_gpr_idx_off
	s_set_gpr_idx_on s25, gpr_idx(SRC0)
	v_mov_b32_e32 v108, v32
	s_set_gpr_idx_off
	ds_read2_b64 v[104:107], v114 offset0:6 offset1:7
	s_add_u32 s4, s4, 8
	s_waitcnt lgkmcnt(1)
	v_fmac_f64_e32 v[94:95], v[110:111], v[100:101]
	s_set_gpr_idx_on s11, gpr_idx(SRC0)
	v_mov_b32_e32 v101, v33
	s_set_gpr_idx_off
	v_add_u32_e32 v96, s4, v98
	v_fmac_f64_e32 v[94:95], v[112:113], v[102:103]
	s_set_gpr_idx_on s11, gpr_idx(SRC0)
	v_mov_b32_e32 v100, v32
	s_set_gpr_idx_off
	s_addc_u32 s5, s5, 0
	s_add_i32 s10, s10, 64
	s_add_i32 s12, s4, -7
	v_cmp_eq_u32_e32 vcc, 10, v96
	s_waitcnt lgkmcnt(0)
	v_fmac_f64_e32 v[94:95], v[108:109], v[104:105]
	v_mov_b32_e32 v96, s12
	s_or_b64 s[8:9], vcc, s[8:9]
	v_fmac_f64_e32 v[94:95], v[100:101], v[106:107]
	s_andn2_b64 exec, exec, s[8:9]
	s_cbranch_execnz .LBB78_169
; %bb.170:
	s_or_b64 exec, exec, s[8:9]
.LBB78_171:
	s_or_b64 exec, exec, s[2:3]
	v_and_b32_e32 v62, 7, v99
	v_cmp_ne_u32_e32 vcc, 0, v62
	s_and_saveexec_b64 s[8:9], vcc
	s_cbranch_execz .LBB78_175
; %bb.172:
	v_mov_b32_e32 v63, 0x80
	v_lshl_add_u32 v98, v96, 3, v63
	v_mov_b32_e32 v63, 0
	s_mov_b64 s[10:11], 0
.LBB78_173:                             ; =>This Inner Loop Header: Depth=1
	v_cmp_eq_u32_e32 vcc, 1, v96
	v_cndmask_b32_e32 v99, v33, v35, vcc
	v_add_u32_e32 v62, -1, v62
	v_cmp_eq_u32_e64 s[2:3], 2, v96
	v_cndmask_b32_e64 v99, v99, v37, s[2:3]
	v_cndmask_b32_e32 v102, v32, v34, vcc
	v_cmp_eq_u32_e32 vcc, 0, v62
	v_cmp_eq_u32_e64 s[4:5], 3, v96
	v_cndmask_b32_e64 v99, v99, v39, s[4:5]
	v_cndmask_b32_e64 v102, v102, v36, s[2:3]
	s_or_b64 s[10:11], vcc, s[10:11]
	v_cmp_eq_u32_e32 vcc, 4, v96
	v_cndmask_b32_e32 v99, v99, v41, vcc
	v_cndmask_b32_e64 v102, v102, v38, s[4:5]
	v_cmp_eq_u32_e64 s[2:3], 5, v96
	v_cndmask_b32_e64 v99, v99, v43, s[2:3]
	v_cndmask_b32_e32 v102, v102, v40, vcc
	v_cmp_eq_u32_e32 vcc, 6, v96
	v_cndmask_b32_e32 v99, v99, v45, vcc
	v_cndmask_b32_e64 v102, v102, v42, s[2:3]
	v_cmp_eq_u32_e64 s[2:3], 7, v96
	v_cndmask_b32_e64 v99, v99, v47, s[2:3]
	v_cndmask_b32_e32 v102, v102, v44, vcc
	;; [unrolled: 6-line block ×3, first 2 shown]
	v_cmp_eq_u32_e32 vcc, 10, v96
	v_cndmask_b32_e32 v99, v99, v53, vcc
	v_cndmask_b32_e64 v102, v102, v50, s[2:3]
	v_cmp_eq_u32_e64 s[2:3], 11, v96
	ds_read_b64 v[100:101], v98
	v_cndmask_b32_e64 v99, v99, v55, s[2:3]
	v_cndmask_b32_e32 v102, v102, v52, vcc
	v_cmp_eq_u32_e32 vcc, 12, v96
	v_cndmask_b32_e32 v99, v99, v57, vcc
	v_cndmask_b32_e64 v102, v102, v54, s[2:3]
	v_cmp_eq_u32_e64 s[2:3], 13, v96
	v_cndmask_b32_e64 v99, v99, v59, s[2:3]
	v_cmp_eq_u32_e64 s[4:5], 14, v96
	v_cndmask_b32_e32 v102, v102, v56, vcc
	v_cndmask_b32_e64 v103, v99, v61, s[4:5]
	v_cndmask_b32_e64 v99, v102, v58, s[2:3]
	v_add_co_u32_e32 v96, vcc, 1, v96
	v_cndmask_b32_e64 v102, v99, v60, s[4:5]
	v_add_u32_e32 v98, 8, v98
	v_addc_co_u32_e32 v63, vcc, 0, v63, vcc
	s_waitcnt lgkmcnt(0)
	v_fmac_f64_e32 v[94:95], v[102:103], v[100:101]
	s_andn2_b64 exec, exec, s[10:11]
	s_cbranch_execnz .LBB78_173
; %bb.174:
	s_or_b64 exec, exec, s[10:11]
.LBB78_175:
	s_or_b64 exec, exec, s[8:9]
.LBB78_176:
	s_or_b64 exec, exec, s[6:7]
	v_mov_b32_e32 v36, 0
	ds_read_b64 v[36:37], v36 offset:16
	s_waitcnt lgkmcnt(0)
	v_mul_f64 v[36:37], v[94:95], v[36:37]
.LBB78_177:
	s_or_b64 exec, exec, s[34:35]
	v_cmp_lt_u32_e64 s[2:3], 1, v0
	ds_write_b64 v97, v[34:35]
	s_waitcnt lgkmcnt(0)
	; wave barrier
	s_waitcnt lgkmcnt(0)
	s_and_saveexec_b64 s[34:35], s[2:3]
	s_cbranch_execz .LBB78_193
; %bb.178:
	s_andn2_b64 vcc, exec, s[30:31]
	s_cbranch_vccnz .LBB78_180
; %bb.179:
	v_cmp_eq_u32_e32 vcc, 1, v0
	v_cndmask_b32_e32 v94, v33, v35, vcc
	v_cmp_eq_u32_e64 s[4:5], 2, v0
	v_cndmask_b32_e64 v94, v94, v37, s[4:5]
	v_cmp_eq_u32_e64 s[6:7], 3, v0
	v_cndmask_b32_e64 v94, v94, v39, s[6:7]
	;; [unrolled: 2-line block ×13, first 2 shown]
	v_cndmask_b32_e32 v94, v32, v34, vcc
	v_cndmask_b32_e64 v94, v94, v36, s[4:5]
	v_cndmask_b32_e64 v94, v94, v38, s[6:7]
	;; [unrolled: 1-line block ×9, first 2 shown]
	ds_read_b64 v[98:99], v97
	v_cndmask_b32_e64 v94, v94, v54, s[22:23]
	v_cndmask_b32_e64 v94, v94, v56, s[24:25]
	;; [unrolled: 1-line block ×4, first 2 shown]
	s_waitcnt lgkmcnt(0)
	v_mul_f64 v[94:95], v[94:95], v[98:99]
	s_cbranch_execz .LBB78_181
	s_branch .LBB78_182
.LBB78_180:
                                        ; implicit-def: $vgpr94_vgpr95
.LBB78_181:
	ds_read_b64 v[94:95], v97
.LBB78_182:
	s_and_saveexec_b64 s[6:7], s[0:1]
	s_cbranch_execz .LBB78_192
; %bb.183:
	v_add_u32_e32 v96, -3, v0
	v_add_u32_e32 v99, -2, v0
	v_cmp_lt_u32_e32 vcc, 6, v96
	v_mov_b32_e32 v96, 2
	s_and_saveexec_b64 s[0:1], vcc
	s_cbranch_execz .LBB78_187
; %bb.184:
	v_and_b32_e32 v96, -8, v99
	v_sub_u32_e32 v98, 0, v96
	s_mov_b64 s[4:5], 9
	s_movk_i32 s10, 0x90
	s_mov_b64 s[8:9], 0
.LBB78_185:                             ; =>This Inner Loop Header: Depth=1
	s_lshl_b32 s11, s4, 1
	s_add_i32 s12, s11, -13
	s_add_i32 s13, s11, -14
	s_set_gpr_idx_on s12, gpr_idx(SRC0)
	v_mov_b32_e32 v117, v32
	s_set_gpr_idx_off
	v_mov_b32_e32 v96, s10
	s_add_i32 s14, s11, -11
	s_set_gpr_idx_on s13, gpr_idx(SRC0)
	v_mov_b32_e32 v116, v32
	s_set_gpr_idx_off
	s_add_i32 s15, s11, -12
	ds_read_b128 v[100:103], v96
	ds_read_b128 v[104:107], v96 offset:16
	ds_read_b128 v[108:111], v96 offset:32
	;; [unrolled: 1-line block ×3, first 2 shown]
	s_set_gpr_idx_on s14, gpr_idx(SRC0)
	v_mov_b32_e32 v119, v32
	s_set_gpr_idx_off
	s_add_i32 s16, s11, -9
	s_set_gpr_idx_on s15, gpr_idx(SRC0)
	v_mov_b32_e32 v118, v32
	s_set_gpr_idx_off
	s_add_i32 s17, s11, -10
	s_set_gpr_idx_on s16, gpr_idx(SRC0)
	v_mov_b32_e32 v121, v32
	s_set_gpr_idx_off
	s_add_i32 s18, s11, -7
	s_set_gpr_idx_on s17, gpr_idx(SRC0)
	v_mov_b32_e32 v120, v32
	s_set_gpr_idx_off
	s_add_i32 s19, s11, -8
	s_waitcnt lgkmcnt(3)
	v_fmac_f64_e32 v[94:95], v[116:117], v[100:101]
	s_set_gpr_idx_on s18, gpr_idx(SRC0)
	v_mov_b32_e32 v101, v32
	s_set_gpr_idx_off
	s_add_i32 s20, s11, -5
	v_fmac_f64_e32 v[94:95], v[118:119], v[102:103]
	s_set_gpr_idx_on s19, gpr_idx(SRC0)
	v_mov_b32_e32 v100, v32
	s_set_gpr_idx_off
	s_add_i32 s21, s11, -6
	s_waitcnt lgkmcnt(2)
	v_fmac_f64_e32 v[94:95], v[120:121], v[104:105]
	s_set_gpr_idx_on s20, gpr_idx(SRC0)
	v_mov_b32_e32 v103, v32
	s_set_gpr_idx_off
	s_add_i32 s22, s11, -3
	v_fmac_f64_e32 v[94:95], v[100:101], v[106:107]
	s_set_gpr_idx_on s21, gpr_idx(SRC0)
	v_mov_b32_e32 v102, v32
	s_set_gpr_idx_off
	s_add_i32 s23, s11, -4
	s_waitcnt lgkmcnt(1)
	v_fmac_f64_e32 v[94:95], v[102:103], v[108:109]
	s_set_gpr_idx_on s22, gpr_idx(SRC0)
	v_mov_b32_e32 v101, v32
	s_set_gpr_idx_off
	s_add_i32 s24, s11, -1
	s_set_gpr_idx_on s23, gpr_idx(SRC0)
	v_mov_b32_e32 v100, v32
	s_set_gpr_idx_off
	s_add_i32 s25, s11, -2
	v_fmac_f64_e32 v[94:95], v[100:101], v[110:111]
	s_set_gpr_idx_on s24, gpr_idx(SRC0)
	v_mov_b32_e32 v101, v32
	s_set_gpr_idx_off
	s_add_u32 s4, s4, 8
	s_set_gpr_idx_on s25, gpr_idx(SRC0)
	v_mov_b32_e32 v100, v32
	s_set_gpr_idx_off
	v_add_u32_e32 v96, s4, v98
	s_waitcnt lgkmcnt(0)
	v_fmac_f64_e32 v[94:95], v[100:101], v[112:113]
	s_set_gpr_idx_on s11, gpr_idx(SRC0)
	v_mov_b32_e32 v101, v33
	s_set_gpr_idx_off
	s_addc_u32 s5, s5, 0
	s_add_i32 s10, s10, 64
	s_add_i32 s12, s4, -7
	v_cmp_eq_u32_e32 vcc, 9, v96
	s_set_gpr_idx_on s11, gpr_idx(SRC0)
	v_mov_b32_e32 v100, v32
	s_set_gpr_idx_off
	v_mov_b32_e32 v96, s12
	s_or_b64 s[8:9], vcc, s[8:9]
	v_fmac_f64_e32 v[94:95], v[100:101], v[114:115]
	s_andn2_b64 exec, exec, s[8:9]
	s_cbranch_execnz .LBB78_185
; %bb.186:
	s_or_b64 exec, exec, s[8:9]
.LBB78_187:
	s_or_b64 exec, exec, s[0:1]
	v_and_b32_e32 v62, 7, v99
	v_cmp_ne_u32_e32 vcc, 0, v62
	s_and_saveexec_b64 s[8:9], vcc
	s_cbranch_execz .LBB78_191
; %bb.188:
	v_mov_b32_e32 v63, 0x80
	v_lshl_add_u32 v98, v96, 3, v63
	v_mov_b32_e32 v63, 0
	s_mov_b64 s[10:11], 0
.LBB78_189:                             ; =>This Inner Loop Header: Depth=1
	v_cmp_eq_u32_e32 vcc, 1, v96
	v_cndmask_b32_e32 v99, v33, v35, vcc
	v_add_u32_e32 v62, -1, v62
	v_cmp_eq_u32_e64 s[0:1], 2, v96
	v_cndmask_b32_e64 v99, v99, v37, s[0:1]
	v_cndmask_b32_e32 v102, v32, v34, vcc
	v_cmp_eq_u32_e32 vcc, 0, v62
	v_cmp_eq_u32_e64 s[4:5], 3, v96
	v_cndmask_b32_e64 v99, v99, v39, s[4:5]
	v_cndmask_b32_e64 v102, v102, v36, s[0:1]
	s_or_b64 s[10:11], vcc, s[10:11]
	v_cmp_eq_u32_e32 vcc, 4, v96
	v_cndmask_b32_e32 v99, v99, v41, vcc
	v_cndmask_b32_e64 v102, v102, v38, s[4:5]
	v_cmp_eq_u32_e64 s[0:1], 5, v96
	v_cndmask_b32_e64 v99, v99, v43, s[0:1]
	v_cndmask_b32_e32 v102, v102, v40, vcc
	v_cmp_eq_u32_e32 vcc, 6, v96
	v_cndmask_b32_e32 v99, v99, v45, vcc
	v_cndmask_b32_e64 v102, v102, v42, s[0:1]
	v_cmp_eq_u32_e64 s[0:1], 7, v96
	v_cndmask_b32_e64 v99, v99, v47, s[0:1]
	v_cndmask_b32_e32 v102, v102, v44, vcc
	v_cmp_eq_u32_e32 vcc, 8, v96
	v_cndmask_b32_e32 v99, v99, v49, vcc
	v_cndmask_b32_e64 v102, v102, v46, s[0:1]
	v_cmp_eq_u32_e64 s[0:1], 9, v96
	v_cndmask_b32_e64 v99, v99, v51, s[0:1]
	v_cndmask_b32_e32 v102, v102, v48, vcc
	v_cmp_eq_u32_e32 vcc, 10, v96
	v_cndmask_b32_e32 v99, v99, v53, vcc
	v_cndmask_b32_e64 v102, v102, v50, s[0:1]
	v_cmp_eq_u32_e64 s[0:1], 11, v96
	ds_read_b64 v[100:101], v98
	v_cndmask_b32_e64 v99, v99, v55, s[0:1]
	v_cndmask_b32_e32 v102, v102, v52, vcc
	v_cmp_eq_u32_e32 vcc, 12, v96
	v_cndmask_b32_e32 v99, v99, v57, vcc
	v_cndmask_b32_e64 v102, v102, v54, s[0:1]
	v_cmp_eq_u32_e64 s[0:1], 13, v96
	v_cndmask_b32_e64 v99, v99, v59, s[0:1]
	v_cmp_eq_u32_e64 s[4:5], 14, v96
	v_cndmask_b32_e32 v102, v102, v56, vcc
	v_cndmask_b32_e64 v103, v99, v61, s[4:5]
	v_cndmask_b32_e64 v99, v102, v58, s[0:1]
	v_add_co_u32_e32 v96, vcc, 1, v96
	v_cndmask_b32_e64 v102, v99, v60, s[4:5]
	v_add_u32_e32 v98, 8, v98
	v_addc_co_u32_e32 v63, vcc, 0, v63, vcc
	s_waitcnt lgkmcnt(0)
	v_fmac_f64_e32 v[94:95], v[102:103], v[100:101]
	s_andn2_b64 exec, exec, s[10:11]
	s_cbranch_execnz .LBB78_189
; %bb.190:
	s_or_b64 exec, exec, s[10:11]
.LBB78_191:
	s_or_b64 exec, exec, s[8:9]
.LBB78_192:
	s_or_b64 exec, exec, s[6:7]
	v_mov_b32_e32 v34, 0
	ds_read_b64 v[34:35], v34 offset:8
	s_waitcnt lgkmcnt(0)
	v_mul_f64 v[34:35], v[94:95], v[34:35]
.LBB78_193:
	s_or_b64 exec, exec, s[34:35]
	v_cmp_ne_u32_e32 vcc, 0, v0
	ds_write_b64 v97, v[32:33]
	s_waitcnt lgkmcnt(0)
	; wave barrier
	s_waitcnt lgkmcnt(0)
	s_and_saveexec_b64 s[28:29], vcc
	s_cbranch_execz .LBB78_209
; %bb.194:
	s_andn2_b64 vcc, exec, s[30:31]
	s_cbranch_vccnz .LBB78_196
; %bb.195:
	v_cmp_eq_u32_e32 vcc, 1, v0
	v_cndmask_b32_e32 v94, v33, v35, vcc
	v_cmp_eq_u32_e64 s[0:1], 2, v0
	v_cndmask_b32_e64 v94, v94, v37, s[0:1]
	v_cmp_eq_u32_e64 s[4:5], 3, v0
	v_cndmask_b32_e64 v94, v94, v39, s[4:5]
	;; [unrolled: 2-line block ×13, first 2 shown]
	v_cndmask_b32_e32 v94, v32, v34, vcc
	v_cndmask_b32_e64 v94, v94, v36, s[0:1]
	v_cndmask_b32_e64 v94, v94, v38, s[4:5]
	;; [unrolled: 1-line block ×9, first 2 shown]
	ds_read_b64 v[98:99], v97
	v_cndmask_b32_e64 v94, v94, v54, s[20:21]
	v_cndmask_b32_e64 v94, v94, v56, s[22:23]
	;; [unrolled: 1-line block ×4, first 2 shown]
	s_waitcnt lgkmcnt(0)
	v_mul_f64 v[94:95], v[94:95], v[98:99]
	s_cbranch_execz .LBB78_197
	s_branch .LBB78_198
.LBB78_196:
                                        ; implicit-def: $vgpr94_vgpr95
.LBB78_197:
	ds_read_b64 v[94:95], v97
.LBB78_198:
	s_and_saveexec_b64 s[4:5], s[2:3]
	s_cbranch_execz .LBB78_208
; %bb.199:
	v_add_u32_e32 v96, -2, v0
	v_add_u32_e32 v99, -1, v0
	v_cmp_lt_u32_e32 vcc, 6, v96
	v_mov_b32_e32 v96, 1
	s_and_saveexec_b64 s[0:1], vcc
	s_cbranch_execz .LBB78_203
; %bb.200:
	v_and_b32_e32 v96, -8, v99
	v_sub_u32_e32 v98, 0, v96
	s_mov_b64 s[2:3], 8
	s_movk_i32 s8, 0x88
	s_mov_b64 s[6:7], 0
.LBB78_201:                             ; =>This Inner Loop Header: Depth=1
	s_lshl_b32 s9, s2, 1
	s_add_i32 s10, s9, -13
	v_mov_b32_e32 v114, s8
	s_add_i32 s11, s9, -14
	s_set_gpr_idx_on s10, gpr_idx(SRC0)
	v_mov_b32_e32 v109, v32
	s_set_gpr_idx_off
	s_add_i32 s12, s9, -11
	s_set_gpr_idx_on s11, gpr_idx(SRC0)
	v_mov_b32_e32 v108, v32
	s_set_gpr_idx_off
	ds_read2_b64 v[100:103], v114 offset1:1
	s_add_i32 s13, s9, -12
	s_set_gpr_idx_on s12, gpr_idx(SRC0)
	v_mov_b32_e32 v111, v32
	s_set_gpr_idx_off
	s_add_i32 s14, s9, -9
	s_set_gpr_idx_on s13, gpr_idx(SRC0)
	v_mov_b32_e32 v110, v32
	s_set_gpr_idx_off
	;; [unrolled: 4-line block ×4, first 2 shown]
	ds_read2_b64 v[104:107], v114 offset0:2 offset1:3
	s_add_i32 s17, s9, -8
	s_waitcnt lgkmcnt(1)
	v_fmac_f64_e32 v[94:95], v[108:109], v[100:101]
	s_set_gpr_idx_on s16, gpr_idx(SRC0)
	v_mov_b32_e32 v109, v32
	s_set_gpr_idx_off
	s_add_i32 s18, s9, -5
	v_fmac_f64_e32 v[94:95], v[110:111], v[102:103]
	s_set_gpr_idx_on s17, gpr_idx(SRC0)
	v_mov_b32_e32 v108, v32
	s_set_gpr_idx_off
	s_add_i32 s19, s9, -6
	s_set_gpr_idx_on s18, gpr_idx(SRC0)
	v_mov_b32_e32 v111, v32
	s_set_gpr_idx_off
	s_add_i32 s20, s9, -3
	;; [unrolled: 4-line block ×3, first 2 shown]
	ds_read2_b64 v[100:103], v114 offset0:4 offset1:5
	s_waitcnt lgkmcnt(1)
	v_fmac_f64_e32 v[94:95], v[112:113], v[104:105]
	s_set_gpr_idx_on s20, gpr_idx(SRC0)
	v_mov_b32_e32 v113, v32
	s_set_gpr_idx_off
	s_add_i32 s22, s9, -1
	v_fmac_f64_e32 v[94:95], v[108:109], v[106:107]
	s_set_gpr_idx_on s21, gpr_idx(SRC0)
	v_mov_b32_e32 v112, v32
	s_set_gpr_idx_off
	s_add_i32 s23, s9, -2
	s_set_gpr_idx_on s22, gpr_idx(SRC0)
	v_mov_b32_e32 v109, v32
	s_set_gpr_idx_off
	s_set_gpr_idx_on s23, gpr_idx(SRC0)
	v_mov_b32_e32 v108, v32
	s_set_gpr_idx_off
	ds_read2_b64 v[104:107], v114 offset0:6 offset1:7
	s_add_u32 s2, s2, 8
	s_waitcnt lgkmcnt(1)
	v_fmac_f64_e32 v[94:95], v[110:111], v[100:101]
	s_set_gpr_idx_on s9, gpr_idx(SRC0)
	v_mov_b32_e32 v101, v33
	s_set_gpr_idx_off
	v_add_u32_e32 v96, s2, v98
	v_fmac_f64_e32 v[94:95], v[112:113], v[102:103]
	s_set_gpr_idx_on s9, gpr_idx(SRC0)
	v_mov_b32_e32 v100, v32
	s_set_gpr_idx_off
	s_addc_u32 s3, s3, 0
	s_add_i32 s8, s8, 64
	s_add_i32 s10, s2, -7
	v_cmp_eq_u32_e32 vcc, 8, v96
	s_waitcnt lgkmcnt(0)
	v_fmac_f64_e32 v[94:95], v[108:109], v[104:105]
	v_mov_b32_e32 v96, s10
	s_or_b64 s[6:7], vcc, s[6:7]
	v_fmac_f64_e32 v[94:95], v[100:101], v[106:107]
	s_andn2_b64 exec, exec, s[6:7]
	s_cbranch_execnz .LBB78_201
; %bb.202:
	s_or_b64 exec, exec, s[6:7]
.LBB78_203:
	s_or_b64 exec, exec, s[0:1]
	v_and_b32_e32 v62, 7, v99
	v_cmp_ne_u32_e32 vcc, 0, v62
	s_and_saveexec_b64 s[6:7], vcc
	s_cbranch_execz .LBB78_207
; %bb.204:
	v_mov_b32_e32 v63, 0x80
	v_lshl_add_u32 v98, v96, 3, v63
	v_mov_b32_e32 v63, 0
	s_mov_b64 s[8:9], 0
.LBB78_205:                             ; =>This Inner Loop Header: Depth=1
	v_cmp_eq_u32_e32 vcc, 1, v96
	v_cndmask_b32_e32 v99, v33, v35, vcc
	v_add_u32_e32 v62, -1, v62
	v_cmp_eq_u32_e64 s[0:1], 2, v96
	v_cndmask_b32_e64 v99, v99, v37, s[0:1]
	v_cndmask_b32_e32 v102, v32, v34, vcc
	v_cmp_eq_u32_e32 vcc, 0, v62
	v_cmp_eq_u32_e64 s[2:3], 3, v96
	v_cndmask_b32_e64 v99, v99, v39, s[2:3]
	v_cndmask_b32_e64 v102, v102, v36, s[0:1]
	s_or_b64 s[8:9], vcc, s[8:9]
	v_cmp_eq_u32_e32 vcc, 4, v96
	v_cndmask_b32_e32 v99, v99, v41, vcc
	v_cndmask_b32_e64 v102, v102, v38, s[2:3]
	v_cmp_eq_u32_e64 s[0:1], 5, v96
	v_cndmask_b32_e64 v99, v99, v43, s[0:1]
	v_cndmask_b32_e32 v102, v102, v40, vcc
	v_cmp_eq_u32_e32 vcc, 6, v96
	v_cndmask_b32_e32 v99, v99, v45, vcc
	v_cndmask_b32_e64 v102, v102, v42, s[0:1]
	v_cmp_eq_u32_e64 s[0:1], 7, v96
	v_cndmask_b32_e64 v99, v99, v47, s[0:1]
	v_cndmask_b32_e32 v102, v102, v44, vcc
	;; [unrolled: 6-line block ×3, first 2 shown]
	v_cmp_eq_u32_e32 vcc, 10, v96
	v_cndmask_b32_e32 v99, v99, v53, vcc
	v_cndmask_b32_e64 v102, v102, v50, s[0:1]
	v_cmp_eq_u32_e64 s[0:1], 11, v96
	ds_read_b64 v[100:101], v98
	v_cndmask_b32_e64 v99, v99, v55, s[0:1]
	v_cndmask_b32_e32 v102, v102, v52, vcc
	v_cmp_eq_u32_e32 vcc, 12, v96
	v_cndmask_b32_e32 v99, v99, v57, vcc
	v_cndmask_b32_e64 v102, v102, v54, s[0:1]
	v_cmp_eq_u32_e64 s[0:1], 13, v96
	v_cndmask_b32_e64 v99, v99, v59, s[0:1]
	v_cmp_eq_u32_e64 s[2:3], 14, v96
	v_cndmask_b32_e32 v102, v102, v56, vcc
	v_cndmask_b32_e64 v103, v99, v61, s[2:3]
	v_cndmask_b32_e64 v99, v102, v58, s[0:1]
	v_add_co_u32_e32 v96, vcc, 1, v96
	v_cndmask_b32_e64 v102, v99, v60, s[2:3]
	v_add_u32_e32 v98, 8, v98
	v_addc_co_u32_e32 v63, vcc, 0, v63, vcc
	s_waitcnt lgkmcnt(0)
	v_fmac_f64_e32 v[94:95], v[102:103], v[100:101]
	s_andn2_b64 exec, exec, s[8:9]
	s_cbranch_execnz .LBB78_205
; %bb.206:
	s_or_b64 exec, exec, s[8:9]
.LBB78_207:
	s_or_b64 exec, exec, s[6:7]
.LBB78_208:
	s_or_b64 exec, exec, s[4:5]
	v_mov_b32_e32 v32, 0
	ds_read_b64 v[32:33], v32
	s_waitcnt lgkmcnt(0)
	v_mul_f64 v[32:33], v[94:95], v[32:33]
.LBB78_209:
	s_or_b64 exec, exec, s[28:29]
	s_branch .LBB78_355
.LBB78_210:
	v_cmp_eq_u32_e64 s[2:3], 0, v0
	s_waitcnt vmcnt(14)
	ds_write_b64 v97, v[4:5]
	s_waitcnt lgkmcnt(0)
	; wave barrier
	s_waitcnt lgkmcnt(0)
	s_and_saveexec_b64 s[28:29], s[2:3]
	s_cbranch_execz .LBB78_216
; %bb.211:
	s_and_b64 vcc, exec, s[30:31]
	s_cbranch_vccz .LBB78_213
; %bb.212:
	v_cmp_eq_u32_e32 vcc, 1, v0
	s_waitcnt vmcnt(1)
	v_cndmask_b32_e32 v5, v3, v5, vcc
	v_cmp_eq_u32_e64 s[0:1], 2, v0
	v_cndmask_b32_e32 v4, v2, v4, vcc
	v_cndmask_b32_e64 v5, v5, v7, s[0:1]
	v_cmp_eq_u32_e64 s[4:5], 3, v0
	v_cndmask_b32_e64 v4, v4, v6, s[0:1]
	v_cndmask_b32_e64 v5, v5, v9, s[4:5]
	v_cmp_eq_u32_e64 s[6:7], 4, v0
	v_cndmask_b32_e64 v4, v4, v8, s[4:5]
	;; [unrolled: 3-line block ×9, first 2 shown]
	ds_read_b64 v[32:33], v97
	v_cndmask_b32_e64 v5, v5, v25, s[20:21]
	v_cmp_eq_u32_e64 s[22:23], 12, v0
	v_cndmask_b32_e64 v4, v4, v24, s[20:21]
	v_cndmask_b32_e64 v5, v5, v27, s[22:23]
	v_cmp_eq_u32_e64 s[24:25], 13, v0
	v_cndmask_b32_e64 v4, v4, v26, s[22:23]
	v_cndmask_b32_e64 v5, v5, v29, s[24:25]
	v_cmp_eq_u32_e64 s[26:27], 14, v0
	v_cndmask_b32_e64 v4, v4, v28, s[24:25]
	s_waitcnt vmcnt(0)
	v_cndmask_b32_e64 v5, v5, v31, s[26:27]
	v_cndmask_b32_e64 v4, v4, v30, s[26:27]
	s_waitcnt lgkmcnt(0)
	v_mul_f64 v[4:5], v[4:5], v[32:33]
	s_cbranch_execz .LBB78_214
	s_branch .LBB78_215
.LBB78_213:
                                        ; implicit-def: $vgpr4_vgpr5
.LBB78_214:
	ds_read_b64 v[4:5], v97
.LBB78_215:
	v_mov_b32_e32 v32, 0
	ds_read_b64 v[32:33], v32 offset:8
	s_waitcnt lgkmcnt(0)
	v_mul_f64 v[4:5], v[4:5], v[32:33]
.LBB78_216:
	s_or_b64 exec, exec, s[28:29]
	v_cndmask_b32_e64 v32, 0, 1, s[30:31]
	v_add_u32_e32 v36, 1, v0
	v_cmp_gt_u32_e32 vcc, 2, v0
	v_cmp_ne_u32_e64 s[0:1], 1, v32
	s_waitcnt vmcnt(13)
	ds_write_b64 v97, v[6:7]
	s_waitcnt lgkmcnt(0)
	; wave barrier
	s_waitcnt lgkmcnt(0)
	s_and_saveexec_b64 s[30:31], vcc
	s_cbranch_execz .LBB78_224
; %bb.217:
	s_and_b64 vcc, exec, s[0:1]
	s_cbranch_vccnz .LBB78_219
; %bb.218:
	v_cmp_eq_u32_e32 vcc, 1, v0
	s_waitcnt vmcnt(1)
	v_cndmask_b32_e32 v32, v3, v5, vcc
	v_cmp_eq_u32_e64 s[4:5], 2, v0
	v_cndmask_b32_e64 v32, v32, v7, s[4:5]
	v_cmp_eq_u32_e64 s[6:7], 3, v0
	v_cndmask_b32_e64 v32, v32, v9, s[6:7]
	;; [unrolled: 2-line block ×12, first 2 shown]
	v_cmp_eq_u32_e64 s[28:29], 14, v0
	s_waitcnt vmcnt(0)
	v_cndmask_b32_e64 v33, v32, v31, s[28:29]
	v_cndmask_b32_e32 v32, v2, v4, vcc
	v_cndmask_b32_e64 v32, v32, v6, s[4:5]
	v_cndmask_b32_e64 v32, v32, v8, s[6:7]
	;; [unrolled: 1-line block ×9, first 2 shown]
	ds_read_b64 v[34:35], v97
	v_cndmask_b32_e64 v32, v32, v24, s[22:23]
	v_cndmask_b32_e64 v32, v32, v26, s[24:25]
	;; [unrolled: 1-line block ×4, first 2 shown]
	s_waitcnt lgkmcnt(0)
	v_mul_f64 v[32:33], v[32:33], v[34:35]
	s_cbranch_execz .LBB78_220
	s_branch .LBB78_221
.LBB78_219:
                                        ; implicit-def: $vgpr32_vgpr33
.LBB78_220:
	ds_read_b64 v[32:33], v97
.LBB78_221:
	s_and_saveexec_b64 s[34:35], s[2:3]
	s_cbranch_execz .LBB78_223
; %bb.222:
	v_cmp_eq_u32_e32 vcc, 1, v36
	s_waitcnt vmcnt(1)
	v_cndmask_b32_e32 v34, v3, v5, vcc
	v_cmp_eq_u32_e64 s[4:5], 2, v36
	v_cndmask_b32_e64 v7, v34, v7, s[4:5]
	v_cndmask_b32_e32 v34, v2, v4, vcc
	v_cmp_eq_u32_e64 s[6:7], 3, v36
	v_cndmask_b32_e64 v6, v34, v6, s[4:5]
	v_cndmask_b32_e64 v7, v7, v9, s[6:7]
	v_cmp_eq_u32_e64 s[8:9], 4, v36
	v_cndmask_b32_e64 v6, v6, v8, s[6:7]
	v_cndmask_b32_e64 v7, v7, v11, s[8:9]
	;; [unrolled: 3-line block ×8, first 2 shown]
	v_cmp_eq_u32_e64 s[22:23], 11, v36
	v_cndmask_b32_e64 v6, v6, v22, s[20:21]
	ds_read_b64 v[34:35], v97 offset:8
	v_cndmask_b32_e64 v7, v7, v25, s[22:23]
	v_cmp_eq_u32_e64 s[24:25], 12, v36
	v_cndmask_b32_e64 v6, v6, v24, s[22:23]
	v_cndmask_b32_e64 v7, v7, v27, s[24:25]
	v_cmp_eq_u32_e64 s[26:27], 13, v36
	v_cndmask_b32_e64 v6, v6, v26, s[24:25]
	;; [unrolled: 3-line block ×3, first 2 shown]
	s_waitcnt vmcnt(0)
	v_cndmask_b32_e64 v7, v7, v31, s[28:29]
	v_cndmask_b32_e64 v6, v6, v30, s[28:29]
	s_waitcnt lgkmcnt(0)
	v_fmac_f64_e32 v[32:33], v[6:7], v[34:35]
.LBB78_223:
	s_or_b64 exec, exec, s[34:35]
	v_mov_b32_e32 v6, 0
	ds_read_b64 v[6:7], v6 offset:16
	s_waitcnt lgkmcnt(0)
	v_mul_f64 v[6:7], v[32:33], v[6:7]
.LBB78_224:
	s_or_b64 exec, exec, s[30:31]
	v_cmp_gt_u32_e64 s[4:5], 3, v0
	s_waitcnt vmcnt(12)
	ds_write_b64 v97, v[8:9]
	s_waitcnt lgkmcnt(0)
	; wave barrier
	s_waitcnt lgkmcnt(0)
	s_and_saveexec_b64 s[34:35], s[4:5]
	s_cbranch_execz .LBB78_232
; %bb.225:
	s_and_b64 vcc, exec, s[0:1]
	s_cbranch_vccnz .LBB78_227
; %bb.226:
	v_cmp_eq_u32_e32 vcc, 1, v0
	s_waitcnt vmcnt(1)
	v_cndmask_b32_e32 v32, v3, v5, vcc
	v_cmp_eq_u32_e64 s[6:7], 2, v0
	v_cndmask_b32_e64 v32, v32, v7, s[6:7]
	v_cmp_eq_u32_e64 s[8:9], 3, v0
	v_cndmask_b32_e64 v32, v32, v9, s[8:9]
	;; [unrolled: 2-line block ×12, first 2 shown]
	v_cmp_eq_u32_e64 s[30:31], 14, v0
	s_waitcnt vmcnt(0)
	v_cndmask_b32_e64 v33, v32, v31, s[30:31]
	v_cndmask_b32_e32 v32, v2, v4, vcc
	v_cndmask_b32_e64 v32, v32, v6, s[6:7]
	v_cndmask_b32_e64 v32, v32, v8, s[8:9]
	;; [unrolled: 1-line block ×9, first 2 shown]
	ds_read_b64 v[34:35], v97
	v_cndmask_b32_e64 v32, v32, v24, s[24:25]
	v_cndmask_b32_e64 v32, v32, v26, s[26:27]
	v_cndmask_b32_e64 v32, v32, v28, s[28:29]
	v_cndmask_b32_e64 v32, v32, v30, s[30:31]
	s_waitcnt lgkmcnt(0)
	v_mul_f64 v[32:33], v[32:33], v[34:35]
	s_cbranch_execz .LBB78_228
	s_branch .LBB78_229
.LBB78_227:
                                        ; implicit-def: $vgpr32_vgpr33
.LBB78_228:
	ds_read_b64 v[32:33], v97
.LBB78_229:
	v_cmp_ne_u32_e32 vcc, 2, v0
	s_and_saveexec_b64 s[36:37], vcc
	s_cbranch_execz .LBB78_231
; %bb.230:
	v_cmp_eq_u32_e32 vcc, 1, v36
	s_waitcnt vmcnt(1)
	v_cndmask_b32_e32 v34, v3, v5, vcc
	v_cmp_eq_u32_e64 s[6:7], 2, v36
	v_cndmask_b32_e64 v34, v34, v7, s[6:7]
	v_cmp_eq_u32_e64 s[8:9], 3, v36
	v_cndmask_b32_e64 v9, v34, v9, s[8:9]
	v_cndmask_b32_e32 v34, v2, v4, vcc
	v_cndmask_b32_e64 v34, v34, v6, s[6:7]
	v_cmp_eq_u32_e64 s[10:11], 4, v36
	v_cndmask_b32_e64 v8, v34, v8, s[8:9]
	v_cndmask_b32_e64 v9, v9, v11, s[10:11]
	v_cmp_eq_u32_e64 s[12:13], 5, v36
	v_cndmask_b32_e64 v8, v8, v10, s[10:11]
	;; [unrolled: 3-line block ×9, first 2 shown]
	v_mov_b32_e32 v37, 0
	ds_read_b64 v[34:35], v97 offset:8
	ds_read_b64 v[38:39], v37 offset:144
	v_cndmask_b32_e64 v9, v9, v27, s[26:27]
	v_cmp_eq_u32_e64 s[28:29], 13, v36
	v_cndmask_b32_e64 v8, v8, v26, s[26:27]
	v_cndmask_b32_e64 v9, v9, v29, s[28:29]
	v_cmp_eq_u32_e64 s[30:31], 14, v36
	v_cndmask_b32_e64 v8, v8, v28, s[28:29]
	s_waitcnt vmcnt(0)
	v_cndmask_b32_e64 v9, v9, v31, s[30:31]
	v_cndmask_b32_e64 v8, v8, v30, s[30:31]
	s_waitcnt lgkmcnt(1)
	v_fmac_f64_e32 v[32:33], v[8:9], v[34:35]
	s_waitcnt lgkmcnt(0)
	v_fma_f64 v[8:9], v[6:7], v[38:39], v[32:33]
	v_cndmask_b32_e64 v33, v33, v9, s[2:3]
	v_cndmask_b32_e64 v32, v32, v8, s[2:3]
.LBB78_231:
	s_or_b64 exec, exec, s[36:37]
	v_mov_b32_e32 v8, 0
	ds_read_b64 v[8:9], v8 offset:24
	s_waitcnt lgkmcnt(0)
	v_mul_f64 v[8:9], v[32:33], v[8:9]
.LBB78_232:
	s_or_b64 exec, exec, s[34:35]
	v_cmp_gt_u32_e32 vcc, 4, v0
	s_waitcnt vmcnt(11)
	ds_write_b64 v97, v[10:11]
	s_waitcnt lgkmcnt(0)
	; wave barrier
	s_waitcnt lgkmcnt(0)
	s_and_saveexec_b64 s[34:35], vcc
	s_cbranch_execz .LBB78_242
; %bb.233:
	s_and_b64 vcc, exec, s[0:1]
	s_cbranch_vccnz .LBB78_235
; %bb.234:
	v_cmp_eq_u32_e32 vcc, 1, v0
	s_waitcnt vmcnt(1)
	v_cndmask_b32_e32 v32, v3, v5, vcc
	v_cmp_eq_u32_e64 s[6:7], 2, v0
	v_cndmask_b32_e64 v32, v32, v7, s[6:7]
	v_cmp_eq_u32_e64 s[8:9], 3, v0
	v_cndmask_b32_e64 v32, v32, v9, s[8:9]
	;; [unrolled: 2-line block ×12, first 2 shown]
	v_cmp_eq_u32_e64 s[30:31], 14, v0
	s_waitcnt vmcnt(0)
	v_cndmask_b32_e64 v33, v32, v31, s[30:31]
	v_cndmask_b32_e32 v32, v2, v4, vcc
	v_cndmask_b32_e64 v32, v32, v6, s[6:7]
	v_cndmask_b32_e64 v32, v32, v8, s[8:9]
	;; [unrolled: 1-line block ×9, first 2 shown]
	ds_read_b64 v[34:35], v97
	v_cndmask_b32_e64 v32, v32, v24, s[24:25]
	v_cndmask_b32_e64 v32, v32, v26, s[26:27]
	v_cndmask_b32_e64 v32, v32, v28, s[28:29]
	v_cndmask_b32_e64 v32, v32, v30, s[30:31]
	s_waitcnt lgkmcnt(0)
	v_mul_f64 v[32:33], v[32:33], v[34:35]
	s_cbranch_execz .LBB78_236
	s_branch .LBB78_237
.LBB78_235:
                                        ; implicit-def: $vgpr32_vgpr33
.LBB78_236:
	ds_read_b64 v[32:33], v97
.LBB78_237:
	v_cmp_ne_u32_e32 vcc, 3, v0
	s_and_saveexec_b64 s[10:11], vcc
	s_cbranch_execz .LBB78_241
; %bb.238:
	v_mov_b32_e32 v34, 0x88
	v_lshl_add_u32 v37, v0, 3, v34
	s_mov_b64 s[12:13], 0
	v_pk_mov_b32 v[34:35], v[0:1], v[0:1] op_sel:[0,1]
.LBB78_239:                             ; =>This Inner Loop Header: Depth=1
	v_add_co_u32_e32 v34, vcc, 1, v34
	v_addc_co_u32_e32 v35, vcc, 0, v35, vcc
	v_cmp_eq_u32_e32 vcc, 1, v34
	s_waitcnt vmcnt(1)
	v_cndmask_b32_e32 v40, v3, v5, vcc
	v_cmp_eq_u32_e64 s[8:9], 2, v34
	v_cmp_lt_u32_e64 s[6:7], 2, v34
	v_cndmask_b32_e64 v40, v40, v7, s[8:9]
	v_cndmask_b32_e32 v41, v2, v4, vcc
	v_cmp_eq_u32_e32 vcc, 3, v34
	s_or_b64 s[12:13], s[6:7], s[12:13]
	v_cndmask_b32_e32 v40, v40, v9, vcc
	v_cndmask_b32_e64 v41, v41, v6, s[8:9]
	v_cmp_eq_u32_e64 s[6:7], 4, v34
	v_cndmask_b32_e64 v40, v40, v11, s[6:7]
	v_cndmask_b32_e32 v41, v41, v8, vcc
	v_cmp_eq_u32_e32 vcc, 5, v34
	v_cndmask_b32_e32 v40, v40, v13, vcc
	v_cndmask_b32_e64 v41, v41, v10, s[6:7]
	v_cmp_eq_u32_e64 s[6:7], 6, v34
	v_cndmask_b32_e64 v40, v40, v15, s[6:7]
	v_cndmask_b32_e32 v41, v41, v12, vcc
	v_cmp_eq_u32_e32 vcc, 7, v34
	;; [unrolled: 6-line block ×4, first 2 shown]
	ds_read_b64 v[38:39], v37
	v_cndmask_b32_e32 v40, v40, v25, vcc
	v_cndmask_b32_e64 v41, v41, v22, s[6:7]
	v_cmp_eq_u32_e64 s[6:7], 12, v34
	v_cndmask_b32_e64 v40, v40, v27, s[6:7]
	v_cndmask_b32_e32 v41, v41, v24, vcc
	v_cmp_eq_u32_e32 vcc, 13, v34
	v_cndmask_b32_e32 v40, v40, v29, vcc
	v_cndmask_b32_e64 v42, v41, v26, s[6:7]
	v_cmp_eq_u32_e64 s[6:7], 14, v34
	s_waitcnt vmcnt(0)
	v_cndmask_b32_e64 v41, v40, v31, s[6:7]
	v_cndmask_b32_e32 v40, v42, v28, vcc
	v_cndmask_b32_e64 v40, v40, v30, s[6:7]
	v_add_u32_e32 v37, 8, v37
	s_waitcnt lgkmcnt(0)
	v_fmac_f64_e32 v[32:33], v[40:41], v[38:39]
	s_andn2_b64 exec, exec, s[12:13]
	s_cbranch_execnz .LBB78_239
; %bb.240:
	s_or_b64 exec, exec, s[12:13]
.LBB78_241:
	s_or_b64 exec, exec, s[10:11]
	v_mov_b32_e32 v10, 0
	ds_read_b64 v[10:11], v10 offset:32
	s_waitcnt lgkmcnt(0)
	v_mul_f64 v[10:11], v[32:33], v[10:11]
.LBB78_242:
	s_or_b64 exec, exec, s[34:35]
	v_cmp_gt_u32_e64 s[6:7], 5, v0
	s_waitcnt vmcnt(10)
	ds_write_b64 v97, v[12:13]
	s_waitcnt lgkmcnt(0)
	; wave barrier
	s_waitcnt lgkmcnt(0)
	s_and_saveexec_b64 s[36:37], s[6:7]
	s_cbranch_execz .LBB78_252
; %bb.243:
	s_and_b64 vcc, exec, s[0:1]
	s_cbranch_vccnz .LBB78_245
; %bb.244:
	v_cmp_eq_u32_e32 vcc, 1, v0
	s_waitcnt vmcnt(1)
	v_cndmask_b32_e32 v32, v3, v5, vcc
	v_cmp_eq_u32_e64 s[8:9], 2, v0
	v_cndmask_b32_e64 v32, v32, v7, s[8:9]
	v_cmp_eq_u32_e64 s[10:11], 3, v0
	v_cndmask_b32_e64 v32, v32, v9, s[10:11]
	;; [unrolled: 2-line block ×12, first 2 shown]
	v_cmp_eq_u32_e64 s[34:35], 14, v0
	s_waitcnt vmcnt(0)
	v_cndmask_b32_e64 v33, v32, v31, s[34:35]
	v_cndmask_b32_e32 v32, v2, v4, vcc
	v_cndmask_b32_e64 v32, v32, v6, s[8:9]
	v_cndmask_b32_e64 v32, v32, v8, s[10:11]
	;; [unrolled: 1-line block ×9, first 2 shown]
	ds_read_b64 v[34:35], v97
	v_cndmask_b32_e64 v32, v32, v24, s[26:27]
	v_cndmask_b32_e64 v32, v32, v26, s[28:29]
	;; [unrolled: 1-line block ×4, first 2 shown]
	s_waitcnt lgkmcnt(0)
	v_mul_f64 v[32:33], v[32:33], v[34:35]
	s_cbranch_execz .LBB78_246
	s_branch .LBB78_247
.LBB78_245:
                                        ; implicit-def: $vgpr32_vgpr33
.LBB78_246:
	ds_read_b64 v[32:33], v97
.LBB78_247:
	v_cmp_ne_u32_e32 vcc, 4, v0
	s_and_saveexec_b64 s[12:13], vcc
	s_cbranch_execz .LBB78_251
; %bb.248:
	v_mov_b32_e32 v34, 0x88
	v_lshl_add_u32 v37, v0, 3, v34
	s_mov_b64 s[14:15], 0
	v_pk_mov_b32 v[34:35], v[0:1], v[0:1] op_sel:[0,1]
.LBB78_249:                             ; =>This Inner Loop Header: Depth=1
	v_add_co_u32_e32 v34, vcc, 1, v34
	v_addc_co_u32_e32 v35, vcc, 0, v35, vcc
	v_cmp_eq_u32_e32 vcc, 1, v34
	s_waitcnt vmcnt(1)
	v_cndmask_b32_e32 v40, v3, v5, vcc
	v_cmp_eq_u32_e64 s[10:11], 2, v34
	v_cmp_lt_u32_e64 s[8:9], 3, v34
	v_cndmask_b32_e64 v40, v40, v7, s[10:11]
	v_cndmask_b32_e32 v41, v2, v4, vcc
	v_cmp_eq_u32_e32 vcc, 3, v34
	s_or_b64 s[14:15], s[8:9], s[14:15]
	v_cndmask_b32_e32 v40, v40, v9, vcc
	v_cndmask_b32_e64 v41, v41, v6, s[10:11]
	v_cmp_eq_u32_e64 s[8:9], 4, v34
	v_cndmask_b32_e64 v40, v40, v11, s[8:9]
	v_cndmask_b32_e32 v41, v41, v8, vcc
	v_cmp_eq_u32_e32 vcc, 5, v34
	v_cndmask_b32_e32 v40, v40, v13, vcc
	v_cndmask_b32_e64 v41, v41, v10, s[8:9]
	v_cmp_eq_u32_e64 s[8:9], 6, v34
	v_cndmask_b32_e64 v40, v40, v15, s[8:9]
	v_cndmask_b32_e32 v41, v41, v12, vcc
	v_cmp_eq_u32_e32 vcc, 7, v34
	;; [unrolled: 6-line block ×4, first 2 shown]
	ds_read_b64 v[38:39], v37
	v_cndmask_b32_e32 v40, v40, v25, vcc
	v_cndmask_b32_e64 v41, v41, v22, s[8:9]
	v_cmp_eq_u32_e64 s[8:9], 12, v34
	v_cndmask_b32_e64 v40, v40, v27, s[8:9]
	v_cndmask_b32_e32 v41, v41, v24, vcc
	v_cmp_eq_u32_e32 vcc, 13, v34
	v_cndmask_b32_e32 v40, v40, v29, vcc
	v_cndmask_b32_e64 v42, v41, v26, s[8:9]
	v_cmp_eq_u32_e64 s[8:9], 14, v34
	s_waitcnt vmcnt(0)
	v_cndmask_b32_e64 v41, v40, v31, s[8:9]
	v_cndmask_b32_e32 v40, v42, v28, vcc
	v_cndmask_b32_e64 v40, v40, v30, s[8:9]
	v_add_u32_e32 v37, 8, v37
	s_waitcnt lgkmcnt(0)
	v_fmac_f64_e32 v[32:33], v[40:41], v[38:39]
	s_andn2_b64 exec, exec, s[14:15]
	s_cbranch_execnz .LBB78_249
; %bb.250:
	s_or_b64 exec, exec, s[14:15]
.LBB78_251:
	s_or_b64 exec, exec, s[12:13]
	v_mov_b32_e32 v12, 0
	ds_read_b64 v[12:13], v12 offset:40
	s_waitcnt lgkmcnt(0)
	v_mul_f64 v[12:13], v[32:33], v[12:13]
.LBB78_252:
	s_or_b64 exec, exec, s[36:37]
	v_cmp_gt_u32_e32 vcc, 6, v0
	s_waitcnt vmcnt(9)
	ds_write_b64 v97, v[14:15]
	s_waitcnt lgkmcnt(0)
	; wave barrier
	s_waitcnt lgkmcnt(0)
	s_and_saveexec_b64 s[36:37], vcc
	s_cbranch_execz .LBB78_262
; %bb.253:
	s_and_b64 vcc, exec, s[0:1]
	s_cbranch_vccnz .LBB78_255
; %bb.254:
	v_cmp_eq_u32_e32 vcc, 1, v0
	s_waitcnt vmcnt(1)
	v_cndmask_b32_e32 v32, v3, v5, vcc
	v_cmp_eq_u32_e64 s[8:9], 2, v0
	v_cndmask_b32_e64 v32, v32, v7, s[8:9]
	v_cmp_eq_u32_e64 s[10:11], 3, v0
	v_cndmask_b32_e64 v32, v32, v9, s[10:11]
	;; [unrolled: 2-line block ×12, first 2 shown]
	v_cmp_eq_u32_e64 s[34:35], 14, v0
	s_waitcnt vmcnt(0)
	v_cndmask_b32_e64 v33, v32, v31, s[34:35]
	v_cndmask_b32_e32 v32, v2, v4, vcc
	v_cndmask_b32_e64 v32, v32, v6, s[8:9]
	v_cndmask_b32_e64 v32, v32, v8, s[10:11]
	;; [unrolled: 1-line block ×9, first 2 shown]
	ds_read_b64 v[34:35], v97
	v_cndmask_b32_e64 v32, v32, v24, s[26:27]
	v_cndmask_b32_e64 v32, v32, v26, s[28:29]
	;; [unrolled: 1-line block ×4, first 2 shown]
	s_waitcnt lgkmcnt(0)
	v_mul_f64 v[32:33], v[32:33], v[34:35]
	s_cbranch_execz .LBB78_256
	s_branch .LBB78_257
.LBB78_255:
                                        ; implicit-def: $vgpr32_vgpr33
.LBB78_256:
	ds_read_b64 v[32:33], v97
.LBB78_257:
	v_cmp_ne_u32_e32 vcc, 5, v0
	s_and_saveexec_b64 s[12:13], vcc
	s_cbranch_execz .LBB78_261
; %bb.258:
	v_mov_b32_e32 v34, 0x88
	v_lshl_add_u32 v37, v0, 3, v34
	s_mov_b64 s[14:15], 0
	v_pk_mov_b32 v[34:35], v[0:1], v[0:1] op_sel:[0,1]
.LBB78_259:                             ; =>This Inner Loop Header: Depth=1
	v_add_co_u32_e32 v34, vcc, 1, v34
	v_addc_co_u32_e32 v35, vcc, 0, v35, vcc
	v_cmp_eq_u32_e32 vcc, 1, v34
	s_waitcnt vmcnt(1)
	v_cndmask_b32_e32 v40, v3, v5, vcc
	v_cmp_eq_u32_e64 s[10:11], 2, v34
	v_cmp_lt_u32_e64 s[8:9], 4, v34
	v_cndmask_b32_e64 v40, v40, v7, s[10:11]
	v_cndmask_b32_e32 v41, v2, v4, vcc
	v_cmp_eq_u32_e32 vcc, 3, v34
	s_or_b64 s[14:15], s[8:9], s[14:15]
	v_cndmask_b32_e32 v40, v40, v9, vcc
	v_cndmask_b32_e64 v41, v41, v6, s[10:11]
	v_cmp_eq_u32_e64 s[8:9], 4, v34
	v_cndmask_b32_e64 v40, v40, v11, s[8:9]
	v_cndmask_b32_e32 v41, v41, v8, vcc
	v_cmp_eq_u32_e32 vcc, 5, v34
	v_cndmask_b32_e32 v40, v40, v13, vcc
	v_cndmask_b32_e64 v41, v41, v10, s[8:9]
	v_cmp_eq_u32_e64 s[8:9], 6, v34
	v_cndmask_b32_e64 v40, v40, v15, s[8:9]
	v_cndmask_b32_e32 v41, v41, v12, vcc
	v_cmp_eq_u32_e32 vcc, 7, v34
	v_cndmask_b32_e32 v40, v40, v17, vcc
	v_cndmask_b32_e64 v41, v41, v14, s[8:9]
	v_cmp_eq_u32_e64 s[8:9], 8, v34
	v_cndmask_b32_e64 v40, v40, v19, s[8:9]
	v_cndmask_b32_e32 v41, v41, v16, vcc
	v_cmp_eq_u32_e32 vcc, 9, v34
	v_cndmask_b32_e32 v40, v40, v21, vcc
	v_cndmask_b32_e64 v41, v41, v18, s[8:9]
	v_cmp_eq_u32_e64 s[8:9], 10, v34
	v_cndmask_b32_e64 v40, v40, v23, s[8:9]
	v_cndmask_b32_e32 v41, v41, v20, vcc
	v_cmp_eq_u32_e32 vcc, 11, v34
	ds_read_b64 v[38:39], v37
	v_cndmask_b32_e32 v40, v40, v25, vcc
	v_cndmask_b32_e64 v41, v41, v22, s[8:9]
	v_cmp_eq_u32_e64 s[8:9], 12, v34
	v_cndmask_b32_e64 v40, v40, v27, s[8:9]
	v_cndmask_b32_e32 v41, v41, v24, vcc
	v_cmp_eq_u32_e32 vcc, 13, v34
	v_cndmask_b32_e32 v40, v40, v29, vcc
	v_cndmask_b32_e64 v42, v41, v26, s[8:9]
	v_cmp_eq_u32_e64 s[8:9], 14, v34
	s_waitcnt vmcnt(0)
	v_cndmask_b32_e64 v41, v40, v31, s[8:9]
	v_cndmask_b32_e32 v40, v42, v28, vcc
	v_cndmask_b32_e64 v40, v40, v30, s[8:9]
	v_add_u32_e32 v37, 8, v37
	s_waitcnt lgkmcnt(0)
	v_fmac_f64_e32 v[32:33], v[40:41], v[38:39]
	s_andn2_b64 exec, exec, s[14:15]
	s_cbranch_execnz .LBB78_259
; %bb.260:
	s_or_b64 exec, exec, s[14:15]
.LBB78_261:
	s_or_b64 exec, exec, s[12:13]
	v_mov_b32_e32 v14, 0
	ds_read_b64 v[14:15], v14 offset:48
	s_waitcnt lgkmcnt(0)
	v_mul_f64 v[14:15], v[32:33], v[14:15]
.LBB78_262:
	s_or_b64 exec, exec, s[36:37]
	v_cmp_gt_u32_e64 s[8:9], 7, v0
	s_waitcnt vmcnt(8)
	ds_write_b64 v97, v[16:17]
	s_waitcnt lgkmcnt(0)
	; wave barrier
	s_waitcnt lgkmcnt(0)
	s_and_saveexec_b64 s[38:39], s[8:9]
	s_cbranch_execz .LBB78_272
; %bb.263:
	s_and_b64 vcc, exec, s[0:1]
	s_cbranch_vccnz .LBB78_265
; %bb.264:
	v_cmp_eq_u32_e32 vcc, 1, v0
	s_waitcnt vmcnt(1)
	v_cndmask_b32_e32 v32, v3, v5, vcc
	v_cmp_eq_u32_e64 s[10:11], 2, v0
	v_cndmask_b32_e64 v32, v32, v7, s[10:11]
	v_cmp_eq_u32_e64 s[12:13], 3, v0
	v_cndmask_b32_e64 v32, v32, v9, s[12:13]
	;; [unrolled: 2-line block ×12, first 2 shown]
	v_cmp_eq_u32_e64 s[36:37], 14, v0
	s_waitcnt vmcnt(0)
	v_cndmask_b32_e64 v33, v32, v31, s[36:37]
	v_cndmask_b32_e32 v32, v2, v4, vcc
	v_cndmask_b32_e64 v32, v32, v6, s[10:11]
	v_cndmask_b32_e64 v32, v32, v8, s[12:13]
	;; [unrolled: 1-line block ×9, first 2 shown]
	ds_read_b64 v[34:35], v97
	v_cndmask_b32_e64 v32, v32, v24, s[28:29]
	v_cndmask_b32_e64 v32, v32, v26, s[30:31]
	;; [unrolled: 1-line block ×4, first 2 shown]
	s_waitcnt lgkmcnt(0)
	v_mul_f64 v[32:33], v[32:33], v[34:35]
	s_cbranch_execz .LBB78_266
	s_branch .LBB78_267
.LBB78_265:
                                        ; implicit-def: $vgpr32_vgpr33
.LBB78_266:
	ds_read_b64 v[32:33], v97
.LBB78_267:
	v_cmp_ne_u32_e32 vcc, 6, v0
	s_and_saveexec_b64 s[14:15], vcc
	s_cbranch_execz .LBB78_271
; %bb.268:
	v_mov_b32_e32 v34, 0x88
	v_lshl_add_u32 v37, v0, 3, v34
	s_mov_b64 s[16:17], 0
	v_pk_mov_b32 v[34:35], v[0:1], v[0:1] op_sel:[0,1]
.LBB78_269:                             ; =>This Inner Loop Header: Depth=1
	v_add_co_u32_e32 v34, vcc, 1, v34
	v_addc_co_u32_e32 v35, vcc, 0, v35, vcc
	v_cmp_eq_u32_e32 vcc, 1, v34
	s_waitcnt vmcnt(1)
	v_cndmask_b32_e32 v40, v3, v5, vcc
	v_cmp_eq_u32_e64 s[12:13], 2, v34
	v_cmp_lt_u32_e64 s[10:11], 5, v34
	v_cndmask_b32_e64 v40, v40, v7, s[12:13]
	v_cndmask_b32_e32 v41, v2, v4, vcc
	v_cmp_eq_u32_e32 vcc, 3, v34
	s_or_b64 s[16:17], s[10:11], s[16:17]
	v_cndmask_b32_e32 v40, v40, v9, vcc
	v_cndmask_b32_e64 v41, v41, v6, s[12:13]
	v_cmp_eq_u32_e64 s[10:11], 4, v34
	v_cndmask_b32_e64 v40, v40, v11, s[10:11]
	v_cndmask_b32_e32 v41, v41, v8, vcc
	v_cmp_eq_u32_e32 vcc, 5, v34
	v_cndmask_b32_e32 v40, v40, v13, vcc
	v_cndmask_b32_e64 v41, v41, v10, s[10:11]
	v_cmp_eq_u32_e64 s[10:11], 6, v34
	v_cndmask_b32_e64 v40, v40, v15, s[10:11]
	v_cndmask_b32_e32 v41, v41, v12, vcc
	v_cmp_eq_u32_e32 vcc, 7, v34
	;; [unrolled: 6-line block ×4, first 2 shown]
	ds_read_b64 v[38:39], v37
	v_cndmask_b32_e32 v40, v40, v25, vcc
	v_cndmask_b32_e64 v41, v41, v22, s[10:11]
	v_cmp_eq_u32_e64 s[10:11], 12, v34
	v_cndmask_b32_e64 v40, v40, v27, s[10:11]
	v_cndmask_b32_e32 v41, v41, v24, vcc
	v_cmp_eq_u32_e32 vcc, 13, v34
	v_cndmask_b32_e32 v40, v40, v29, vcc
	v_cndmask_b32_e64 v42, v41, v26, s[10:11]
	v_cmp_eq_u32_e64 s[10:11], 14, v34
	s_waitcnt vmcnt(0)
	v_cndmask_b32_e64 v41, v40, v31, s[10:11]
	v_cndmask_b32_e32 v40, v42, v28, vcc
	v_cndmask_b32_e64 v40, v40, v30, s[10:11]
	v_add_u32_e32 v37, 8, v37
	s_waitcnt lgkmcnt(0)
	v_fmac_f64_e32 v[32:33], v[40:41], v[38:39]
	s_andn2_b64 exec, exec, s[16:17]
	s_cbranch_execnz .LBB78_269
; %bb.270:
	s_or_b64 exec, exec, s[16:17]
.LBB78_271:
	s_or_b64 exec, exec, s[14:15]
	v_mov_b32_e32 v16, 0
	ds_read_b64 v[16:17], v16 offset:56
	s_waitcnt lgkmcnt(0)
	v_mul_f64 v[16:17], v[32:33], v[16:17]
.LBB78_272:
	s_or_b64 exec, exec, s[38:39]
	v_cmp_gt_u32_e32 vcc, 8, v0
	s_waitcnt vmcnt(7)
	ds_write_b64 v97, v[18:19]
	s_waitcnt lgkmcnt(0)
	; wave barrier
	s_waitcnt lgkmcnt(0)
	s_and_saveexec_b64 s[38:39], vcc
	s_cbranch_execz .LBB78_282
; %bb.273:
	s_and_b64 vcc, exec, s[0:1]
	s_cbranch_vccnz .LBB78_275
; %bb.274:
	v_cmp_eq_u32_e32 vcc, 1, v0
	s_waitcnt vmcnt(1)
	v_cndmask_b32_e32 v32, v3, v5, vcc
	v_cmp_eq_u32_e64 s[10:11], 2, v0
	v_cndmask_b32_e64 v32, v32, v7, s[10:11]
	v_cmp_eq_u32_e64 s[12:13], 3, v0
	v_cndmask_b32_e64 v32, v32, v9, s[12:13]
	;; [unrolled: 2-line block ×12, first 2 shown]
	v_cmp_eq_u32_e64 s[36:37], 14, v0
	s_waitcnt vmcnt(0)
	v_cndmask_b32_e64 v33, v32, v31, s[36:37]
	v_cndmask_b32_e32 v32, v2, v4, vcc
	v_cndmask_b32_e64 v32, v32, v6, s[10:11]
	v_cndmask_b32_e64 v32, v32, v8, s[12:13]
	;; [unrolled: 1-line block ×9, first 2 shown]
	ds_read_b64 v[34:35], v97
	v_cndmask_b32_e64 v32, v32, v24, s[28:29]
	v_cndmask_b32_e64 v32, v32, v26, s[30:31]
	;; [unrolled: 1-line block ×4, first 2 shown]
	s_waitcnt lgkmcnt(0)
	v_mul_f64 v[32:33], v[32:33], v[34:35]
	s_cbranch_execz .LBB78_276
	s_branch .LBB78_277
.LBB78_275:
                                        ; implicit-def: $vgpr32_vgpr33
.LBB78_276:
	ds_read_b64 v[32:33], v97
.LBB78_277:
	v_cmp_ne_u32_e32 vcc, 7, v0
	s_and_saveexec_b64 s[14:15], vcc
	s_cbranch_execz .LBB78_281
; %bb.278:
	v_mov_b32_e32 v34, 0x88
	v_lshl_add_u32 v37, v0, 3, v34
	s_mov_b64 s[16:17], 0
	v_pk_mov_b32 v[34:35], v[0:1], v[0:1] op_sel:[0,1]
.LBB78_279:                             ; =>This Inner Loop Header: Depth=1
	v_add_co_u32_e32 v34, vcc, 1, v34
	v_addc_co_u32_e32 v35, vcc, 0, v35, vcc
	v_cmp_eq_u32_e32 vcc, 1, v34
	s_waitcnt vmcnt(1)
	v_cndmask_b32_e32 v40, v3, v5, vcc
	v_cmp_eq_u32_e64 s[12:13], 2, v34
	v_cmp_lt_u32_e64 s[10:11], 6, v34
	v_cndmask_b32_e64 v40, v40, v7, s[12:13]
	v_cndmask_b32_e32 v41, v2, v4, vcc
	v_cmp_eq_u32_e32 vcc, 3, v34
	s_or_b64 s[16:17], s[10:11], s[16:17]
	v_cndmask_b32_e32 v40, v40, v9, vcc
	v_cndmask_b32_e64 v41, v41, v6, s[12:13]
	v_cmp_eq_u32_e64 s[10:11], 4, v34
	v_cndmask_b32_e64 v40, v40, v11, s[10:11]
	v_cndmask_b32_e32 v41, v41, v8, vcc
	v_cmp_eq_u32_e32 vcc, 5, v34
	v_cndmask_b32_e32 v40, v40, v13, vcc
	v_cndmask_b32_e64 v41, v41, v10, s[10:11]
	v_cmp_eq_u32_e64 s[10:11], 6, v34
	v_cndmask_b32_e64 v40, v40, v15, s[10:11]
	v_cndmask_b32_e32 v41, v41, v12, vcc
	v_cmp_eq_u32_e32 vcc, 7, v34
	;; [unrolled: 6-line block ×4, first 2 shown]
	ds_read_b64 v[38:39], v37
	v_cndmask_b32_e32 v40, v40, v25, vcc
	v_cndmask_b32_e64 v41, v41, v22, s[10:11]
	v_cmp_eq_u32_e64 s[10:11], 12, v34
	v_cndmask_b32_e64 v40, v40, v27, s[10:11]
	v_cndmask_b32_e32 v41, v41, v24, vcc
	v_cmp_eq_u32_e32 vcc, 13, v34
	v_cndmask_b32_e32 v40, v40, v29, vcc
	v_cndmask_b32_e64 v42, v41, v26, s[10:11]
	v_cmp_eq_u32_e64 s[10:11], 14, v34
	s_waitcnt vmcnt(0)
	v_cndmask_b32_e64 v41, v40, v31, s[10:11]
	v_cndmask_b32_e32 v40, v42, v28, vcc
	v_cndmask_b32_e64 v40, v40, v30, s[10:11]
	v_add_u32_e32 v37, 8, v37
	s_waitcnt lgkmcnt(0)
	v_fmac_f64_e32 v[32:33], v[40:41], v[38:39]
	s_andn2_b64 exec, exec, s[16:17]
	s_cbranch_execnz .LBB78_279
; %bb.280:
	s_or_b64 exec, exec, s[16:17]
.LBB78_281:
	s_or_b64 exec, exec, s[14:15]
	v_mov_b32_e32 v18, 0
	ds_read_b64 v[18:19], v18 offset:64
	s_waitcnt lgkmcnt(0)
	v_mul_f64 v[18:19], v[32:33], v[18:19]
.LBB78_282:
	s_or_b64 exec, exec, s[38:39]
	v_cmp_gt_u32_e32 vcc, 9, v0
	s_waitcnt vmcnt(6)
	ds_write_b64 v97, v[20:21]
	s_waitcnt lgkmcnt(0)
	; wave barrier
	s_waitcnt lgkmcnt(0)
	s_and_saveexec_b64 s[38:39], vcc
	s_cbranch_execz .LBB78_304
; %bb.283:
	s_and_b64 vcc, exec, s[0:1]
	s_cbranch_vccnz .LBB78_285
; %bb.284:
	v_cmp_eq_u32_e32 vcc, 1, v0
	s_waitcnt vmcnt(1)
	v_cndmask_b32_e32 v32, v3, v5, vcc
	v_cmp_eq_u32_e64 s[10:11], 2, v0
	v_cndmask_b32_e64 v32, v32, v7, s[10:11]
	v_cmp_eq_u32_e64 s[12:13], 3, v0
	v_cndmask_b32_e64 v32, v32, v9, s[12:13]
	;; [unrolled: 2-line block ×12, first 2 shown]
	v_cmp_eq_u32_e64 s[36:37], 14, v0
	s_waitcnt vmcnt(0)
	v_cndmask_b32_e64 v33, v32, v31, s[36:37]
	v_cndmask_b32_e32 v32, v2, v4, vcc
	v_cndmask_b32_e64 v32, v32, v6, s[10:11]
	v_cndmask_b32_e64 v32, v32, v8, s[12:13]
	;; [unrolled: 1-line block ×9, first 2 shown]
	ds_read_b64 v[34:35], v97
	v_cndmask_b32_e64 v32, v32, v24, s[28:29]
	v_cndmask_b32_e64 v32, v32, v26, s[30:31]
	;; [unrolled: 1-line block ×4, first 2 shown]
	s_waitcnt lgkmcnt(0)
	v_mul_f64 v[32:33], v[32:33], v[34:35]
	s_cbranch_execz .LBB78_286
	s_branch .LBB78_287
.LBB78_285:
                                        ; implicit-def: $vgpr32_vgpr33
.LBB78_286:
	ds_read_b64 v[32:33], v97
.LBB78_287:
	v_cmp_ne_u32_e32 vcc, 8, v0
	s_and_saveexec_b64 s[40:41], vcc
	s_cbranch_execz .LBB78_303
; %bb.288:
	v_cmp_eq_u32_e32 vcc, 1, v36
	s_waitcnt vmcnt(1)
	v_cndmask_b32_e32 v34, v3, v5, vcc
	v_cmp_eq_u32_e64 s[10:11], 2, v36
	v_cndmask_b32_e64 v34, v34, v7, s[10:11]
	v_cmp_eq_u32_e64 s[12:13], 3, v36
	v_cndmask_b32_e64 v34, v34, v9, s[12:13]
	;; [unrolled: 2-line block ×12, first 2 shown]
	v_cmp_eq_u32_e64 s[36:37], 14, v36
	s_waitcnt vmcnt(0)
	v_cndmask_b32_e64 v35, v34, v31, s[36:37]
	v_cndmask_b32_e32 v34, v2, v4, vcc
	v_cndmask_b32_e64 v34, v34, v6, s[10:11]
	v_cndmask_b32_e64 v34, v34, v8, s[12:13]
	;; [unrolled: 1-line block ×9, first 2 shown]
	ds_read_b64 v[36:37], v97 offset:8
	v_cndmask_b32_e64 v34, v34, v24, s[28:29]
	v_cndmask_b32_e64 v34, v34, v26, s[30:31]
	;; [unrolled: 1-line block ×4, first 2 shown]
	s_waitcnt lgkmcnt(0)
	v_fmac_f64_e32 v[32:33], v[34:35], v[36:37]
	s_and_saveexec_b64 s[36:37], s[8:9]
	s_cbranch_execz .LBB78_302
; %bb.289:
	v_add_u32_e32 v34, 2, v0
	v_cmp_eq_u32_e32 vcc, 1, v34
	v_cndmask_b32_e32 v35, v3, v5, vcc
	v_cmp_eq_u32_e64 s[8:9], 2, v34
	v_cmp_eq_u32_e64 s[10:11], 3, v34
	;; [unrolled: 1-line block ×13, first 2 shown]
	v_cndmask_b32_e32 v34, v2, v4, vcc
	v_cndmask_b32_e64 v35, v35, v7, s[8:9]
	v_cndmask_b32_e64 v34, v34, v6, s[8:9]
	;; [unrolled: 1-line block ×18, first 2 shown]
	ds_read_b64 v[36:37], v97 offset:16
	v_cndmask_b32_e64 v35, v35, v25, s[26:27]
	v_cndmask_b32_e64 v34, v34, v24, s[26:27]
	;; [unrolled: 1-line block ×8, first 2 shown]
	s_waitcnt lgkmcnt(0)
	v_fmac_f64_e32 v[32:33], v[34:35], v[36:37]
	v_cmp_ne_u32_e32 vcc, 6, v0
	s_and_saveexec_b64 s[42:43], vcc
	s_cbranch_execz .LBB78_301
; %bb.290:
	v_add_u32_e32 v34, 3, v0
	v_cmp_eq_u32_e32 vcc, 1, v34
	v_cndmask_b32_e32 v35, v3, v5, vcc
	v_cmp_eq_u32_e64 s[8:9], 2, v34
	v_cmp_eq_u32_e64 s[10:11], 3, v34
	;; [unrolled: 1-line block ×13, first 2 shown]
	v_cndmask_b32_e32 v34, v2, v4, vcc
	v_cndmask_b32_e64 v35, v35, v7, s[8:9]
	v_cndmask_b32_e64 v34, v34, v6, s[8:9]
	;; [unrolled: 1-line block ×18, first 2 shown]
	ds_read_b64 v[36:37], v97 offset:24
	v_cndmask_b32_e64 v35, v35, v25, s[26:27]
	v_cndmask_b32_e64 v34, v34, v24, s[26:27]
	v_cndmask_b32_e64 v35, v35, v27, s[28:29]
	v_cndmask_b32_e64 v34, v34, v26, s[28:29]
	v_cndmask_b32_e64 v35, v35, v29, s[30:31]
	v_cndmask_b32_e64 v34, v34, v28, s[30:31]
	v_cndmask_b32_e64 v35, v35, v31, s[34:35]
	v_cndmask_b32_e64 v34, v34, v30, s[34:35]
	s_waitcnt lgkmcnt(0)
	v_fmac_f64_e32 v[32:33], v[34:35], v[36:37]
	s_and_saveexec_b64 s[34:35], s[6:7]
	s_cbranch_execz .LBB78_300
; %bb.291:
	v_add_u32_e32 v34, 4, v0
	v_cmp_eq_u32_e32 vcc, 1, v34
	v_cndmask_b32_e32 v35, v3, v5, vcc
	v_cmp_eq_u32_e64 s[6:7], 2, v34
	v_cmp_eq_u32_e64 s[8:9], 3, v34
	;; [unrolled: 1-line block ×13, first 2 shown]
	v_cndmask_b32_e32 v34, v2, v4, vcc
	v_cndmask_b32_e64 v35, v35, v7, s[6:7]
	v_cndmask_b32_e64 v34, v34, v6, s[6:7]
	;; [unrolled: 1-line block ×18, first 2 shown]
	ds_read_b64 v[36:37], v97 offset:32
	v_cndmask_b32_e64 v35, v35, v25, s[24:25]
	v_cndmask_b32_e64 v34, v34, v24, s[24:25]
	;; [unrolled: 1-line block ×8, first 2 shown]
	s_waitcnt lgkmcnt(0)
	v_fmac_f64_e32 v[32:33], v[34:35], v[36:37]
	v_cmp_ne_u32_e32 vcc, 4, v0
	s_and_saveexec_b64 s[44:45], vcc
	s_cbranch_execz .LBB78_299
; %bb.292:
	v_add_u32_e32 v34, 5, v0
	v_cmp_eq_u32_e32 vcc, 1, v34
	v_cndmask_b32_e32 v35, v3, v5, vcc
	v_cmp_eq_u32_e64 s[6:7], 2, v34
	v_cmp_eq_u32_e64 s[8:9], 3, v34
	;; [unrolled: 1-line block ×13, first 2 shown]
	v_cndmask_b32_e32 v34, v2, v4, vcc
	v_cndmask_b32_e64 v35, v35, v7, s[6:7]
	v_cndmask_b32_e64 v34, v34, v6, s[6:7]
	;; [unrolled: 1-line block ×18, first 2 shown]
	ds_read_b64 v[36:37], v97 offset:40
	v_cndmask_b32_e64 v35, v35, v25, s[24:25]
	v_cndmask_b32_e64 v34, v34, v24, s[24:25]
	;; [unrolled: 1-line block ×8, first 2 shown]
	s_waitcnt lgkmcnt(0)
	v_fmac_f64_e32 v[32:33], v[34:35], v[36:37]
	s_and_saveexec_b64 s[30:31], s[4:5]
	s_cbranch_execz .LBB78_298
; %bb.293:
	v_add_u32_e32 v34, 6, v0
	v_cmp_eq_u32_e32 vcc, 1, v34
	v_cndmask_b32_e32 v35, v3, v5, vcc
	v_cmp_eq_u32_e64 s[4:5], 2, v34
	v_cmp_eq_u32_e64 s[6:7], 3, v34
	;; [unrolled: 1-line block ×13, first 2 shown]
	v_cndmask_b32_e32 v34, v2, v4, vcc
	v_cndmask_b32_e64 v35, v35, v7, s[4:5]
	v_cndmask_b32_e64 v34, v34, v6, s[4:5]
	;; [unrolled: 1-line block ×18, first 2 shown]
	ds_read_b64 v[36:37], v97 offset:48
	v_cndmask_b32_e64 v35, v35, v25, s[22:23]
	v_cndmask_b32_e64 v34, v34, v24, s[22:23]
	;; [unrolled: 1-line block ×8, first 2 shown]
	s_waitcnt lgkmcnt(0)
	v_fmac_f64_e32 v[32:33], v[34:35], v[36:37]
	v_cmp_ne_u32_e32 vcc, 2, v0
	s_and_saveexec_b64 s[46:47], vcc
	s_cbranch_execz .LBB78_297
; %bb.294:
	v_add_u32_e32 v34, 7, v0
	v_cmp_eq_u32_e32 vcc, 1, v34
	v_cndmask_b32_e32 v35, v3, v5, vcc
	v_cmp_eq_u32_e64 s[4:5], 2, v34
	v_cmp_eq_u32_e64 s[6:7], 3, v34
	;; [unrolled: 1-line block ×13, first 2 shown]
	v_cndmask_b32_e32 v34, v2, v4, vcc
	v_cndmask_b32_e64 v35, v35, v7, s[4:5]
	v_cndmask_b32_e64 v34, v34, v6, s[4:5]
	;; [unrolled: 1-line block ×18, first 2 shown]
	ds_read_b64 v[34:35], v97 offset:56
	v_cndmask_b32_e64 v21, v21, v25, s[22:23]
	v_cndmask_b32_e64 v20, v20, v24, s[22:23]
	;; [unrolled: 1-line block ×8, first 2 shown]
	s_waitcnt lgkmcnt(0)
	v_fmac_f64_e32 v[32:33], v[20:21], v[34:35]
	s_and_saveexec_b64 s[4:5], s[2:3]
	s_cbranch_execz .LBB78_296
; %bb.295:
	ds_read_b64 v[20:21], v97 offset:64
	s_waitcnt lgkmcnt(0)
	v_fmac_f64_e32 v[32:33], v[18:19], v[20:21]
.LBB78_296:
	s_or_b64 exec, exec, s[4:5]
.LBB78_297:
	s_or_b64 exec, exec, s[46:47]
.LBB78_298:
	s_or_b64 exec, exec, s[30:31]
.LBB78_299:
	s_or_b64 exec, exec, s[44:45]
.LBB78_300:
	s_or_b64 exec, exec, s[34:35]
.LBB78_301:
	s_or_b64 exec, exec, s[42:43]
.LBB78_302:
	s_or_b64 exec, exec, s[36:37]
.LBB78_303:
	s_or_b64 exec, exec, s[40:41]
	v_mov_b32_e32 v20, 0
	ds_read_b64 v[20:21], v20 offset:72
	s_waitcnt lgkmcnt(0)
	v_mul_f64 v[20:21], v[32:33], v[20:21]
.LBB78_304:
	s_or_b64 exec, exec, s[38:39]
	v_cmp_gt_u32_e32 vcc, 10, v0
	s_waitcnt vmcnt(5)
	ds_write_b64 v97, v[22:23]
	s_waitcnt lgkmcnt(0)
	; wave barrier
	s_waitcnt lgkmcnt(0)
	s_and_saveexec_b64 s[28:29], vcc
	s_cbranch_execz .LBB78_314
; %bb.305:
	s_and_b64 vcc, exec, s[0:1]
	s_cbranch_vccnz .LBB78_307
; %bb.306:
	v_cmp_eq_u32_e32 vcc, 1, v0
	s_waitcnt vmcnt(1)
	v_cndmask_b32_e32 v32, v3, v5, vcc
	v_cmp_eq_u32_e64 s[2:3], 2, v0
	v_cndmask_b32_e64 v32, v32, v7, s[2:3]
	v_cmp_eq_u32_e64 s[4:5], 3, v0
	v_cndmask_b32_e64 v32, v32, v9, s[4:5]
	;; [unrolled: 2-line block ×12, first 2 shown]
	v_cmp_eq_u32_e64 s[26:27], 14, v0
	s_waitcnt vmcnt(0)
	v_cndmask_b32_e64 v33, v32, v31, s[26:27]
	v_cndmask_b32_e32 v32, v2, v4, vcc
	v_cndmask_b32_e64 v32, v32, v6, s[2:3]
	v_cndmask_b32_e64 v32, v32, v8, s[4:5]
	;; [unrolled: 1-line block ×9, first 2 shown]
	ds_read_b64 v[34:35], v97
	v_cndmask_b32_e64 v32, v32, v24, s[20:21]
	v_cndmask_b32_e64 v32, v32, v26, s[22:23]
	;; [unrolled: 1-line block ×4, first 2 shown]
	s_waitcnt lgkmcnt(0)
	v_mul_f64 v[32:33], v[32:33], v[34:35]
	s_cbranch_execz .LBB78_308
	s_branch .LBB78_309
.LBB78_307:
                                        ; implicit-def: $vgpr32_vgpr33
.LBB78_308:
	ds_read_b64 v[32:33], v97
.LBB78_309:
	v_cmp_ne_u32_e32 vcc, 9, v0
	s_and_saveexec_b64 s[6:7], vcc
	s_cbranch_execz .LBB78_313
; %bb.310:
	v_mov_b32_e32 v34, 0x88
	v_lshl_add_u32 v36, v0, 3, v34
	s_mov_b64 s[8:9], 0
	v_pk_mov_b32 v[34:35], v[0:1], v[0:1] op_sel:[0,1]
.LBB78_311:                             ; =>This Inner Loop Header: Depth=1
	v_add_co_u32_e32 v34, vcc, 1, v34
	v_addc_co_u32_e32 v35, vcc, 0, v35, vcc
	v_cmp_eq_u32_e32 vcc, 1, v34
	s_waitcnt vmcnt(1)
	v_cndmask_b32_e32 v37, v3, v5, vcc
	v_cmp_eq_u32_e64 s[4:5], 2, v34
	v_cmp_lt_u32_e64 s[2:3], 8, v34
	v_cndmask_b32_e64 v37, v37, v7, s[4:5]
	v_cndmask_b32_e32 v40, v2, v4, vcc
	v_cmp_eq_u32_e32 vcc, 3, v34
	s_or_b64 s[8:9], s[2:3], s[8:9]
	v_cndmask_b32_e32 v37, v37, v9, vcc
	v_cndmask_b32_e64 v40, v40, v6, s[4:5]
	v_cmp_eq_u32_e64 s[2:3], 4, v34
	v_cndmask_b32_e64 v37, v37, v11, s[2:3]
	v_cndmask_b32_e32 v40, v40, v8, vcc
	v_cmp_eq_u32_e32 vcc, 5, v34
	v_cndmask_b32_e32 v37, v37, v13, vcc
	v_cndmask_b32_e64 v40, v40, v10, s[2:3]
	v_cmp_eq_u32_e64 s[2:3], 6, v34
	v_cndmask_b32_e64 v37, v37, v15, s[2:3]
	v_cndmask_b32_e32 v40, v40, v12, vcc
	v_cmp_eq_u32_e32 vcc, 7, v34
	;; [unrolled: 6-line block ×4, first 2 shown]
	ds_read_b64 v[38:39], v36
	v_cndmask_b32_e32 v37, v37, v25, vcc
	v_cndmask_b32_e64 v40, v40, v22, s[2:3]
	v_cmp_eq_u32_e64 s[2:3], 12, v34
	v_cndmask_b32_e64 v37, v37, v27, s[2:3]
	v_cndmask_b32_e32 v40, v40, v24, vcc
	v_cmp_eq_u32_e32 vcc, 13, v34
	v_cndmask_b32_e32 v37, v37, v29, vcc
	v_cndmask_b32_e64 v40, v40, v26, s[2:3]
	v_cmp_eq_u32_e64 s[2:3], 14, v34
	s_waitcnt vmcnt(0)
	v_cndmask_b32_e64 v41, v37, v31, s[2:3]
	v_cndmask_b32_e32 v37, v40, v28, vcc
	v_cndmask_b32_e64 v40, v37, v30, s[2:3]
	v_add_u32_e32 v36, 8, v36
	s_waitcnt lgkmcnt(0)
	v_fmac_f64_e32 v[32:33], v[40:41], v[38:39]
	s_andn2_b64 exec, exec, s[8:9]
	s_cbranch_execnz .LBB78_311
; %bb.312:
	s_or_b64 exec, exec, s[8:9]
.LBB78_313:
	s_or_b64 exec, exec, s[6:7]
	v_mov_b32_e32 v22, 0
	ds_read_b64 v[22:23], v22 offset:80
	s_waitcnt lgkmcnt(0)
	v_mul_f64 v[22:23], v[32:33], v[22:23]
.LBB78_314:
	s_or_b64 exec, exec, s[28:29]
	v_cmp_gt_u32_e32 vcc, 11, v0
	s_waitcnt vmcnt(4)
	ds_write_b64 v97, v[24:25]
	s_waitcnt lgkmcnt(0)
	; wave barrier
	s_waitcnt lgkmcnt(0)
	s_and_saveexec_b64 s[28:29], vcc
	s_cbranch_execz .LBB78_324
; %bb.315:
	s_and_b64 vcc, exec, s[0:1]
	s_cbranch_vccnz .LBB78_317
; %bb.316:
	v_cmp_eq_u32_e32 vcc, 1, v0
	s_waitcnt vmcnt(1)
	v_cndmask_b32_e32 v32, v3, v5, vcc
	v_cmp_eq_u32_e64 s[2:3], 2, v0
	v_cndmask_b32_e64 v32, v32, v7, s[2:3]
	v_cmp_eq_u32_e64 s[4:5], 3, v0
	v_cndmask_b32_e64 v32, v32, v9, s[4:5]
	;; [unrolled: 2-line block ×12, first 2 shown]
	v_cmp_eq_u32_e64 s[26:27], 14, v0
	s_waitcnt vmcnt(0)
	v_cndmask_b32_e64 v33, v32, v31, s[26:27]
	v_cndmask_b32_e32 v32, v2, v4, vcc
	v_cndmask_b32_e64 v32, v32, v6, s[2:3]
	v_cndmask_b32_e64 v32, v32, v8, s[4:5]
	;; [unrolled: 1-line block ×9, first 2 shown]
	ds_read_b64 v[34:35], v97
	v_cndmask_b32_e64 v32, v32, v24, s[20:21]
	v_cndmask_b32_e64 v32, v32, v26, s[22:23]
	v_cndmask_b32_e64 v32, v32, v28, s[24:25]
	v_cndmask_b32_e64 v32, v32, v30, s[26:27]
	s_waitcnt lgkmcnt(0)
	v_mul_f64 v[32:33], v[32:33], v[34:35]
	s_cbranch_execz .LBB78_318
	s_branch .LBB78_319
.LBB78_317:
                                        ; implicit-def: $vgpr32_vgpr33
.LBB78_318:
	ds_read_b64 v[32:33], v97
.LBB78_319:
	v_cmp_ne_u32_e32 vcc, 10, v0
	s_and_saveexec_b64 s[6:7], vcc
	s_cbranch_execz .LBB78_323
; %bb.320:
	v_mov_b32_e32 v34, 0x88
	v_lshl_add_u32 v36, v0, 3, v34
	s_mov_b64 s[8:9], 0
	v_pk_mov_b32 v[34:35], v[0:1], v[0:1] op_sel:[0,1]
.LBB78_321:                             ; =>This Inner Loop Header: Depth=1
	v_add_co_u32_e32 v34, vcc, 1, v34
	v_addc_co_u32_e32 v35, vcc, 0, v35, vcc
	v_cmp_eq_u32_e32 vcc, 1, v34
	s_waitcnt vmcnt(1)
	v_cndmask_b32_e32 v37, v3, v5, vcc
	v_cmp_eq_u32_e64 s[4:5], 2, v34
	v_cmp_lt_u32_e64 s[2:3], 9, v34
	v_cndmask_b32_e64 v37, v37, v7, s[4:5]
	v_cndmask_b32_e32 v40, v2, v4, vcc
	v_cmp_eq_u32_e32 vcc, 3, v34
	s_or_b64 s[8:9], s[2:3], s[8:9]
	v_cndmask_b32_e32 v37, v37, v9, vcc
	v_cndmask_b32_e64 v40, v40, v6, s[4:5]
	v_cmp_eq_u32_e64 s[2:3], 4, v34
	v_cndmask_b32_e64 v37, v37, v11, s[2:3]
	v_cndmask_b32_e32 v40, v40, v8, vcc
	v_cmp_eq_u32_e32 vcc, 5, v34
	v_cndmask_b32_e32 v37, v37, v13, vcc
	v_cndmask_b32_e64 v40, v40, v10, s[2:3]
	v_cmp_eq_u32_e64 s[2:3], 6, v34
	v_cndmask_b32_e64 v37, v37, v15, s[2:3]
	v_cndmask_b32_e32 v40, v40, v12, vcc
	v_cmp_eq_u32_e32 vcc, 7, v34
	;; [unrolled: 6-line block ×4, first 2 shown]
	ds_read_b64 v[38:39], v36
	v_cndmask_b32_e32 v37, v37, v25, vcc
	v_cndmask_b32_e64 v40, v40, v22, s[2:3]
	v_cmp_eq_u32_e64 s[2:3], 12, v34
	v_cndmask_b32_e64 v37, v37, v27, s[2:3]
	v_cndmask_b32_e32 v40, v40, v24, vcc
	v_cmp_eq_u32_e32 vcc, 13, v34
	v_cndmask_b32_e32 v37, v37, v29, vcc
	v_cndmask_b32_e64 v40, v40, v26, s[2:3]
	v_cmp_eq_u32_e64 s[2:3], 14, v34
	s_waitcnt vmcnt(0)
	v_cndmask_b32_e64 v41, v37, v31, s[2:3]
	v_cndmask_b32_e32 v37, v40, v28, vcc
	v_cndmask_b32_e64 v40, v37, v30, s[2:3]
	v_add_u32_e32 v36, 8, v36
	s_waitcnt lgkmcnt(0)
	v_fmac_f64_e32 v[32:33], v[40:41], v[38:39]
	s_andn2_b64 exec, exec, s[8:9]
	s_cbranch_execnz .LBB78_321
; %bb.322:
	s_or_b64 exec, exec, s[8:9]
.LBB78_323:
	s_or_b64 exec, exec, s[6:7]
	v_mov_b32_e32 v24, 0
	ds_read_b64 v[24:25], v24 offset:88
	s_waitcnt lgkmcnt(0)
	v_mul_f64 v[24:25], v[32:33], v[24:25]
.LBB78_324:
	s_or_b64 exec, exec, s[28:29]
	v_cmp_gt_u32_e32 vcc, 12, v0
	s_waitcnt vmcnt(3)
	ds_write_b64 v97, v[26:27]
	s_waitcnt lgkmcnt(0)
	; wave barrier
	s_waitcnt lgkmcnt(0)
	s_and_saveexec_b64 s[28:29], vcc
	s_cbranch_execz .LBB78_334
; %bb.325:
	s_and_b64 vcc, exec, s[0:1]
	s_cbranch_vccnz .LBB78_327
; %bb.326:
	v_cmp_eq_u32_e32 vcc, 1, v0
	s_waitcnt vmcnt(1)
	v_cndmask_b32_e32 v32, v3, v5, vcc
	v_cmp_eq_u32_e64 s[2:3], 2, v0
	v_cndmask_b32_e64 v32, v32, v7, s[2:3]
	v_cmp_eq_u32_e64 s[4:5], 3, v0
	v_cndmask_b32_e64 v32, v32, v9, s[4:5]
	;; [unrolled: 2-line block ×12, first 2 shown]
	v_cmp_eq_u32_e64 s[26:27], 14, v0
	s_waitcnt vmcnt(0)
	v_cndmask_b32_e64 v33, v32, v31, s[26:27]
	v_cndmask_b32_e32 v32, v2, v4, vcc
	v_cndmask_b32_e64 v32, v32, v6, s[2:3]
	v_cndmask_b32_e64 v32, v32, v8, s[4:5]
	;; [unrolled: 1-line block ×9, first 2 shown]
	ds_read_b64 v[34:35], v97
	v_cndmask_b32_e64 v32, v32, v24, s[20:21]
	v_cndmask_b32_e64 v32, v32, v26, s[22:23]
	;; [unrolled: 1-line block ×4, first 2 shown]
	s_waitcnt lgkmcnt(0)
	v_mul_f64 v[32:33], v[32:33], v[34:35]
	s_cbranch_execz .LBB78_328
	s_branch .LBB78_329
.LBB78_327:
                                        ; implicit-def: $vgpr32_vgpr33
.LBB78_328:
	ds_read_b64 v[32:33], v97
.LBB78_329:
	v_cmp_ne_u32_e32 vcc, 11, v0
	s_and_saveexec_b64 s[6:7], vcc
	s_cbranch_execz .LBB78_333
; %bb.330:
	v_mov_b32_e32 v34, 0x88
	v_lshl_add_u32 v36, v0, 3, v34
	s_mov_b64 s[8:9], 0
	v_pk_mov_b32 v[34:35], v[0:1], v[0:1] op_sel:[0,1]
.LBB78_331:                             ; =>This Inner Loop Header: Depth=1
	v_add_co_u32_e32 v34, vcc, 1, v34
	v_addc_co_u32_e32 v35, vcc, 0, v35, vcc
	v_cmp_eq_u32_e32 vcc, 1, v34
	s_waitcnt vmcnt(1)
	v_cndmask_b32_e32 v37, v3, v5, vcc
	v_cmp_eq_u32_e64 s[4:5], 2, v34
	v_cmp_lt_u32_e64 s[2:3], 10, v34
	v_cndmask_b32_e64 v37, v37, v7, s[4:5]
	v_cndmask_b32_e32 v40, v2, v4, vcc
	v_cmp_eq_u32_e32 vcc, 3, v34
	s_or_b64 s[8:9], s[2:3], s[8:9]
	v_cndmask_b32_e32 v37, v37, v9, vcc
	v_cndmask_b32_e64 v40, v40, v6, s[4:5]
	v_cmp_eq_u32_e64 s[2:3], 4, v34
	v_cndmask_b32_e64 v37, v37, v11, s[2:3]
	v_cndmask_b32_e32 v40, v40, v8, vcc
	v_cmp_eq_u32_e32 vcc, 5, v34
	v_cndmask_b32_e32 v37, v37, v13, vcc
	v_cndmask_b32_e64 v40, v40, v10, s[2:3]
	v_cmp_eq_u32_e64 s[2:3], 6, v34
	v_cndmask_b32_e64 v37, v37, v15, s[2:3]
	v_cndmask_b32_e32 v40, v40, v12, vcc
	v_cmp_eq_u32_e32 vcc, 7, v34
	;; [unrolled: 6-line block ×4, first 2 shown]
	ds_read_b64 v[38:39], v36
	v_cndmask_b32_e32 v37, v37, v25, vcc
	v_cndmask_b32_e64 v40, v40, v22, s[2:3]
	v_cmp_eq_u32_e64 s[2:3], 12, v34
	v_cndmask_b32_e64 v37, v37, v27, s[2:3]
	v_cndmask_b32_e32 v40, v40, v24, vcc
	v_cmp_eq_u32_e32 vcc, 13, v34
	v_cndmask_b32_e32 v37, v37, v29, vcc
	v_cndmask_b32_e64 v40, v40, v26, s[2:3]
	v_cmp_eq_u32_e64 s[2:3], 14, v34
	s_waitcnt vmcnt(0)
	v_cndmask_b32_e64 v41, v37, v31, s[2:3]
	v_cndmask_b32_e32 v37, v40, v28, vcc
	v_cndmask_b32_e64 v40, v37, v30, s[2:3]
	v_add_u32_e32 v36, 8, v36
	s_waitcnt lgkmcnt(0)
	v_fmac_f64_e32 v[32:33], v[40:41], v[38:39]
	s_andn2_b64 exec, exec, s[8:9]
	s_cbranch_execnz .LBB78_331
; %bb.332:
	s_or_b64 exec, exec, s[8:9]
.LBB78_333:
	s_or_b64 exec, exec, s[6:7]
	v_mov_b32_e32 v26, 0
	ds_read_b64 v[26:27], v26 offset:96
	s_waitcnt lgkmcnt(0)
	v_mul_f64 v[26:27], v[32:33], v[26:27]
.LBB78_334:
	s_or_b64 exec, exec, s[28:29]
	v_cmp_gt_u32_e64 s[2:3], 13, v0
	s_waitcnt vmcnt(2)
	ds_write_b64 v97, v[28:29]
	s_waitcnt lgkmcnt(0)
	; wave barrier
	s_waitcnt lgkmcnt(0)
	s_and_saveexec_b64 s[30:31], s[2:3]
	s_cbranch_execz .LBB78_344
; %bb.335:
	s_and_b64 vcc, exec, s[0:1]
	s_cbranch_vccnz .LBB78_337
; %bb.336:
	v_cmp_eq_u32_e32 vcc, 1, v0
	s_waitcnt vmcnt(1)
	v_cndmask_b32_e32 v32, v3, v5, vcc
	v_cmp_eq_u32_e64 s[4:5], 2, v0
	v_cndmask_b32_e64 v32, v32, v7, s[4:5]
	v_cmp_eq_u32_e64 s[6:7], 3, v0
	v_cndmask_b32_e64 v32, v32, v9, s[6:7]
	;; [unrolled: 2-line block ×12, first 2 shown]
	v_cmp_eq_u32_e64 s[28:29], 14, v0
	s_waitcnt vmcnt(0)
	v_cndmask_b32_e64 v33, v32, v31, s[28:29]
	v_cndmask_b32_e32 v32, v2, v4, vcc
	v_cndmask_b32_e64 v32, v32, v6, s[4:5]
	v_cndmask_b32_e64 v32, v32, v8, s[6:7]
	;; [unrolled: 1-line block ×9, first 2 shown]
	ds_read_b64 v[34:35], v97
	v_cndmask_b32_e64 v32, v32, v24, s[22:23]
	v_cndmask_b32_e64 v32, v32, v26, s[24:25]
	;; [unrolled: 1-line block ×4, first 2 shown]
	s_waitcnt lgkmcnt(0)
	v_mul_f64 v[32:33], v[32:33], v[34:35]
	s_cbranch_execz .LBB78_338
	s_branch .LBB78_339
.LBB78_337:
                                        ; implicit-def: $vgpr32_vgpr33
.LBB78_338:
	ds_read_b64 v[32:33], v97
.LBB78_339:
	v_cmp_ne_u32_e32 vcc, 12, v0
	s_and_saveexec_b64 s[8:9], vcc
	s_cbranch_execz .LBB78_343
; %bb.340:
	v_mov_b32_e32 v34, 0x88
	v_lshl_add_u32 v36, v0, 3, v34
	s_mov_b64 s[10:11], 0
	v_pk_mov_b32 v[34:35], v[0:1], v[0:1] op_sel:[0,1]
.LBB78_341:                             ; =>This Inner Loop Header: Depth=1
	v_add_co_u32_e32 v34, vcc, 1, v34
	v_addc_co_u32_e32 v35, vcc, 0, v35, vcc
	v_cmp_eq_u32_e32 vcc, 1, v34
	s_waitcnt vmcnt(1)
	v_cndmask_b32_e32 v37, v3, v5, vcc
	v_cmp_eq_u32_e64 s[6:7], 2, v34
	v_cmp_lt_u32_e64 s[4:5], 11, v34
	v_cndmask_b32_e64 v37, v37, v7, s[6:7]
	v_cndmask_b32_e32 v40, v2, v4, vcc
	v_cmp_eq_u32_e32 vcc, 3, v34
	s_or_b64 s[10:11], s[4:5], s[10:11]
	v_cndmask_b32_e32 v37, v37, v9, vcc
	v_cndmask_b32_e64 v40, v40, v6, s[6:7]
	v_cmp_eq_u32_e64 s[4:5], 4, v34
	v_cndmask_b32_e64 v37, v37, v11, s[4:5]
	v_cndmask_b32_e32 v40, v40, v8, vcc
	v_cmp_eq_u32_e32 vcc, 5, v34
	v_cndmask_b32_e32 v37, v37, v13, vcc
	v_cndmask_b32_e64 v40, v40, v10, s[4:5]
	v_cmp_eq_u32_e64 s[4:5], 6, v34
	v_cndmask_b32_e64 v37, v37, v15, s[4:5]
	v_cndmask_b32_e32 v40, v40, v12, vcc
	v_cmp_eq_u32_e32 vcc, 7, v34
	;; [unrolled: 6-line block ×4, first 2 shown]
	ds_read_b64 v[38:39], v36
	v_cndmask_b32_e32 v37, v37, v25, vcc
	v_cndmask_b32_e64 v40, v40, v22, s[4:5]
	v_cmp_eq_u32_e64 s[4:5], 12, v34
	v_cndmask_b32_e64 v37, v37, v27, s[4:5]
	v_cndmask_b32_e32 v40, v40, v24, vcc
	v_cmp_eq_u32_e32 vcc, 13, v34
	v_cndmask_b32_e32 v37, v37, v29, vcc
	v_cndmask_b32_e64 v40, v40, v26, s[4:5]
	v_cmp_eq_u32_e64 s[4:5], 14, v34
	s_waitcnt vmcnt(0)
	v_cndmask_b32_e64 v41, v37, v31, s[4:5]
	v_cndmask_b32_e32 v37, v40, v28, vcc
	v_cndmask_b32_e64 v40, v37, v30, s[4:5]
	v_add_u32_e32 v36, 8, v36
	s_waitcnt lgkmcnt(0)
	v_fmac_f64_e32 v[32:33], v[40:41], v[38:39]
	s_andn2_b64 exec, exec, s[10:11]
	s_cbranch_execnz .LBB78_341
; %bb.342:
	s_or_b64 exec, exec, s[10:11]
.LBB78_343:
	s_or_b64 exec, exec, s[8:9]
	v_mov_b32_e32 v28, 0
	ds_read_b64 v[28:29], v28 offset:104
	s_waitcnt lgkmcnt(0)
	v_mul_f64 v[28:29], v[32:33], v[28:29]
.LBB78_344:
	s_or_b64 exec, exec, s[30:31]
	v_cmp_ne_u32_e32 vcc, 14, v0
	s_waitcnt vmcnt(0)
	ds_write_b64 v97, v[30:31]
	s_waitcnt lgkmcnt(0)
	; wave barrier
	s_waitcnt lgkmcnt(0)
	s_and_saveexec_b64 s[28:29], vcc
	s_cbranch_execz .LBB78_354
; %bb.345:
	s_and_b64 vcc, exec, s[0:1]
	s_cbranch_vccnz .LBB78_347
; %bb.346:
	v_cmp_eq_u32_e32 vcc, 1, v0
	v_cndmask_b32_e32 v32, v3, v5, vcc
	v_cmp_eq_u32_e64 s[0:1], 2, v0
	v_cndmask_b32_e64 v32, v32, v7, s[0:1]
	v_cmp_eq_u32_e64 s[4:5], 3, v0
	v_cndmask_b32_e64 v32, v32, v9, s[4:5]
	;; [unrolled: 2-line block ×13, first 2 shown]
	v_cndmask_b32_e32 v32, v2, v4, vcc
	v_cndmask_b32_e64 v32, v32, v6, s[0:1]
	v_cndmask_b32_e64 v32, v32, v8, s[4:5]
	;; [unrolled: 1-line block ×9, first 2 shown]
	ds_read_b64 v[34:35], v97
	v_cndmask_b32_e64 v32, v32, v24, s[20:21]
	v_cndmask_b32_e64 v32, v32, v26, s[22:23]
	;; [unrolled: 1-line block ×4, first 2 shown]
	s_waitcnt lgkmcnt(0)
	v_mul_f64 v[32:33], v[32:33], v[34:35]
	s_cbranch_execz .LBB78_348
	s_branch .LBB78_349
.LBB78_347:
                                        ; implicit-def: $vgpr32_vgpr33
.LBB78_348:
	ds_read_b64 v[32:33], v97
.LBB78_349:
	s_and_saveexec_b64 s[4:5], s[2:3]
	s_cbranch_execz .LBB78_353
; %bb.350:
	v_mov_b32_e32 v34, 0x88
	v_lshl_add_u32 v34, v0, 3, v34
	s_mov_b64 s[6:7], 0
.LBB78_351:                             ; =>This Inner Loop Header: Depth=1
	v_add_co_u32_e32 v0, vcc, 1, v0
	v_addc_co_u32_e32 v1, vcc, 0, v1, vcc
	v_cmp_eq_u32_e32 vcc, 1, v0
	v_cndmask_b32_e32 v35, v3, v5, vcc
	v_cmp_eq_u32_e64 s[2:3], 2, v0
	v_cmp_lt_u32_e64 s[0:1], 12, v0
	v_cndmask_b32_e64 v35, v35, v7, s[2:3]
	v_cndmask_b32_e32 v38, v2, v4, vcc
	v_cmp_eq_u32_e32 vcc, 3, v0
	s_or_b64 s[6:7], s[0:1], s[6:7]
	v_cndmask_b32_e32 v35, v35, v9, vcc
	v_cndmask_b32_e64 v38, v38, v6, s[2:3]
	v_cmp_eq_u32_e64 s[0:1], 4, v0
	v_cndmask_b32_e64 v35, v35, v11, s[0:1]
	v_cndmask_b32_e32 v38, v38, v8, vcc
	v_cmp_eq_u32_e32 vcc, 5, v0
	v_cndmask_b32_e32 v35, v35, v13, vcc
	v_cndmask_b32_e64 v38, v38, v10, s[0:1]
	v_cmp_eq_u32_e64 s[0:1], 6, v0
	v_cndmask_b32_e64 v35, v35, v15, s[0:1]
	v_cndmask_b32_e32 v38, v38, v12, vcc
	v_cmp_eq_u32_e32 vcc, 7, v0
	;; [unrolled: 6-line block ×4, first 2 shown]
	ds_read_b64 v[36:37], v34
	v_cndmask_b32_e32 v35, v35, v25, vcc
	v_cndmask_b32_e64 v38, v38, v22, s[0:1]
	v_cmp_eq_u32_e64 s[0:1], 12, v0
	v_cndmask_b32_e64 v35, v35, v27, s[0:1]
	v_cndmask_b32_e32 v38, v38, v24, vcc
	v_cmp_eq_u32_e32 vcc, 13, v0
	v_cndmask_b32_e32 v35, v35, v29, vcc
	v_cndmask_b32_e64 v38, v38, v26, s[0:1]
	v_cmp_eq_u32_e64 s[0:1], 14, v0
	v_cndmask_b32_e64 v39, v35, v31, s[0:1]
	v_cndmask_b32_e32 v35, v38, v28, vcc
	v_cndmask_b32_e64 v38, v35, v30, s[0:1]
	v_add_u32_e32 v34, 8, v34
	s_waitcnt lgkmcnt(0)
	v_fmac_f64_e32 v[32:33], v[38:39], v[36:37]
	s_andn2_b64 exec, exec, s[6:7]
	s_cbranch_execnz .LBB78_351
; %bb.352:
	s_or_b64 exec, exec, s[6:7]
.LBB78_353:
	s_or_b64 exec, exec, s[4:5]
	v_mov_b32_e32 v0, 0
	ds_read_b64 v[0:1], v0 offset:112
	s_waitcnt lgkmcnt(0)
	v_mul_f64 v[30:31], v[32:33], v[0:1]
.LBB78_354:
	s_or_b64 exec, exec, s[28:29]
	v_pk_mov_b32 v[62:63], v[32:33], v[32:33] op_sel:[0,1]
	v_pk_mov_b32 v[60:61], v[30:31], v[30:31] op_sel:[0,1]
	;; [unrolled: 1-line block ×16, first 2 shown]
.LBB78_355:
	global_store_dwordx2 v[64:65], v[32:33], off
	global_store_dwordx2 v[66:67], v[34:35], off
	;; [unrolled: 1-line block ×15, first 2 shown]
.LBB78_356:
	s_endpgm
	.section	.rodata,"a",@progbits
	.p2align	6, 0x0
	.amdhsa_kernel _ZN9rocsolver6v33100L18trti2_kernel_smallILi15EdPKPdEEv13rocblas_fill_17rocblas_diagonal_T1_iil
		.amdhsa_group_segment_fixed_size 248
		.amdhsa_private_segment_fixed_size 0
		.amdhsa_kernarg_size 32
		.amdhsa_user_sgpr_count 6
		.amdhsa_user_sgpr_private_segment_buffer 1
		.amdhsa_user_sgpr_dispatch_ptr 0
		.amdhsa_user_sgpr_queue_ptr 0
		.amdhsa_user_sgpr_kernarg_segment_ptr 1
		.amdhsa_user_sgpr_dispatch_id 0
		.amdhsa_user_sgpr_flat_scratch_init 0
		.amdhsa_user_sgpr_kernarg_preload_length 0
		.amdhsa_user_sgpr_kernarg_preload_offset 0
		.amdhsa_user_sgpr_private_segment_size 0
		.amdhsa_uses_dynamic_stack 0
		.amdhsa_system_sgpr_private_segment_wavefront_offset 0
		.amdhsa_system_sgpr_workgroup_id_x 1
		.amdhsa_system_sgpr_workgroup_id_y 0
		.amdhsa_system_sgpr_workgroup_id_z 0
		.amdhsa_system_sgpr_workgroup_info 0
		.amdhsa_system_vgpr_workitem_id 0
		.amdhsa_next_free_vgpr 122
		.amdhsa_next_free_sgpr 48
		.amdhsa_accum_offset 124
		.amdhsa_reserve_vcc 1
		.amdhsa_reserve_flat_scratch 0
		.amdhsa_float_round_mode_32 0
		.amdhsa_float_round_mode_16_64 0
		.amdhsa_float_denorm_mode_32 3
		.amdhsa_float_denorm_mode_16_64 3
		.amdhsa_dx10_clamp 1
		.amdhsa_ieee_mode 1
		.amdhsa_fp16_overflow 0
		.amdhsa_tg_split 0
		.amdhsa_exception_fp_ieee_invalid_op 0
		.amdhsa_exception_fp_denorm_src 0
		.amdhsa_exception_fp_ieee_div_zero 0
		.amdhsa_exception_fp_ieee_overflow 0
		.amdhsa_exception_fp_ieee_underflow 0
		.amdhsa_exception_fp_ieee_inexact 0
		.amdhsa_exception_int_div_zero 0
	.end_amdhsa_kernel
	.section	.text._ZN9rocsolver6v33100L18trti2_kernel_smallILi15EdPKPdEEv13rocblas_fill_17rocblas_diagonal_T1_iil,"axG",@progbits,_ZN9rocsolver6v33100L18trti2_kernel_smallILi15EdPKPdEEv13rocblas_fill_17rocblas_diagonal_T1_iil,comdat
.Lfunc_end78:
	.size	_ZN9rocsolver6v33100L18trti2_kernel_smallILi15EdPKPdEEv13rocblas_fill_17rocblas_diagonal_T1_iil, .Lfunc_end78-_ZN9rocsolver6v33100L18trti2_kernel_smallILi15EdPKPdEEv13rocblas_fill_17rocblas_diagonal_T1_iil
                                        ; -- End function
	.section	.AMDGPU.csdata,"",@progbits
; Kernel info:
; codeLenInByte = 30384
; NumSgprs: 52
; NumVgprs: 122
; NumAgprs: 0
; TotalNumVgprs: 122
; ScratchSize: 0
; MemoryBound: 0
; FloatMode: 240
; IeeeMode: 1
; LDSByteSize: 248 bytes/workgroup (compile time only)
; SGPRBlocks: 6
; VGPRBlocks: 15
; NumSGPRsForWavesPerEU: 52
; NumVGPRsForWavesPerEU: 122
; AccumOffset: 124
; Occupancy: 4
; WaveLimiterHint : 1
; COMPUTE_PGM_RSRC2:SCRATCH_EN: 0
; COMPUTE_PGM_RSRC2:USER_SGPR: 6
; COMPUTE_PGM_RSRC2:TRAP_HANDLER: 0
; COMPUTE_PGM_RSRC2:TGID_X_EN: 1
; COMPUTE_PGM_RSRC2:TGID_Y_EN: 0
; COMPUTE_PGM_RSRC2:TGID_Z_EN: 0
; COMPUTE_PGM_RSRC2:TIDIG_COMP_CNT: 0
; COMPUTE_PGM_RSRC3_GFX90A:ACCUM_OFFSET: 30
; COMPUTE_PGM_RSRC3_GFX90A:TG_SPLIT: 0
	.section	.text._ZN9rocsolver6v33100L18trti2_kernel_smallILi16EdPKPdEEv13rocblas_fill_17rocblas_diagonal_T1_iil,"axG",@progbits,_ZN9rocsolver6v33100L18trti2_kernel_smallILi16EdPKPdEEv13rocblas_fill_17rocblas_diagonal_T1_iil,comdat
	.globl	_ZN9rocsolver6v33100L18trti2_kernel_smallILi16EdPKPdEEv13rocblas_fill_17rocblas_diagonal_T1_iil ; -- Begin function _ZN9rocsolver6v33100L18trti2_kernel_smallILi16EdPKPdEEv13rocblas_fill_17rocblas_diagonal_T1_iil
	.p2align	8
	.type	_ZN9rocsolver6v33100L18trti2_kernel_smallILi16EdPKPdEEv13rocblas_fill_17rocblas_diagonal_T1_iil,@function
_ZN9rocsolver6v33100L18trti2_kernel_smallILi16EdPKPdEEv13rocblas_fill_17rocblas_diagonal_T1_iil: ; @_ZN9rocsolver6v33100L18trti2_kernel_smallILi16EdPKPdEEv13rocblas_fill_17rocblas_diagonal_T1_iil
; %bb.0:
	v_cmp_gt_u32_e32 vcc, 16, v0
	s_and_saveexec_b64 s[0:1], vcc
	s_cbranch_execz .LBB79_382
; %bb.1:
	s_load_dwordx2 s[0:1], s[4:5], 0x10
	s_load_dwordx4 s[36:39], s[4:5], 0x0
	s_ashr_i32 s7, s6, 31
	s_lshl_b64 s[2:3], s[6:7], 3
	v_lshlrev_b32_e32 v36, 3, v0
	s_waitcnt lgkmcnt(0)
	s_ashr_i32 s5, s0, 31
	s_add_u32 s2, s38, s2
	s_addc_u32 s3, s39, s3
	s_load_dwordx2 s[2:3], s[2:3], 0x0
	s_mov_b32 s4, s0
	s_lshl_b64 s[4:5], s[4:5], 3
	v_mov_b32_e32 v34, 0
	v_mov_b32_e32 v35, 0xbff00000
	s_waitcnt lgkmcnt(0)
	s_add_u32 s2, s2, s4
	s_addc_u32 s3, s3, s5
	v_mov_b32_e32 v1, s3
	v_add_co_u32_e32 v66, vcc, s2, v36
	s_ashr_i32 s5, s1, 31
	s_mov_b32 s4, s1
	s_add_i32 s0, s1, s1
	v_addc_co_u32_e32 v67, vcc, 0, v1, vcc
	s_lshl_b64 s[4:5], s[4:5], 3
	v_add_u32_e32 v2, s0, v0
	v_mov_b32_e32 v1, s5
	v_add_co_u32_e32 v68, vcc, s4, v66
	v_ashrrev_i32_e32 v3, 31, v2
	v_addc_co_u32_e32 v69, vcc, v67, v1, vcc
	v_lshlrev_b64 v[4:5], 3, v[2:3]
	v_add_u32_e32 v2, s1, v2
	v_mov_b32_e32 v1, s3
	v_add_co_u32_e32 v70, vcc, s2, v4
	v_ashrrev_i32_e32 v3, 31, v2
	v_addc_co_u32_e32 v71, vcc, v1, v5, vcc
	v_lshlrev_b64 v[4:5], 3, v[2:3]
	v_add_u32_e32 v2, s1, v2
	v_add_co_u32_e32 v72, vcc, s2, v4
	v_ashrrev_i32_e32 v3, 31, v2
	v_addc_co_u32_e32 v73, vcc, v1, v5, vcc
	v_lshlrev_b64 v[4:5], 3, v[2:3]
	v_add_u32_e32 v2, s1, v2
	;; [unrolled: 5-line block ×12, first 2 shown]
	v_add_co_u32_e32 v94, vcc, s2, v4
	v_ashrrev_i32_e32 v3, 31, v2
	v_addc_co_u32_e32 v95, vcc, v1, v5, vcc
	v_lshlrev_b64 v[2:3], 3, v[2:3]
	v_add_co_u32_e32 v96, vcc, s2, v2
	v_addc_co_u32_e32 v97, vcc, v1, v3, vcc
	global_load_dwordx2 v[4:5], v[68:69], off
	global_load_dwordx2 v[6:7], v[70:71], off
	;; [unrolled: 1-line block ×14, first 2 shown]
	global_load_dwordx2 v[2:3], v36, s[2:3]
                                        ; kill: killed $sgpr2 killed $sgpr3
	global_load_dwordx2 v[32:33], v[96:97], off
	s_cmpk_lg_i32 s37, 0x84
	v_mov_b32_e32 v1, 0
	s_cselect_b64 s[34:35], -1, 0
	s_cmpk_eq_i32 s37, 0x84
	v_cmp_eq_u32_e64 s[0:1], 0, v0
	s_cbranch_scc1 .LBB79_3
; %bb.2:
	v_cmp_eq_u32_e64 s[2:3], 1, v0
	s_waitcnt vmcnt(1)
	v_cndmask_b32_e64 v34, v3, v5, s[2:3]
	v_cmp_eq_u32_e64 s[4:5], 2, v0
	v_cndmask_b32_e64 v34, v34, v7, s[4:5]
	v_cmp_eq_u32_e64 s[6:7], 3, v0
	;; [unrolled: 2-line block ×14, first 2 shown]
	s_waitcnt vmcnt(0)
	v_cndmask_b32_e64 v35, v34, v33, s[30:31]
	v_cndmask_b32_e64 v34, v2, v4, s[2:3]
	;; [unrolled: 1-line block ×16, first 2 shown]
	v_div_scale_f64 v[38:39], s[38:39], v[34:35], v[34:35], 1.0
	v_rcp_f64_e32 v[40:41], v[38:39]
	v_fma_f64 v[42:43], -v[38:39], v[40:41], 1.0
	v_fmac_f64_e32 v[40:41], v[40:41], v[42:43]
	v_fma_f64 v[42:43], -v[38:39], v[40:41], 1.0
	v_fmac_f64_e32 v[40:41], v[40:41], v[42:43]
	v_div_scale_f64 v[42:43], vcc, 1.0, v[34:35], 1.0
	v_mul_f64 v[44:45], v[42:43], v[40:41]
	v_fma_f64 v[38:39], -v[38:39], v[44:45], v[42:43]
	s_nop 1
	v_div_fmas_f64 v[38:39], v[38:39], v[40:41], v[44:45]
	v_div_fixup_f64 v[34:35], v[38:39], v[34:35], 1.0
	v_cndmask_b32_e64 v33, v33, v35, s[30:31]
	v_cndmask_b32_e64 v32, v32, v34, s[30:31]
	;; [unrolled: 1-line block ×32, first 2 shown]
	v_xor_b32_e32 v35, 0x80000000, v35
.LBB79_3:
	s_cmpk_eq_i32 s36, 0x79
	v_add_u32_e32 v103, 0x80, v36
	ds_write_b64 v36, v[34:35]
	s_cbranch_scc1 .LBB79_7
; %bb.4:
	s_waitcnt vmcnt(0)
	v_pk_mov_b32 v[64:65], v[32:33], v[32:33] op_sel:[0,1]
	v_cmp_eq_u32_e64 s[0:1], 15, v0
	v_pk_mov_b32 v[62:63], v[30:31], v[30:31] op_sel:[0,1]
	v_pk_mov_b32 v[60:61], v[28:29], v[28:29] op_sel:[0,1]
	;; [unrolled: 1-line block ×15, first 2 shown]
	ds_write_b64 v103, v[30:31]
	s_waitcnt lgkmcnt(0)
	; wave barrier
	s_waitcnt lgkmcnt(0)
	s_and_saveexec_b64 s[30:31], s[0:1]
	s_cbranch_execz .LBB79_11
; %bb.5:
	s_and_b64 vcc, exec, s[34:35]
	s_cbranch_vccz .LBB79_8
; %bb.6:
	v_cmp_eq_u32_e32 vcc, 1, v0
	v_cndmask_b32_e32 v34, v3, v5, vcc
	v_cmp_eq_u32_e64 s[2:3], 2, v0
	v_cndmask_b32_e64 v34, v34, v7, s[2:3]
	v_cmp_eq_u32_e64 s[4:5], 3, v0
	v_cndmask_b32_e64 v34, v34, v9, s[4:5]
	;; [unrolled: 2-line block ×14, first 2 shown]
	v_cndmask_b32_e32 v34, v2, v4, vcc
	v_cndmask_b32_e64 v34, v34, v6, s[2:3]
	v_cndmask_b32_e64 v34, v34, v8, s[4:5]
	;; [unrolled: 1-line block ×10, first 2 shown]
	ds_read_b64 v[36:37], v103
	v_cndmask_b32_e64 v34, v34, v26, s[22:23]
	v_cndmask_b32_e64 v34, v34, v28, s[24:25]
	;; [unrolled: 1-line block ×4, first 2 shown]
	s_waitcnt lgkmcnt(0)
	v_mul_f64 v[98:99], v[34:35], v[36:37]
	s_cbranch_execz .LBB79_9
	s_branch .LBB79_10
.LBB79_7:
                                        ; implicit-def: $vgpr34_vgpr35_vgpr36_vgpr37_vgpr38_vgpr39_vgpr40_vgpr41_vgpr42_vgpr43_vgpr44_vgpr45_vgpr46_vgpr47_vgpr48_vgpr49_vgpr50_vgpr51_vgpr52_vgpr53_vgpr54_vgpr55_vgpr56_vgpr57_vgpr58_vgpr59_vgpr60_vgpr61_vgpr62_vgpr63_vgpr64_vgpr65
	s_cbranch_execnz .LBB79_226
	s_branch .LBB79_381
.LBB79_8:
                                        ; implicit-def: $vgpr98_vgpr99
.LBB79_9:
	ds_read_b64 v[98:99], v103
.LBB79_10:
	v_mov_b32_e32 v34, 0
	ds_read_b64 v[100:101], v34 offset:112
	v_pk_mov_b32 v[64:65], v[32:33], v[32:33] op_sel:[0,1]
	v_pk_mov_b32 v[62:63], v[30:31], v[30:31] op_sel:[0,1]
	;; [unrolled: 1-line block ×16, first 2 shown]
	s_waitcnt lgkmcnt(0)
	v_mul_f64 v[62:63], v[98:99], v[100:101]
.LBB79_11:
	s_or_b64 exec, exec, s[30:31]
	v_cmp_lt_u32_e64 s[2:3], 13, v0
	ds_write_b64 v103, v[60:61]
	s_waitcnt lgkmcnt(0)
	; wave barrier
	s_waitcnt lgkmcnt(0)
	s_and_saveexec_b64 s[36:37], s[2:3]
	s_cbranch_execz .LBB79_17
; %bb.12:
	s_andn2_b64 vcc, exec, s[34:35]
	s_cbranch_vccnz .LBB79_14
; %bb.13:
	v_cmp_eq_u32_e32 vcc, 1, v0
	v_cndmask_b32_e32 v98, v35, v37, vcc
	v_cmp_eq_u32_e64 s[4:5], 2, v0
	v_cndmask_b32_e64 v98, v98, v39, s[4:5]
	v_cmp_eq_u32_e64 s[6:7], 3, v0
	v_cndmask_b32_e64 v98, v98, v41, s[6:7]
	;; [unrolled: 2-line block ×12, first 2 shown]
	v_cndmask_b32_e32 v98, v34, v36, vcc
	v_cndmask_b32_e64 v98, v98, v38, s[4:5]
	v_cndmask_b32_e64 v98, v98, v40, s[6:7]
	;; [unrolled: 1-line block ×10, first 2 shown]
	ds_read_b64 v[98:99], v103
	v_cndmask_b32_e64 v100, v100, v58, s[24:25]
	v_cmp_eq_u32_e64 s[28:29], 14, v0
	v_cndmask_b32_e64 v60, v100, v60, s[26:27]
	v_cndmask_b32_e64 v61, v61, v63, s[28:29]
	v_cmp_eq_u32_e64 s[30:31], 15, v0
	v_cndmask_b32_e64 v60, v60, v62, s[28:29]
	v_cndmask_b32_e64 v61, v61, v65, s[30:31]
	;; [unrolled: 1-line block ×3, first 2 shown]
	s_waitcnt lgkmcnt(0)
	v_mul_f64 v[60:61], v[60:61], v[98:99]
	s_cbranch_execz .LBB79_15
	s_branch .LBB79_16
.LBB79_14:
                                        ; implicit-def: $vgpr60_vgpr61
.LBB79_15:
	ds_read_b64 v[60:61], v103
.LBB79_16:
	v_mov_b32_e32 v98, 0
	ds_read2_b64 v[98:101], v98 offset0:13 offset1:30
	s_waitcnt lgkmcnt(0)
	v_fma_f64 v[100:101], v[62:63], v[100:101], v[60:61]
	v_cndmask_b32_e64 v61, v61, v101, s[0:1]
	v_cndmask_b32_e64 v60, v60, v100, s[0:1]
	v_mul_f64 v[60:61], v[60:61], v[98:99]
.LBB79_17:
	s_or_b64 exec, exec, s[36:37]
	v_cmp_lt_u32_e64 s[0:1], 12, v0
	ds_write_b64 v103, v[58:59]
	s_waitcnt lgkmcnt(0)
	; wave barrier
	s_waitcnt lgkmcnt(0)
	s_and_saveexec_b64 s[36:37], s[0:1]
	s_cbranch_execz .LBB79_33
; %bb.18:
	s_andn2_b64 vcc, exec, s[34:35]
	s_cbranch_vccnz .LBB79_20
; %bb.19:
	v_cmp_eq_u32_e32 vcc, 1, v0
	v_cndmask_b32_e32 v98, v35, v37, vcc
	v_cmp_eq_u32_e64 s[4:5], 2, v0
	v_cndmask_b32_e64 v98, v98, v39, s[4:5]
	v_cmp_eq_u32_e64 s[6:7], 3, v0
	v_cndmask_b32_e64 v98, v98, v41, s[6:7]
	;; [unrolled: 2-line block ×14, first 2 shown]
	v_cndmask_b32_e32 v98, v34, v36, vcc
	v_cndmask_b32_e64 v98, v98, v38, s[4:5]
	v_cndmask_b32_e64 v98, v98, v40, s[6:7]
	;; [unrolled: 1-line block ×10, first 2 shown]
	ds_read_b64 v[100:101], v103
	v_cndmask_b32_e64 v98, v98, v58, s[24:25]
	v_cndmask_b32_e64 v98, v98, v60, s[26:27]
	;; [unrolled: 1-line block ×4, first 2 shown]
	s_waitcnt lgkmcnt(0)
	v_mul_f64 v[98:99], v[98:99], v[100:101]
	s_cbranch_execz .LBB79_21
	s_branch .LBB79_22
.LBB79_20:
                                        ; implicit-def: $vgpr98_vgpr99
.LBB79_21:
	ds_read_b64 v[98:99], v103
.LBB79_22:
	s_and_saveexec_b64 s[6:7], s[2:3]
	s_cbranch_execz .LBB79_32
; %bb.23:
	v_add_u32_e32 v100, -14, v0
	v_add_u32_e32 v101, -13, v0
	v_cmp_lt_u32_e32 vcc, 6, v100
	v_mov_b32_e32 v100, 13
	s_and_saveexec_b64 s[2:3], vcc
	s_cbranch_execz .LBB79_27
; %bb.24:
	v_and_b32_e32 v100, -8, v101
	v_sub_u32_e32 v102, 0, v100
	s_mov_b64 s[4:5], 20
	s_movk_i32 s10, 0xe8
	s_mov_b64 s[8:9], 0
.LBB79_25:                              ; =>This Inner Loop Header: Depth=1
	s_lshl_b32 s11, s4, 1
	s_add_i32 s12, s11, -13
	v_mov_b32_e32 v118, s10
	s_add_i32 s13, s11, -14
	s_set_gpr_idx_on s12, gpr_idx(SRC0)
	v_mov_b32_e32 v113, v34
	s_set_gpr_idx_off
	s_add_i32 s14, s11, -11
	s_set_gpr_idx_on s13, gpr_idx(SRC0)
	v_mov_b32_e32 v112, v34
	s_set_gpr_idx_off
	ds_read2_b64 v[104:107], v118 offset1:1
	s_add_i32 s15, s11, -12
	s_set_gpr_idx_on s14, gpr_idx(SRC0)
	v_mov_b32_e32 v115, v34
	s_set_gpr_idx_off
	s_add_i32 s16, s11, -9
	s_set_gpr_idx_on s15, gpr_idx(SRC0)
	v_mov_b32_e32 v114, v34
	s_set_gpr_idx_off
	;; [unrolled: 4-line block ×4, first 2 shown]
	ds_read2_b64 v[108:111], v118 offset0:2 offset1:3
	s_add_i32 s19, s11, -8
	s_waitcnt lgkmcnt(1)
	v_fmac_f64_e32 v[98:99], v[112:113], v[104:105]
	s_set_gpr_idx_on s18, gpr_idx(SRC0)
	v_mov_b32_e32 v113, v34
	s_set_gpr_idx_off
	s_add_i32 s20, s11, -5
	v_fmac_f64_e32 v[98:99], v[114:115], v[106:107]
	s_set_gpr_idx_on s19, gpr_idx(SRC0)
	v_mov_b32_e32 v112, v34
	s_set_gpr_idx_off
	s_add_i32 s21, s11, -6
	s_set_gpr_idx_on s20, gpr_idx(SRC0)
	v_mov_b32_e32 v115, v34
	s_set_gpr_idx_off
	s_add_i32 s22, s11, -3
	;; [unrolled: 4-line block ×3, first 2 shown]
	ds_read2_b64 v[104:107], v118 offset0:4 offset1:5
	s_waitcnt lgkmcnt(1)
	v_fmac_f64_e32 v[98:99], v[116:117], v[108:109]
	s_set_gpr_idx_on s22, gpr_idx(SRC0)
	v_mov_b32_e32 v117, v34
	s_set_gpr_idx_off
	s_add_i32 s24, s11, -1
	v_fmac_f64_e32 v[98:99], v[112:113], v[110:111]
	s_set_gpr_idx_on s23, gpr_idx(SRC0)
	v_mov_b32_e32 v116, v34
	s_set_gpr_idx_off
	s_add_i32 s25, s11, -2
	s_set_gpr_idx_on s24, gpr_idx(SRC0)
	v_mov_b32_e32 v113, v34
	s_set_gpr_idx_off
	s_set_gpr_idx_on s25, gpr_idx(SRC0)
	v_mov_b32_e32 v112, v34
	s_set_gpr_idx_off
	ds_read2_b64 v[108:111], v118 offset0:6 offset1:7
	s_add_u32 s4, s4, 8
	s_waitcnt lgkmcnt(1)
	v_fmac_f64_e32 v[98:99], v[114:115], v[104:105]
	s_set_gpr_idx_on s11, gpr_idx(SRC0)
	v_mov_b32_e32 v105, v35
	s_set_gpr_idx_off
	v_add_u32_e32 v100, s4, v102
	v_fmac_f64_e32 v[98:99], v[116:117], v[106:107]
	s_set_gpr_idx_on s11, gpr_idx(SRC0)
	v_mov_b32_e32 v104, v34
	s_set_gpr_idx_off
	s_addc_u32 s5, s5, 0
	s_add_i32 s10, s10, 64
	s_add_i32 s12, s4, -7
	v_cmp_eq_u32_e32 vcc, 20, v100
	s_waitcnt lgkmcnt(0)
	v_fmac_f64_e32 v[98:99], v[112:113], v[108:109]
	v_mov_b32_e32 v100, s12
	s_or_b64 s[8:9], vcc, s[8:9]
	v_fmac_f64_e32 v[98:99], v[104:105], v[110:111]
	s_andn2_b64 exec, exec, s[8:9]
	s_cbranch_execnz .LBB79_25
; %bb.26:
	s_or_b64 exec, exec, s[8:9]
.LBB79_27:
	s_or_b64 exec, exec, s[2:3]
	v_and_b32_e32 v102, 7, v101
	v_cmp_ne_u32_e32 vcc, 0, v102
	s_and_saveexec_b64 s[8:9], vcc
	s_cbranch_execz .LBB79_31
; %bb.28:
	v_mov_b32_e32 v101, 0x80
	v_lshl_add_u32 v104, v100, 3, v101
	v_mov_b32_e32 v101, 0
	s_mov_b64 s[10:11], 0
.LBB79_29:                              ; =>This Inner Loop Header: Depth=1
	v_cmp_eq_u32_e32 vcc, 1, v100
	v_cndmask_b32_e32 v105, v35, v37, vcc
	v_add_u32_e32 v102, -1, v102
	v_cmp_eq_u32_e64 s[2:3], 2, v100
	v_cndmask_b32_e64 v105, v105, v39, s[2:3]
	v_cndmask_b32_e32 v108, v34, v36, vcc
	v_cmp_eq_u32_e32 vcc, 0, v102
	v_cmp_eq_u32_e64 s[4:5], 3, v100
	v_cndmask_b32_e64 v105, v105, v41, s[4:5]
	v_cndmask_b32_e64 v108, v108, v38, s[2:3]
	s_or_b64 s[10:11], vcc, s[10:11]
	v_cmp_eq_u32_e32 vcc, 4, v100
	v_cndmask_b32_e32 v105, v105, v43, vcc
	v_cndmask_b32_e64 v108, v108, v40, s[4:5]
	v_cmp_eq_u32_e64 s[2:3], 5, v100
	v_cndmask_b32_e64 v105, v105, v45, s[2:3]
	v_cndmask_b32_e32 v108, v108, v42, vcc
	v_cmp_eq_u32_e32 vcc, 6, v100
	v_cndmask_b32_e32 v105, v105, v47, vcc
	v_cndmask_b32_e64 v108, v108, v44, s[2:3]
	v_cmp_eq_u32_e64 s[2:3], 7, v100
	v_cndmask_b32_e64 v105, v105, v49, s[2:3]
	v_cndmask_b32_e32 v108, v108, v46, vcc
	;; [unrolled: 6-line block ×4, first 2 shown]
	v_cmp_eq_u32_e32 vcc, 12, v100
	ds_read_b64 v[106:107], v104
	v_cndmask_b32_e32 v105, v105, v59, vcc
	v_cndmask_b32_e64 v108, v108, v56, s[2:3]
	v_cmp_eq_u32_e64 s[2:3], 13, v100
	v_cndmask_b32_e64 v105, v105, v61, s[2:3]
	v_cndmask_b32_e32 v108, v108, v58, vcc
	v_cmp_eq_u32_e32 vcc, 14, v100
	v_cndmask_b32_e32 v105, v105, v63, vcc
	v_cmp_eq_u32_e64 s[4:5], 15, v100
	v_cndmask_b32_e64 v108, v108, v60, s[2:3]
	v_cndmask_b32_e64 v109, v105, v65, s[4:5]
	v_cndmask_b32_e32 v105, v108, v62, vcc
	v_add_co_u32_e64 v100, s[2:3], 1, v100
	v_cndmask_b32_e64 v108, v105, v64, s[4:5]
	v_add_u32_e32 v104, 8, v104
	v_addc_co_u32_e64 v101, s[2:3], 0, v101, s[2:3]
	s_waitcnt lgkmcnt(0)
	v_fmac_f64_e32 v[98:99], v[108:109], v[106:107]
	s_andn2_b64 exec, exec, s[10:11]
	s_cbranch_execnz .LBB79_29
; %bb.30:
	s_or_b64 exec, exec, s[10:11]
.LBB79_31:
	s_or_b64 exec, exec, s[8:9]
.LBB79_32:
	s_or_b64 exec, exec, s[6:7]
	v_mov_b32_e32 v58, 0
	ds_read_b64 v[58:59], v58 offset:96
	s_waitcnt lgkmcnt(0)
	v_mul_f64 v[58:59], v[98:99], v[58:59]
.LBB79_33:
	s_or_b64 exec, exec, s[36:37]
	v_cmp_lt_u32_e64 s[2:3], 11, v0
	ds_write_b64 v103, v[56:57]
	s_waitcnt lgkmcnt(0)
	; wave barrier
	s_waitcnt lgkmcnt(0)
	s_and_saveexec_b64 s[36:37], s[2:3]
	s_cbranch_execz .LBB79_49
; %bb.34:
	s_andn2_b64 vcc, exec, s[34:35]
	s_cbranch_vccnz .LBB79_36
; %bb.35:
	v_cmp_eq_u32_e32 vcc, 1, v0
	v_cndmask_b32_e32 v98, v35, v37, vcc
	v_cmp_eq_u32_e64 s[4:5], 2, v0
	v_cndmask_b32_e64 v98, v98, v39, s[4:5]
	v_cmp_eq_u32_e64 s[6:7], 3, v0
	v_cndmask_b32_e64 v98, v98, v41, s[6:7]
	;; [unrolled: 2-line block ×14, first 2 shown]
	v_cndmask_b32_e32 v98, v34, v36, vcc
	v_cndmask_b32_e64 v98, v98, v38, s[4:5]
	v_cndmask_b32_e64 v98, v98, v40, s[6:7]
	;; [unrolled: 1-line block ×10, first 2 shown]
	ds_read_b64 v[100:101], v103
	v_cndmask_b32_e64 v98, v98, v58, s[24:25]
	v_cndmask_b32_e64 v98, v98, v60, s[26:27]
	;; [unrolled: 1-line block ×4, first 2 shown]
	s_waitcnt lgkmcnt(0)
	v_mul_f64 v[98:99], v[98:99], v[100:101]
	s_cbranch_execz .LBB79_37
	s_branch .LBB79_38
.LBB79_36:
                                        ; implicit-def: $vgpr98_vgpr99
.LBB79_37:
	ds_read_b64 v[98:99], v103
.LBB79_38:
	s_and_saveexec_b64 s[6:7], s[0:1]
	s_cbranch_execz .LBB79_48
; %bb.39:
	v_add_u32_e32 v100, -13, v0
	v_add_u32_e32 v101, -12, v0
	v_cmp_lt_u32_e32 vcc, 6, v100
	v_mov_b32_e32 v100, 12
	s_and_saveexec_b64 s[0:1], vcc
	s_cbranch_execz .LBB79_43
; %bb.40:
	v_and_b32_e32 v100, -8, v101
	v_sub_u32_e32 v102, 0, v100
	s_mov_b64 s[4:5], 19
	s_movk_i32 s10, 0xe0
	s_mov_b64 s[8:9], 0
.LBB79_41:                              ; =>This Inner Loop Header: Depth=1
	s_lshl_b32 s11, s4, 1
	s_add_i32 s12, s11, -13
	s_add_i32 s13, s11, -14
	s_set_gpr_idx_on s12, gpr_idx(SRC0)
	v_mov_b32_e32 v121, v34
	s_set_gpr_idx_off
	v_mov_b32_e32 v100, s10
	s_add_i32 s14, s11, -11
	s_set_gpr_idx_on s13, gpr_idx(SRC0)
	v_mov_b32_e32 v120, v34
	s_set_gpr_idx_off
	s_add_i32 s15, s11, -12
	ds_read_b128 v[104:107], v100
	ds_read_b128 v[108:111], v100 offset:16
	ds_read_b128 v[112:115], v100 offset:32
	;; [unrolled: 1-line block ×3, first 2 shown]
	s_set_gpr_idx_on s14, gpr_idx(SRC0)
	v_mov_b32_e32 v123, v34
	s_set_gpr_idx_off
	s_add_i32 s16, s11, -9
	s_set_gpr_idx_on s15, gpr_idx(SRC0)
	v_mov_b32_e32 v122, v34
	s_set_gpr_idx_off
	s_add_i32 s17, s11, -10
	;; [unrolled: 4-line block ×4, first 2 shown]
	s_waitcnt lgkmcnt(3)
	v_fmac_f64_e32 v[98:99], v[120:121], v[104:105]
	s_set_gpr_idx_on s18, gpr_idx(SRC0)
	v_mov_b32_e32 v105, v34
	s_set_gpr_idx_off
	s_add_i32 s20, s11, -5
	v_fmac_f64_e32 v[98:99], v[122:123], v[106:107]
	s_set_gpr_idx_on s19, gpr_idx(SRC0)
	v_mov_b32_e32 v104, v34
	s_set_gpr_idx_off
	s_add_i32 s21, s11, -6
	s_waitcnt lgkmcnt(2)
	v_fmac_f64_e32 v[98:99], v[124:125], v[108:109]
	s_set_gpr_idx_on s20, gpr_idx(SRC0)
	v_mov_b32_e32 v107, v34
	s_set_gpr_idx_off
	s_add_i32 s22, s11, -3
	v_fmac_f64_e32 v[98:99], v[104:105], v[110:111]
	s_set_gpr_idx_on s21, gpr_idx(SRC0)
	v_mov_b32_e32 v106, v34
	s_set_gpr_idx_off
	s_add_i32 s23, s11, -4
	s_waitcnt lgkmcnt(1)
	v_fmac_f64_e32 v[98:99], v[106:107], v[112:113]
	s_set_gpr_idx_on s22, gpr_idx(SRC0)
	v_mov_b32_e32 v105, v34
	s_set_gpr_idx_off
	s_add_i32 s24, s11, -1
	s_set_gpr_idx_on s23, gpr_idx(SRC0)
	v_mov_b32_e32 v104, v34
	s_set_gpr_idx_off
	s_add_i32 s25, s11, -2
	v_fmac_f64_e32 v[98:99], v[104:105], v[114:115]
	s_set_gpr_idx_on s24, gpr_idx(SRC0)
	v_mov_b32_e32 v105, v34
	s_set_gpr_idx_off
	s_add_u32 s4, s4, 8
	s_set_gpr_idx_on s25, gpr_idx(SRC0)
	v_mov_b32_e32 v104, v34
	s_set_gpr_idx_off
	v_add_u32_e32 v100, s4, v102
	s_waitcnt lgkmcnt(0)
	v_fmac_f64_e32 v[98:99], v[104:105], v[116:117]
	s_set_gpr_idx_on s11, gpr_idx(SRC0)
	v_mov_b32_e32 v105, v35
	s_set_gpr_idx_off
	s_addc_u32 s5, s5, 0
	s_add_i32 s10, s10, 64
	s_add_i32 s12, s4, -7
	v_cmp_eq_u32_e32 vcc, 19, v100
	s_set_gpr_idx_on s11, gpr_idx(SRC0)
	v_mov_b32_e32 v104, v34
	s_set_gpr_idx_off
	v_mov_b32_e32 v100, s12
	s_or_b64 s[8:9], vcc, s[8:9]
	v_fmac_f64_e32 v[98:99], v[104:105], v[118:119]
	s_andn2_b64 exec, exec, s[8:9]
	s_cbranch_execnz .LBB79_41
; %bb.42:
	s_or_b64 exec, exec, s[8:9]
.LBB79_43:
	s_or_b64 exec, exec, s[0:1]
	v_and_b32_e32 v102, 7, v101
	v_cmp_ne_u32_e32 vcc, 0, v102
	s_and_saveexec_b64 s[8:9], vcc
	s_cbranch_execz .LBB79_47
; %bb.44:
	v_mov_b32_e32 v101, 0x80
	v_lshl_add_u32 v104, v100, 3, v101
	v_mov_b32_e32 v101, 0
	s_mov_b64 s[10:11], 0
.LBB79_45:                              ; =>This Inner Loop Header: Depth=1
	v_cmp_eq_u32_e32 vcc, 1, v100
	v_cndmask_b32_e32 v105, v35, v37, vcc
	v_add_u32_e32 v102, -1, v102
	v_cmp_eq_u32_e64 s[0:1], 2, v100
	v_cndmask_b32_e64 v105, v105, v39, s[0:1]
	v_cndmask_b32_e32 v108, v34, v36, vcc
	v_cmp_eq_u32_e32 vcc, 0, v102
	v_cmp_eq_u32_e64 s[4:5], 3, v100
	v_cndmask_b32_e64 v105, v105, v41, s[4:5]
	v_cndmask_b32_e64 v108, v108, v38, s[0:1]
	s_or_b64 s[10:11], vcc, s[10:11]
	v_cmp_eq_u32_e32 vcc, 4, v100
	v_cndmask_b32_e32 v105, v105, v43, vcc
	v_cndmask_b32_e64 v108, v108, v40, s[4:5]
	v_cmp_eq_u32_e64 s[0:1], 5, v100
	v_cndmask_b32_e64 v105, v105, v45, s[0:1]
	v_cndmask_b32_e32 v108, v108, v42, vcc
	v_cmp_eq_u32_e32 vcc, 6, v100
	v_cndmask_b32_e32 v105, v105, v47, vcc
	v_cndmask_b32_e64 v108, v108, v44, s[0:1]
	v_cmp_eq_u32_e64 s[0:1], 7, v100
	v_cndmask_b32_e64 v105, v105, v49, s[0:1]
	v_cndmask_b32_e32 v108, v108, v46, vcc
	;; [unrolled: 6-line block ×4, first 2 shown]
	v_cmp_eq_u32_e32 vcc, 12, v100
	ds_read_b64 v[106:107], v104
	v_cndmask_b32_e32 v105, v105, v59, vcc
	v_cndmask_b32_e64 v108, v108, v56, s[0:1]
	v_cmp_eq_u32_e64 s[0:1], 13, v100
	v_cndmask_b32_e64 v105, v105, v61, s[0:1]
	v_cndmask_b32_e32 v108, v108, v58, vcc
	v_cmp_eq_u32_e32 vcc, 14, v100
	v_cndmask_b32_e32 v105, v105, v63, vcc
	v_cmp_eq_u32_e64 s[4:5], 15, v100
	v_cndmask_b32_e64 v108, v108, v60, s[0:1]
	v_cndmask_b32_e64 v109, v105, v65, s[4:5]
	v_cndmask_b32_e32 v105, v108, v62, vcc
	v_add_co_u32_e64 v100, s[0:1], 1, v100
	v_cndmask_b32_e64 v108, v105, v64, s[4:5]
	v_add_u32_e32 v104, 8, v104
	v_addc_co_u32_e64 v101, s[0:1], 0, v101, s[0:1]
	s_waitcnt lgkmcnt(0)
	v_fmac_f64_e32 v[98:99], v[108:109], v[106:107]
	s_andn2_b64 exec, exec, s[10:11]
	s_cbranch_execnz .LBB79_45
; %bb.46:
	s_or_b64 exec, exec, s[10:11]
.LBB79_47:
	s_or_b64 exec, exec, s[8:9]
.LBB79_48:
	s_or_b64 exec, exec, s[6:7]
	v_mov_b32_e32 v56, 0
	ds_read_b64 v[56:57], v56 offset:88
	s_waitcnt lgkmcnt(0)
	v_mul_f64 v[56:57], v[98:99], v[56:57]
.LBB79_49:
	s_or_b64 exec, exec, s[36:37]
	v_cmp_lt_u32_e64 s[0:1], 10, v0
	ds_write_b64 v103, v[54:55]
	s_waitcnt lgkmcnt(0)
	; wave barrier
	s_waitcnt lgkmcnt(0)
	s_and_saveexec_b64 s[36:37], s[0:1]
	s_cbranch_execz .LBB79_65
; %bb.50:
	s_andn2_b64 vcc, exec, s[34:35]
	s_cbranch_vccnz .LBB79_52
; %bb.51:
	v_cmp_eq_u32_e32 vcc, 1, v0
	v_cndmask_b32_e32 v98, v35, v37, vcc
	v_cmp_eq_u32_e64 s[4:5], 2, v0
	v_cndmask_b32_e64 v98, v98, v39, s[4:5]
	v_cmp_eq_u32_e64 s[6:7], 3, v0
	v_cndmask_b32_e64 v98, v98, v41, s[6:7]
	;; [unrolled: 2-line block ×14, first 2 shown]
	v_cndmask_b32_e32 v98, v34, v36, vcc
	v_cndmask_b32_e64 v98, v98, v38, s[4:5]
	v_cndmask_b32_e64 v98, v98, v40, s[6:7]
	;; [unrolled: 1-line block ×10, first 2 shown]
	ds_read_b64 v[100:101], v103
	v_cndmask_b32_e64 v98, v98, v58, s[24:25]
	v_cndmask_b32_e64 v98, v98, v60, s[26:27]
	;; [unrolled: 1-line block ×4, first 2 shown]
	s_waitcnt lgkmcnt(0)
	v_mul_f64 v[98:99], v[98:99], v[100:101]
	s_cbranch_execz .LBB79_53
	s_branch .LBB79_54
.LBB79_52:
                                        ; implicit-def: $vgpr98_vgpr99
.LBB79_53:
	ds_read_b64 v[98:99], v103
.LBB79_54:
	s_and_saveexec_b64 s[6:7], s[2:3]
	s_cbranch_execz .LBB79_64
; %bb.55:
	v_add_u32_e32 v100, -12, v0
	v_add_u32_e32 v101, -11, v0
	v_cmp_lt_u32_e32 vcc, 6, v100
	v_mov_b32_e32 v100, 11
	s_and_saveexec_b64 s[2:3], vcc
	s_cbranch_execz .LBB79_59
; %bb.56:
	v_and_b32_e32 v100, -8, v101
	v_sub_u32_e32 v102, 0, v100
	s_mov_b64 s[4:5], 18
	s_movk_i32 s10, 0xd8
	s_mov_b64 s[8:9], 0
.LBB79_57:                              ; =>This Inner Loop Header: Depth=1
	s_lshl_b32 s11, s4, 1
	s_add_i32 s12, s11, -13
	v_mov_b32_e32 v118, s10
	s_add_i32 s13, s11, -14
	s_set_gpr_idx_on s12, gpr_idx(SRC0)
	v_mov_b32_e32 v113, v34
	s_set_gpr_idx_off
	s_add_i32 s14, s11, -11
	s_set_gpr_idx_on s13, gpr_idx(SRC0)
	v_mov_b32_e32 v112, v34
	s_set_gpr_idx_off
	ds_read2_b64 v[104:107], v118 offset1:1
	s_add_i32 s15, s11, -12
	s_set_gpr_idx_on s14, gpr_idx(SRC0)
	v_mov_b32_e32 v115, v34
	s_set_gpr_idx_off
	s_add_i32 s16, s11, -9
	s_set_gpr_idx_on s15, gpr_idx(SRC0)
	v_mov_b32_e32 v114, v34
	s_set_gpr_idx_off
	;; [unrolled: 4-line block ×4, first 2 shown]
	ds_read2_b64 v[108:111], v118 offset0:2 offset1:3
	s_add_i32 s19, s11, -8
	s_waitcnt lgkmcnt(1)
	v_fmac_f64_e32 v[98:99], v[112:113], v[104:105]
	s_set_gpr_idx_on s18, gpr_idx(SRC0)
	v_mov_b32_e32 v113, v34
	s_set_gpr_idx_off
	s_add_i32 s20, s11, -5
	v_fmac_f64_e32 v[98:99], v[114:115], v[106:107]
	s_set_gpr_idx_on s19, gpr_idx(SRC0)
	v_mov_b32_e32 v112, v34
	s_set_gpr_idx_off
	s_add_i32 s21, s11, -6
	s_set_gpr_idx_on s20, gpr_idx(SRC0)
	v_mov_b32_e32 v115, v34
	s_set_gpr_idx_off
	s_add_i32 s22, s11, -3
	;; [unrolled: 4-line block ×3, first 2 shown]
	ds_read2_b64 v[104:107], v118 offset0:4 offset1:5
	s_waitcnt lgkmcnt(1)
	v_fmac_f64_e32 v[98:99], v[116:117], v[108:109]
	s_set_gpr_idx_on s22, gpr_idx(SRC0)
	v_mov_b32_e32 v117, v34
	s_set_gpr_idx_off
	s_add_i32 s24, s11, -1
	v_fmac_f64_e32 v[98:99], v[112:113], v[110:111]
	s_set_gpr_idx_on s23, gpr_idx(SRC0)
	v_mov_b32_e32 v116, v34
	s_set_gpr_idx_off
	s_add_i32 s25, s11, -2
	s_set_gpr_idx_on s24, gpr_idx(SRC0)
	v_mov_b32_e32 v113, v34
	s_set_gpr_idx_off
	s_set_gpr_idx_on s25, gpr_idx(SRC0)
	v_mov_b32_e32 v112, v34
	s_set_gpr_idx_off
	ds_read2_b64 v[108:111], v118 offset0:6 offset1:7
	s_add_u32 s4, s4, 8
	s_waitcnt lgkmcnt(1)
	v_fmac_f64_e32 v[98:99], v[114:115], v[104:105]
	s_set_gpr_idx_on s11, gpr_idx(SRC0)
	v_mov_b32_e32 v105, v35
	s_set_gpr_idx_off
	v_add_u32_e32 v100, s4, v102
	v_fmac_f64_e32 v[98:99], v[116:117], v[106:107]
	s_set_gpr_idx_on s11, gpr_idx(SRC0)
	v_mov_b32_e32 v104, v34
	s_set_gpr_idx_off
	s_addc_u32 s5, s5, 0
	s_add_i32 s10, s10, 64
	s_add_i32 s12, s4, -7
	v_cmp_eq_u32_e32 vcc, 18, v100
	s_waitcnt lgkmcnt(0)
	v_fmac_f64_e32 v[98:99], v[112:113], v[108:109]
	v_mov_b32_e32 v100, s12
	s_or_b64 s[8:9], vcc, s[8:9]
	v_fmac_f64_e32 v[98:99], v[104:105], v[110:111]
	s_andn2_b64 exec, exec, s[8:9]
	s_cbranch_execnz .LBB79_57
; %bb.58:
	s_or_b64 exec, exec, s[8:9]
.LBB79_59:
	s_or_b64 exec, exec, s[2:3]
	v_and_b32_e32 v102, 7, v101
	v_cmp_ne_u32_e32 vcc, 0, v102
	s_and_saveexec_b64 s[8:9], vcc
	s_cbranch_execz .LBB79_63
; %bb.60:
	v_mov_b32_e32 v101, 0x80
	v_lshl_add_u32 v104, v100, 3, v101
	v_mov_b32_e32 v101, 0
	s_mov_b64 s[10:11], 0
.LBB79_61:                              ; =>This Inner Loop Header: Depth=1
	v_cmp_eq_u32_e32 vcc, 1, v100
	v_cndmask_b32_e32 v105, v35, v37, vcc
	v_add_u32_e32 v102, -1, v102
	v_cmp_eq_u32_e64 s[2:3], 2, v100
	v_cndmask_b32_e64 v105, v105, v39, s[2:3]
	v_cndmask_b32_e32 v108, v34, v36, vcc
	v_cmp_eq_u32_e32 vcc, 0, v102
	v_cmp_eq_u32_e64 s[4:5], 3, v100
	v_cndmask_b32_e64 v105, v105, v41, s[4:5]
	v_cndmask_b32_e64 v108, v108, v38, s[2:3]
	s_or_b64 s[10:11], vcc, s[10:11]
	v_cmp_eq_u32_e32 vcc, 4, v100
	v_cndmask_b32_e32 v105, v105, v43, vcc
	v_cndmask_b32_e64 v108, v108, v40, s[4:5]
	v_cmp_eq_u32_e64 s[2:3], 5, v100
	v_cndmask_b32_e64 v105, v105, v45, s[2:3]
	v_cndmask_b32_e32 v108, v108, v42, vcc
	v_cmp_eq_u32_e32 vcc, 6, v100
	v_cndmask_b32_e32 v105, v105, v47, vcc
	v_cndmask_b32_e64 v108, v108, v44, s[2:3]
	v_cmp_eq_u32_e64 s[2:3], 7, v100
	v_cndmask_b32_e64 v105, v105, v49, s[2:3]
	v_cndmask_b32_e32 v108, v108, v46, vcc
	;; [unrolled: 6-line block ×4, first 2 shown]
	v_cmp_eq_u32_e32 vcc, 12, v100
	ds_read_b64 v[106:107], v104
	v_cndmask_b32_e32 v105, v105, v59, vcc
	v_cndmask_b32_e64 v108, v108, v56, s[2:3]
	v_cmp_eq_u32_e64 s[2:3], 13, v100
	v_cndmask_b32_e64 v105, v105, v61, s[2:3]
	v_cndmask_b32_e32 v108, v108, v58, vcc
	v_cmp_eq_u32_e32 vcc, 14, v100
	v_cndmask_b32_e32 v105, v105, v63, vcc
	v_cmp_eq_u32_e64 s[4:5], 15, v100
	v_cndmask_b32_e64 v108, v108, v60, s[2:3]
	v_cndmask_b32_e64 v109, v105, v65, s[4:5]
	v_cndmask_b32_e32 v105, v108, v62, vcc
	v_add_co_u32_e64 v100, s[2:3], 1, v100
	v_cndmask_b32_e64 v108, v105, v64, s[4:5]
	v_add_u32_e32 v104, 8, v104
	v_addc_co_u32_e64 v101, s[2:3], 0, v101, s[2:3]
	s_waitcnt lgkmcnt(0)
	v_fmac_f64_e32 v[98:99], v[108:109], v[106:107]
	s_andn2_b64 exec, exec, s[10:11]
	s_cbranch_execnz .LBB79_61
; %bb.62:
	s_or_b64 exec, exec, s[10:11]
.LBB79_63:
	s_or_b64 exec, exec, s[8:9]
.LBB79_64:
	s_or_b64 exec, exec, s[6:7]
	v_mov_b32_e32 v54, 0
	ds_read_b64 v[54:55], v54 offset:80
	s_waitcnt lgkmcnt(0)
	v_mul_f64 v[54:55], v[98:99], v[54:55]
.LBB79_65:
	s_or_b64 exec, exec, s[36:37]
	v_cmp_lt_u32_e64 s[2:3], 9, v0
	ds_write_b64 v103, v[52:53]
	s_waitcnt lgkmcnt(0)
	; wave barrier
	s_waitcnt lgkmcnt(0)
	s_and_saveexec_b64 s[36:37], s[2:3]
	s_cbranch_execz .LBB79_81
; %bb.66:
	s_andn2_b64 vcc, exec, s[34:35]
	s_cbranch_vccnz .LBB79_68
; %bb.67:
	v_cmp_eq_u32_e32 vcc, 1, v0
	v_cndmask_b32_e32 v98, v35, v37, vcc
	v_cmp_eq_u32_e64 s[4:5], 2, v0
	v_cndmask_b32_e64 v98, v98, v39, s[4:5]
	v_cmp_eq_u32_e64 s[6:7], 3, v0
	v_cndmask_b32_e64 v98, v98, v41, s[6:7]
	;; [unrolled: 2-line block ×14, first 2 shown]
	v_cndmask_b32_e32 v98, v34, v36, vcc
	v_cndmask_b32_e64 v98, v98, v38, s[4:5]
	v_cndmask_b32_e64 v98, v98, v40, s[6:7]
	;; [unrolled: 1-line block ×10, first 2 shown]
	ds_read_b64 v[100:101], v103
	v_cndmask_b32_e64 v98, v98, v58, s[24:25]
	v_cndmask_b32_e64 v98, v98, v60, s[26:27]
	v_cndmask_b32_e64 v98, v98, v62, s[28:29]
	v_cndmask_b32_e64 v98, v98, v64, s[30:31]
	s_waitcnt lgkmcnt(0)
	v_mul_f64 v[98:99], v[98:99], v[100:101]
	s_cbranch_execz .LBB79_69
	s_branch .LBB79_70
.LBB79_68:
                                        ; implicit-def: $vgpr98_vgpr99
.LBB79_69:
	ds_read_b64 v[98:99], v103
.LBB79_70:
	s_and_saveexec_b64 s[6:7], s[0:1]
	s_cbranch_execz .LBB79_80
; %bb.71:
	v_add_u32_e32 v100, -11, v0
	v_add_u32_e32 v101, -10, v0
	v_cmp_lt_u32_e32 vcc, 6, v100
	v_mov_b32_e32 v100, 10
	s_and_saveexec_b64 s[0:1], vcc
	s_cbranch_execz .LBB79_75
; %bb.72:
	v_and_b32_e32 v100, -8, v101
	v_sub_u32_e32 v102, 0, v100
	s_mov_b64 s[4:5], 17
	s_movk_i32 s10, 0xd0
	s_mov_b64 s[8:9], 0
.LBB79_73:                              ; =>This Inner Loop Header: Depth=1
	s_lshl_b32 s11, s4, 1
	s_add_i32 s12, s11, -13
	s_add_i32 s13, s11, -14
	s_set_gpr_idx_on s12, gpr_idx(SRC0)
	v_mov_b32_e32 v121, v34
	s_set_gpr_idx_off
	v_mov_b32_e32 v100, s10
	s_add_i32 s14, s11, -11
	s_set_gpr_idx_on s13, gpr_idx(SRC0)
	v_mov_b32_e32 v120, v34
	s_set_gpr_idx_off
	s_add_i32 s15, s11, -12
	ds_read_b128 v[104:107], v100
	ds_read_b128 v[108:111], v100 offset:16
	ds_read_b128 v[112:115], v100 offset:32
	;; [unrolled: 1-line block ×3, first 2 shown]
	s_set_gpr_idx_on s14, gpr_idx(SRC0)
	v_mov_b32_e32 v123, v34
	s_set_gpr_idx_off
	s_add_i32 s16, s11, -9
	s_set_gpr_idx_on s15, gpr_idx(SRC0)
	v_mov_b32_e32 v122, v34
	s_set_gpr_idx_off
	s_add_i32 s17, s11, -10
	s_set_gpr_idx_on s16, gpr_idx(SRC0)
	v_mov_b32_e32 v125, v34
	s_set_gpr_idx_off
	s_add_i32 s18, s11, -7
	s_set_gpr_idx_on s17, gpr_idx(SRC0)
	v_mov_b32_e32 v124, v34
	s_set_gpr_idx_off
	s_add_i32 s19, s11, -8
	s_waitcnt lgkmcnt(3)
	v_fmac_f64_e32 v[98:99], v[120:121], v[104:105]
	s_set_gpr_idx_on s18, gpr_idx(SRC0)
	v_mov_b32_e32 v105, v34
	s_set_gpr_idx_off
	s_add_i32 s20, s11, -5
	v_fmac_f64_e32 v[98:99], v[122:123], v[106:107]
	s_set_gpr_idx_on s19, gpr_idx(SRC0)
	v_mov_b32_e32 v104, v34
	s_set_gpr_idx_off
	s_add_i32 s21, s11, -6
	s_waitcnt lgkmcnt(2)
	v_fmac_f64_e32 v[98:99], v[124:125], v[108:109]
	s_set_gpr_idx_on s20, gpr_idx(SRC0)
	v_mov_b32_e32 v107, v34
	s_set_gpr_idx_off
	s_add_i32 s22, s11, -3
	v_fmac_f64_e32 v[98:99], v[104:105], v[110:111]
	s_set_gpr_idx_on s21, gpr_idx(SRC0)
	v_mov_b32_e32 v106, v34
	s_set_gpr_idx_off
	s_add_i32 s23, s11, -4
	s_waitcnt lgkmcnt(1)
	v_fmac_f64_e32 v[98:99], v[106:107], v[112:113]
	s_set_gpr_idx_on s22, gpr_idx(SRC0)
	v_mov_b32_e32 v105, v34
	s_set_gpr_idx_off
	s_add_i32 s24, s11, -1
	s_set_gpr_idx_on s23, gpr_idx(SRC0)
	v_mov_b32_e32 v104, v34
	s_set_gpr_idx_off
	s_add_i32 s25, s11, -2
	v_fmac_f64_e32 v[98:99], v[104:105], v[114:115]
	s_set_gpr_idx_on s24, gpr_idx(SRC0)
	v_mov_b32_e32 v105, v34
	s_set_gpr_idx_off
	s_add_u32 s4, s4, 8
	s_set_gpr_idx_on s25, gpr_idx(SRC0)
	v_mov_b32_e32 v104, v34
	s_set_gpr_idx_off
	v_add_u32_e32 v100, s4, v102
	s_waitcnt lgkmcnt(0)
	v_fmac_f64_e32 v[98:99], v[104:105], v[116:117]
	s_set_gpr_idx_on s11, gpr_idx(SRC0)
	v_mov_b32_e32 v105, v35
	s_set_gpr_idx_off
	s_addc_u32 s5, s5, 0
	s_add_i32 s10, s10, 64
	s_add_i32 s12, s4, -7
	v_cmp_eq_u32_e32 vcc, 17, v100
	s_set_gpr_idx_on s11, gpr_idx(SRC0)
	v_mov_b32_e32 v104, v34
	s_set_gpr_idx_off
	v_mov_b32_e32 v100, s12
	s_or_b64 s[8:9], vcc, s[8:9]
	v_fmac_f64_e32 v[98:99], v[104:105], v[118:119]
	s_andn2_b64 exec, exec, s[8:9]
	s_cbranch_execnz .LBB79_73
; %bb.74:
	s_or_b64 exec, exec, s[8:9]
.LBB79_75:
	s_or_b64 exec, exec, s[0:1]
	v_and_b32_e32 v102, 7, v101
	v_cmp_ne_u32_e32 vcc, 0, v102
	s_and_saveexec_b64 s[8:9], vcc
	s_cbranch_execz .LBB79_79
; %bb.76:
	v_mov_b32_e32 v101, 0x80
	v_lshl_add_u32 v104, v100, 3, v101
	v_mov_b32_e32 v101, 0
	s_mov_b64 s[10:11], 0
.LBB79_77:                              ; =>This Inner Loop Header: Depth=1
	v_cmp_eq_u32_e32 vcc, 1, v100
	v_cndmask_b32_e32 v105, v35, v37, vcc
	v_add_u32_e32 v102, -1, v102
	v_cmp_eq_u32_e64 s[0:1], 2, v100
	v_cndmask_b32_e64 v105, v105, v39, s[0:1]
	v_cndmask_b32_e32 v108, v34, v36, vcc
	v_cmp_eq_u32_e32 vcc, 0, v102
	v_cmp_eq_u32_e64 s[4:5], 3, v100
	v_cndmask_b32_e64 v105, v105, v41, s[4:5]
	v_cndmask_b32_e64 v108, v108, v38, s[0:1]
	s_or_b64 s[10:11], vcc, s[10:11]
	v_cmp_eq_u32_e32 vcc, 4, v100
	v_cndmask_b32_e32 v105, v105, v43, vcc
	v_cndmask_b32_e64 v108, v108, v40, s[4:5]
	v_cmp_eq_u32_e64 s[0:1], 5, v100
	v_cndmask_b32_e64 v105, v105, v45, s[0:1]
	v_cndmask_b32_e32 v108, v108, v42, vcc
	v_cmp_eq_u32_e32 vcc, 6, v100
	v_cndmask_b32_e32 v105, v105, v47, vcc
	v_cndmask_b32_e64 v108, v108, v44, s[0:1]
	v_cmp_eq_u32_e64 s[0:1], 7, v100
	v_cndmask_b32_e64 v105, v105, v49, s[0:1]
	v_cndmask_b32_e32 v108, v108, v46, vcc
	;; [unrolled: 6-line block ×4, first 2 shown]
	v_cmp_eq_u32_e32 vcc, 12, v100
	ds_read_b64 v[106:107], v104
	v_cndmask_b32_e32 v105, v105, v59, vcc
	v_cndmask_b32_e64 v108, v108, v56, s[0:1]
	v_cmp_eq_u32_e64 s[0:1], 13, v100
	v_cndmask_b32_e64 v105, v105, v61, s[0:1]
	v_cndmask_b32_e32 v108, v108, v58, vcc
	v_cmp_eq_u32_e32 vcc, 14, v100
	v_cndmask_b32_e32 v105, v105, v63, vcc
	v_cmp_eq_u32_e64 s[4:5], 15, v100
	v_cndmask_b32_e64 v108, v108, v60, s[0:1]
	v_cndmask_b32_e64 v109, v105, v65, s[4:5]
	v_cndmask_b32_e32 v105, v108, v62, vcc
	v_add_co_u32_e64 v100, s[0:1], 1, v100
	v_cndmask_b32_e64 v108, v105, v64, s[4:5]
	v_add_u32_e32 v104, 8, v104
	v_addc_co_u32_e64 v101, s[0:1], 0, v101, s[0:1]
	s_waitcnt lgkmcnt(0)
	v_fmac_f64_e32 v[98:99], v[108:109], v[106:107]
	s_andn2_b64 exec, exec, s[10:11]
	s_cbranch_execnz .LBB79_77
; %bb.78:
	s_or_b64 exec, exec, s[10:11]
.LBB79_79:
	s_or_b64 exec, exec, s[8:9]
.LBB79_80:
	s_or_b64 exec, exec, s[6:7]
	v_mov_b32_e32 v52, 0
	ds_read_b64 v[52:53], v52 offset:72
	s_waitcnt lgkmcnt(0)
	v_mul_f64 v[52:53], v[98:99], v[52:53]
.LBB79_81:
	s_or_b64 exec, exec, s[36:37]
	v_cmp_lt_u32_e64 s[0:1], 8, v0
	ds_write_b64 v103, v[50:51]
	s_waitcnt lgkmcnt(0)
	; wave barrier
	s_waitcnt lgkmcnt(0)
	s_and_saveexec_b64 s[36:37], s[0:1]
	s_cbranch_execz .LBB79_97
; %bb.82:
	s_andn2_b64 vcc, exec, s[34:35]
	s_cbranch_vccnz .LBB79_84
; %bb.83:
	v_cmp_eq_u32_e32 vcc, 1, v0
	v_cndmask_b32_e32 v98, v35, v37, vcc
	v_cmp_eq_u32_e64 s[4:5], 2, v0
	v_cndmask_b32_e64 v98, v98, v39, s[4:5]
	v_cmp_eq_u32_e64 s[6:7], 3, v0
	v_cndmask_b32_e64 v98, v98, v41, s[6:7]
	;; [unrolled: 2-line block ×14, first 2 shown]
	v_cndmask_b32_e32 v98, v34, v36, vcc
	v_cndmask_b32_e64 v98, v98, v38, s[4:5]
	v_cndmask_b32_e64 v98, v98, v40, s[6:7]
	;; [unrolled: 1-line block ×10, first 2 shown]
	ds_read_b64 v[100:101], v103
	v_cndmask_b32_e64 v98, v98, v58, s[24:25]
	v_cndmask_b32_e64 v98, v98, v60, s[26:27]
	;; [unrolled: 1-line block ×4, first 2 shown]
	s_waitcnt lgkmcnt(0)
	v_mul_f64 v[98:99], v[98:99], v[100:101]
	s_cbranch_execz .LBB79_85
	s_branch .LBB79_86
.LBB79_84:
                                        ; implicit-def: $vgpr98_vgpr99
.LBB79_85:
	ds_read_b64 v[98:99], v103
.LBB79_86:
	s_and_saveexec_b64 s[6:7], s[2:3]
	s_cbranch_execz .LBB79_96
; %bb.87:
	v_add_u32_e32 v100, -10, v0
	v_add_u32_e32 v101, -9, v0
	v_cmp_lt_u32_e32 vcc, 6, v100
	v_mov_b32_e32 v100, 9
	s_and_saveexec_b64 s[2:3], vcc
	s_cbranch_execz .LBB79_91
; %bb.88:
	v_and_b32_e32 v100, -8, v101
	v_sub_u32_e32 v102, 0, v100
	s_mov_b64 s[4:5], 16
	s_movk_i32 s10, 0xc8
	s_mov_b64 s[8:9], 0
.LBB79_89:                              ; =>This Inner Loop Header: Depth=1
	s_lshl_b32 s11, s4, 1
	s_add_i32 s12, s11, -13
	v_mov_b32_e32 v118, s10
	s_add_i32 s13, s11, -14
	s_set_gpr_idx_on s12, gpr_idx(SRC0)
	v_mov_b32_e32 v113, v34
	s_set_gpr_idx_off
	s_add_i32 s14, s11, -11
	s_set_gpr_idx_on s13, gpr_idx(SRC0)
	v_mov_b32_e32 v112, v34
	s_set_gpr_idx_off
	ds_read2_b64 v[104:107], v118 offset1:1
	s_add_i32 s15, s11, -12
	s_set_gpr_idx_on s14, gpr_idx(SRC0)
	v_mov_b32_e32 v115, v34
	s_set_gpr_idx_off
	s_add_i32 s16, s11, -9
	s_set_gpr_idx_on s15, gpr_idx(SRC0)
	v_mov_b32_e32 v114, v34
	s_set_gpr_idx_off
	s_add_i32 s17, s11, -10
	s_set_gpr_idx_on s16, gpr_idx(SRC0)
	v_mov_b32_e32 v117, v34
	s_set_gpr_idx_off
	s_add_i32 s18, s11, -7
	s_set_gpr_idx_on s17, gpr_idx(SRC0)
	v_mov_b32_e32 v116, v34
	s_set_gpr_idx_off
	ds_read2_b64 v[108:111], v118 offset0:2 offset1:3
	s_add_i32 s19, s11, -8
	s_waitcnt lgkmcnt(1)
	v_fmac_f64_e32 v[98:99], v[112:113], v[104:105]
	s_set_gpr_idx_on s18, gpr_idx(SRC0)
	v_mov_b32_e32 v113, v34
	s_set_gpr_idx_off
	s_add_i32 s20, s11, -5
	v_fmac_f64_e32 v[98:99], v[114:115], v[106:107]
	s_set_gpr_idx_on s19, gpr_idx(SRC0)
	v_mov_b32_e32 v112, v34
	s_set_gpr_idx_off
	s_add_i32 s21, s11, -6
	s_set_gpr_idx_on s20, gpr_idx(SRC0)
	v_mov_b32_e32 v115, v34
	s_set_gpr_idx_off
	s_add_i32 s22, s11, -3
	;; [unrolled: 4-line block ×3, first 2 shown]
	ds_read2_b64 v[104:107], v118 offset0:4 offset1:5
	s_waitcnt lgkmcnt(1)
	v_fmac_f64_e32 v[98:99], v[116:117], v[108:109]
	s_set_gpr_idx_on s22, gpr_idx(SRC0)
	v_mov_b32_e32 v117, v34
	s_set_gpr_idx_off
	s_add_i32 s24, s11, -1
	v_fmac_f64_e32 v[98:99], v[112:113], v[110:111]
	s_set_gpr_idx_on s23, gpr_idx(SRC0)
	v_mov_b32_e32 v116, v34
	s_set_gpr_idx_off
	s_add_i32 s25, s11, -2
	s_set_gpr_idx_on s24, gpr_idx(SRC0)
	v_mov_b32_e32 v113, v34
	s_set_gpr_idx_off
	s_set_gpr_idx_on s25, gpr_idx(SRC0)
	v_mov_b32_e32 v112, v34
	s_set_gpr_idx_off
	ds_read2_b64 v[108:111], v118 offset0:6 offset1:7
	s_add_u32 s4, s4, 8
	s_waitcnt lgkmcnt(1)
	v_fmac_f64_e32 v[98:99], v[114:115], v[104:105]
	s_set_gpr_idx_on s11, gpr_idx(SRC0)
	v_mov_b32_e32 v105, v35
	s_set_gpr_idx_off
	v_add_u32_e32 v100, s4, v102
	v_fmac_f64_e32 v[98:99], v[116:117], v[106:107]
	s_set_gpr_idx_on s11, gpr_idx(SRC0)
	v_mov_b32_e32 v104, v34
	s_set_gpr_idx_off
	s_addc_u32 s5, s5, 0
	s_add_i32 s10, s10, 64
	s_add_i32 s12, s4, -7
	v_cmp_eq_u32_e32 vcc, 16, v100
	s_waitcnt lgkmcnt(0)
	v_fmac_f64_e32 v[98:99], v[112:113], v[108:109]
	v_mov_b32_e32 v100, s12
	s_or_b64 s[8:9], vcc, s[8:9]
	v_fmac_f64_e32 v[98:99], v[104:105], v[110:111]
	s_andn2_b64 exec, exec, s[8:9]
	s_cbranch_execnz .LBB79_89
; %bb.90:
	s_or_b64 exec, exec, s[8:9]
.LBB79_91:
	s_or_b64 exec, exec, s[2:3]
	v_and_b32_e32 v102, 7, v101
	v_cmp_ne_u32_e32 vcc, 0, v102
	s_and_saveexec_b64 s[8:9], vcc
	s_cbranch_execz .LBB79_95
; %bb.92:
	v_mov_b32_e32 v101, 0x80
	v_lshl_add_u32 v104, v100, 3, v101
	v_mov_b32_e32 v101, 0
	s_mov_b64 s[10:11], 0
.LBB79_93:                              ; =>This Inner Loop Header: Depth=1
	v_cmp_eq_u32_e32 vcc, 1, v100
	v_cndmask_b32_e32 v105, v35, v37, vcc
	v_add_u32_e32 v102, -1, v102
	v_cmp_eq_u32_e64 s[2:3], 2, v100
	v_cndmask_b32_e64 v105, v105, v39, s[2:3]
	v_cndmask_b32_e32 v108, v34, v36, vcc
	v_cmp_eq_u32_e32 vcc, 0, v102
	v_cmp_eq_u32_e64 s[4:5], 3, v100
	v_cndmask_b32_e64 v105, v105, v41, s[4:5]
	v_cndmask_b32_e64 v108, v108, v38, s[2:3]
	s_or_b64 s[10:11], vcc, s[10:11]
	v_cmp_eq_u32_e32 vcc, 4, v100
	v_cndmask_b32_e32 v105, v105, v43, vcc
	v_cndmask_b32_e64 v108, v108, v40, s[4:5]
	v_cmp_eq_u32_e64 s[2:3], 5, v100
	v_cndmask_b32_e64 v105, v105, v45, s[2:3]
	v_cndmask_b32_e32 v108, v108, v42, vcc
	v_cmp_eq_u32_e32 vcc, 6, v100
	v_cndmask_b32_e32 v105, v105, v47, vcc
	v_cndmask_b32_e64 v108, v108, v44, s[2:3]
	v_cmp_eq_u32_e64 s[2:3], 7, v100
	v_cndmask_b32_e64 v105, v105, v49, s[2:3]
	v_cndmask_b32_e32 v108, v108, v46, vcc
	;; [unrolled: 6-line block ×4, first 2 shown]
	v_cmp_eq_u32_e32 vcc, 12, v100
	ds_read_b64 v[106:107], v104
	v_cndmask_b32_e32 v105, v105, v59, vcc
	v_cndmask_b32_e64 v108, v108, v56, s[2:3]
	v_cmp_eq_u32_e64 s[2:3], 13, v100
	v_cndmask_b32_e64 v105, v105, v61, s[2:3]
	v_cndmask_b32_e32 v108, v108, v58, vcc
	v_cmp_eq_u32_e32 vcc, 14, v100
	v_cndmask_b32_e32 v105, v105, v63, vcc
	v_cmp_eq_u32_e64 s[4:5], 15, v100
	v_cndmask_b32_e64 v108, v108, v60, s[2:3]
	v_cndmask_b32_e64 v109, v105, v65, s[4:5]
	v_cndmask_b32_e32 v105, v108, v62, vcc
	v_add_co_u32_e64 v100, s[2:3], 1, v100
	v_cndmask_b32_e64 v108, v105, v64, s[4:5]
	v_add_u32_e32 v104, 8, v104
	v_addc_co_u32_e64 v101, s[2:3], 0, v101, s[2:3]
	s_waitcnt lgkmcnt(0)
	v_fmac_f64_e32 v[98:99], v[108:109], v[106:107]
	s_andn2_b64 exec, exec, s[10:11]
	s_cbranch_execnz .LBB79_93
; %bb.94:
	s_or_b64 exec, exec, s[10:11]
.LBB79_95:
	s_or_b64 exec, exec, s[8:9]
.LBB79_96:
	s_or_b64 exec, exec, s[6:7]
	v_mov_b32_e32 v50, 0
	ds_read_b64 v[50:51], v50 offset:64
	s_waitcnt lgkmcnt(0)
	v_mul_f64 v[50:51], v[98:99], v[50:51]
.LBB79_97:
	s_or_b64 exec, exec, s[36:37]
	v_cmp_lt_u32_e64 s[2:3], 7, v0
	ds_write_b64 v103, v[48:49]
	s_waitcnt lgkmcnt(0)
	; wave barrier
	s_waitcnt lgkmcnt(0)
	s_and_saveexec_b64 s[36:37], s[2:3]
	s_cbranch_execz .LBB79_113
; %bb.98:
	s_andn2_b64 vcc, exec, s[34:35]
	s_cbranch_vccnz .LBB79_100
; %bb.99:
	v_cmp_eq_u32_e32 vcc, 1, v0
	v_cndmask_b32_e32 v98, v35, v37, vcc
	v_cmp_eq_u32_e64 s[4:5], 2, v0
	v_cndmask_b32_e64 v98, v98, v39, s[4:5]
	v_cmp_eq_u32_e64 s[6:7], 3, v0
	v_cndmask_b32_e64 v98, v98, v41, s[6:7]
	v_cmp_eq_u32_e64 s[8:9], 4, v0
	v_cndmask_b32_e64 v98, v98, v43, s[8:9]
	v_cmp_eq_u32_e64 s[10:11], 5, v0
	v_cndmask_b32_e64 v98, v98, v45, s[10:11]
	v_cmp_eq_u32_e64 s[12:13], 6, v0
	v_cndmask_b32_e64 v98, v98, v47, s[12:13]
	v_cmp_eq_u32_e64 s[14:15], 7, v0
	v_cndmask_b32_e64 v98, v98, v49, s[14:15]
	v_cmp_eq_u32_e64 s[16:17], 8, v0
	v_cndmask_b32_e64 v98, v98, v51, s[16:17]
	v_cmp_eq_u32_e64 s[18:19], 9, v0
	v_cndmask_b32_e64 v98, v98, v53, s[18:19]
	v_cmp_eq_u32_e64 s[20:21], 10, v0
	v_cndmask_b32_e64 v98, v98, v55, s[20:21]
	v_cmp_eq_u32_e64 s[22:23], 11, v0
	v_cndmask_b32_e64 v98, v98, v57, s[22:23]
	v_cmp_eq_u32_e64 s[24:25], 12, v0
	v_cndmask_b32_e64 v98, v98, v59, s[24:25]
	v_cmp_eq_u32_e64 s[26:27], 13, v0
	v_cndmask_b32_e64 v98, v98, v61, s[26:27]
	v_cmp_eq_u32_e64 s[28:29], 14, v0
	v_cndmask_b32_e64 v98, v98, v63, s[28:29]
	v_cmp_eq_u32_e64 s[30:31], 15, v0
	v_cndmask_b32_e64 v99, v98, v65, s[30:31]
	v_cndmask_b32_e32 v98, v34, v36, vcc
	v_cndmask_b32_e64 v98, v98, v38, s[4:5]
	v_cndmask_b32_e64 v98, v98, v40, s[6:7]
	;; [unrolled: 1-line block ×10, first 2 shown]
	ds_read_b64 v[100:101], v103
	v_cndmask_b32_e64 v98, v98, v58, s[24:25]
	v_cndmask_b32_e64 v98, v98, v60, s[26:27]
	;; [unrolled: 1-line block ×4, first 2 shown]
	s_waitcnt lgkmcnt(0)
	v_mul_f64 v[98:99], v[98:99], v[100:101]
	s_cbranch_execz .LBB79_101
	s_branch .LBB79_102
.LBB79_100:
                                        ; implicit-def: $vgpr98_vgpr99
.LBB79_101:
	ds_read_b64 v[98:99], v103
.LBB79_102:
	s_and_saveexec_b64 s[6:7], s[0:1]
	s_cbranch_execz .LBB79_112
; %bb.103:
	v_add_u32_e32 v100, -9, v0
	v_cmp_lt_u32_e32 vcc, 6, v100
	v_mov_b32_e32 v100, 8
	s_and_saveexec_b64 s[0:1], vcc
	s_cbranch_execz .LBB79_107
; %bb.104:
	v_and_b32_e32 v100, 8, v0
	v_sub_u32_e32 v102, 0, v100
	s_mov_b64 s[4:5], 15
	s_movk_i32 s10, 0xc0
	s_mov_b64 s[8:9], 0
.LBB79_105:                             ; =>This Inner Loop Header: Depth=1
	s_lshl_b32 s11, s4, 1
	s_add_i32 s12, s11, -13
	s_add_i32 s13, s11, -14
	s_set_gpr_idx_on s12, gpr_idx(SRC0)
	v_mov_b32_e32 v121, v34
	s_set_gpr_idx_off
	v_mov_b32_e32 v100, s10
	s_add_i32 s14, s11, -11
	s_set_gpr_idx_on s13, gpr_idx(SRC0)
	v_mov_b32_e32 v120, v34
	s_set_gpr_idx_off
	s_add_i32 s15, s11, -12
	ds_read_b128 v[104:107], v100
	ds_read_b128 v[108:111], v100 offset:16
	ds_read_b128 v[112:115], v100 offset:32
	;; [unrolled: 1-line block ×3, first 2 shown]
	s_set_gpr_idx_on s14, gpr_idx(SRC0)
	v_mov_b32_e32 v123, v34
	s_set_gpr_idx_off
	s_add_i32 s16, s11, -9
	s_set_gpr_idx_on s15, gpr_idx(SRC0)
	v_mov_b32_e32 v122, v34
	s_set_gpr_idx_off
	s_add_i32 s17, s11, -10
	;; [unrolled: 4-line block ×4, first 2 shown]
	s_waitcnt lgkmcnt(3)
	v_fmac_f64_e32 v[98:99], v[120:121], v[104:105]
	s_set_gpr_idx_on s18, gpr_idx(SRC0)
	v_mov_b32_e32 v105, v34
	s_set_gpr_idx_off
	s_add_i32 s20, s11, -5
	v_fmac_f64_e32 v[98:99], v[122:123], v[106:107]
	s_set_gpr_idx_on s19, gpr_idx(SRC0)
	v_mov_b32_e32 v104, v34
	s_set_gpr_idx_off
	s_add_i32 s21, s11, -6
	s_waitcnt lgkmcnt(2)
	v_fmac_f64_e32 v[98:99], v[124:125], v[108:109]
	s_set_gpr_idx_on s20, gpr_idx(SRC0)
	v_mov_b32_e32 v107, v34
	s_set_gpr_idx_off
	s_add_i32 s22, s11, -3
	v_fmac_f64_e32 v[98:99], v[104:105], v[110:111]
	s_set_gpr_idx_on s21, gpr_idx(SRC0)
	v_mov_b32_e32 v106, v34
	s_set_gpr_idx_off
	s_add_i32 s23, s11, -4
	s_waitcnt lgkmcnt(1)
	v_fmac_f64_e32 v[98:99], v[106:107], v[112:113]
	s_set_gpr_idx_on s22, gpr_idx(SRC0)
	v_mov_b32_e32 v105, v34
	s_set_gpr_idx_off
	s_add_i32 s24, s11, -1
	s_set_gpr_idx_on s23, gpr_idx(SRC0)
	v_mov_b32_e32 v104, v34
	s_set_gpr_idx_off
	s_add_i32 s25, s11, -2
	v_fmac_f64_e32 v[98:99], v[104:105], v[114:115]
	s_set_gpr_idx_on s24, gpr_idx(SRC0)
	v_mov_b32_e32 v105, v34
	s_set_gpr_idx_off
	s_add_u32 s4, s4, 8
	s_set_gpr_idx_on s25, gpr_idx(SRC0)
	v_mov_b32_e32 v104, v34
	s_set_gpr_idx_off
	v_add_u32_e32 v100, s4, v102
	s_waitcnt lgkmcnt(0)
	v_fmac_f64_e32 v[98:99], v[104:105], v[116:117]
	s_set_gpr_idx_on s11, gpr_idx(SRC0)
	v_mov_b32_e32 v105, v35
	s_set_gpr_idx_off
	s_addc_u32 s5, s5, 0
	s_add_i32 s10, s10, 64
	s_add_i32 s12, s4, -7
	v_cmp_eq_u32_e32 vcc, 7, v100
	s_set_gpr_idx_on s11, gpr_idx(SRC0)
	v_mov_b32_e32 v104, v34
	s_set_gpr_idx_off
	v_mov_b32_e32 v100, s12
	s_or_b64 s[8:9], vcc, s[8:9]
	v_fmac_f64_e32 v[98:99], v[104:105], v[118:119]
	s_andn2_b64 exec, exec, s[8:9]
	s_cbranch_execnz .LBB79_105
; %bb.106:
	s_or_b64 exec, exec, s[8:9]
.LBB79_107:
	s_or_b64 exec, exec, s[0:1]
	v_and_b32_e32 v102, 7, v0
	v_cmp_ne_u32_e32 vcc, 0, v102
	s_and_saveexec_b64 s[8:9], vcc
	s_cbranch_execz .LBB79_111
; %bb.108:
	v_mov_b32_e32 v101, 0x80
	v_lshl_add_u32 v104, v100, 3, v101
	v_mov_b32_e32 v101, 0
	s_mov_b64 s[10:11], 0
.LBB79_109:                             ; =>This Inner Loop Header: Depth=1
	v_cmp_eq_u32_e32 vcc, 1, v100
	v_cndmask_b32_e32 v105, v35, v37, vcc
	v_add_u32_e32 v102, -1, v102
	v_cmp_eq_u32_e64 s[0:1], 2, v100
	v_cndmask_b32_e64 v105, v105, v39, s[0:1]
	v_cndmask_b32_e32 v108, v34, v36, vcc
	v_cmp_eq_u32_e32 vcc, 0, v102
	v_cmp_eq_u32_e64 s[4:5], 3, v100
	v_cndmask_b32_e64 v105, v105, v41, s[4:5]
	v_cndmask_b32_e64 v108, v108, v38, s[0:1]
	s_or_b64 s[10:11], vcc, s[10:11]
	v_cmp_eq_u32_e32 vcc, 4, v100
	v_cndmask_b32_e32 v105, v105, v43, vcc
	v_cndmask_b32_e64 v108, v108, v40, s[4:5]
	v_cmp_eq_u32_e64 s[0:1], 5, v100
	v_cndmask_b32_e64 v105, v105, v45, s[0:1]
	v_cndmask_b32_e32 v108, v108, v42, vcc
	v_cmp_eq_u32_e32 vcc, 6, v100
	v_cndmask_b32_e32 v105, v105, v47, vcc
	v_cndmask_b32_e64 v108, v108, v44, s[0:1]
	v_cmp_eq_u32_e64 s[0:1], 7, v100
	v_cndmask_b32_e64 v105, v105, v49, s[0:1]
	v_cndmask_b32_e32 v108, v108, v46, vcc
	;; [unrolled: 6-line block ×4, first 2 shown]
	v_cmp_eq_u32_e32 vcc, 12, v100
	ds_read_b64 v[106:107], v104
	v_cndmask_b32_e32 v105, v105, v59, vcc
	v_cndmask_b32_e64 v108, v108, v56, s[0:1]
	v_cmp_eq_u32_e64 s[0:1], 13, v100
	v_cndmask_b32_e64 v105, v105, v61, s[0:1]
	v_cndmask_b32_e32 v108, v108, v58, vcc
	v_cmp_eq_u32_e32 vcc, 14, v100
	v_cndmask_b32_e32 v105, v105, v63, vcc
	v_cmp_eq_u32_e64 s[4:5], 15, v100
	v_cndmask_b32_e64 v108, v108, v60, s[0:1]
	v_cndmask_b32_e64 v109, v105, v65, s[4:5]
	v_cndmask_b32_e32 v105, v108, v62, vcc
	v_add_co_u32_e64 v100, s[0:1], 1, v100
	v_cndmask_b32_e64 v108, v105, v64, s[4:5]
	v_add_u32_e32 v104, 8, v104
	v_addc_co_u32_e64 v101, s[0:1], 0, v101, s[0:1]
	s_waitcnt lgkmcnt(0)
	v_fmac_f64_e32 v[98:99], v[108:109], v[106:107]
	s_andn2_b64 exec, exec, s[10:11]
	s_cbranch_execnz .LBB79_109
; %bb.110:
	s_or_b64 exec, exec, s[10:11]
.LBB79_111:
	s_or_b64 exec, exec, s[8:9]
.LBB79_112:
	s_or_b64 exec, exec, s[6:7]
	v_mov_b32_e32 v48, 0
	ds_read_b64 v[48:49], v48 offset:56
	s_waitcnt lgkmcnt(0)
	v_mul_f64 v[48:49], v[98:99], v[48:49]
.LBB79_113:
	s_or_b64 exec, exec, s[36:37]
	v_cmp_lt_u32_e64 s[0:1], 6, v0
	ds_write_b64 v103, v[46:47]
	s_waitcnt lgkmcnt(0)
	; wave barrier
	s_waitcnt lgkmcnt(0)
	s_and_saveexec_b64 s[36:37], s[0:1]
	s_cbranch_execz .LBB79_129
; %bb.114:
	s_andn2_b64 vcc, exec, s[34:35]
	s_cbranch_vccnz .LBB79_116
; %bb.115:
	v_cmp_eq_u32_e32 vcc, 1, v0
	v_cndmask_b32_e32 v98, v35, v37, vcc
	v_cmp_eq_u32_e64 s[4:5], 2, v0
	v_cndmask_b32_e64 v98, v98, v39, s[4:5]
	v_cmp_eq_u32_e64 s[6:7], 3, v0
	v_cndmask_b32_e64 v98, v98, v41, s[6:7]
	;; [unrolled: 2-line block ×14, first 2 shown]
	v_cndmask_b32_e32 v98, v34, v36, vcc
	v_cndmask_b32_e64 v98, v98, v38, s[4:5]
	v_cndmask_b32_e64 v98, v98, v40, s[6:7]
	;; [unrolled: 1-line block ×10, first 2 shown]
	ds_read_b64 v[100:101], v103
	v_cndmask_b32_e64 v98, v98, v58, s[24:25]
	v_cndmask_b32_e64 v98, v98, v60, s[26:27]
	;; [unrolled: 1-line block ×4, first 2 shown]
	s_waitcnt lgkmcnt(0)
	v_mul_f64 v[98:99], v[98:99], v[100:101]
	s_cbranch_execz .LBB79_117
	s_branch .LBB79_118
.LBB79_116:
                                        ; implicit-def: $vgpr98_vgpr99
.LBB79_117:
	ds_read_b64 v[98:99], v103
.LBB79_118:
	s_and_saveexec_b64 s[6:7], s[2:3]
	s_cbranch_execz .LBB79_128
; %bb.119:
	v_add_u32_e32 v100, -8, v0
	v_add_u32_e32 v101, -7, v0
	v_cmp_lt_u32_e32 vcc, 6, v100
	v_mov_b32_e32 v100, 7
	s_and_saveexec_b64 s[2:3], vcc
	s_cbranch_execz .LBB79_123
; %bb.120:
	v_and_b32_e32 v100, -8, v101
	v_sub_u32_e32 v102, 0, v100
	s_mov_b64 s[4:5], 14
	s_movk_i32 s10, 0xb8
	s_mov_b64 s[8:9], 0
.LBB79_121:                             ; =>This Inner Loop Header: Depth=1
	s_lshl_b32 s11, s4, 1
	s_add_i32 s12, s11, -13
	v_mov_b32_e32 v118, s10
	s_add_i32 s13, s11, -14
	s_set_gpr_idx_on s12, gpr_idx(SRC0)
	v_mov_b32_e32 v113, v34
	s_set_gpr_idx_off
	s_add_i32 s14, s11, -11
	s_set_gpr_idx_on s13, gpr_idx(SRC0)
	v_mov_b32_e32 v112, v34
	s_set_gpr_idx_off
	ds_read2_b64 v[104:107], v118 offset1:1
	s_add_i32 s15, s11, -12
	s_set_gpr_idx_on s14, gpr_idx(SRC0)
	v_mov_b32_e32 v115, v34
	s_set_gpr_idx_off
	s_add_i32 s16, s11, -9
	s_set_gpr_idx_on s15, gpr_idx(SRC0)
	v_mov_b32_e32 v114, v34
	s_set_gpr_idx_off
	;; [unrolled: 4-line block ×4, first 2 shown]
	ds_read2_b64 v[108:111], v118 offset0:2 offset1:3
	s_add_i32 s19, s11, -8
	s_waitcnt lgkmcnt(1)
	v_fmac_f64_e32 v[98:99], v[112:113], v[104:105]
	s_set_gpr_idx_on s18, gpr_idx(SRC0)
	v_mov_b32_e32 v113, v34
	s_set_gpr_idx_off
	s_add_i32 s20, s11, -5
	v_fmac_f64_e32 v[98:99], v[114:115], v[106:107]
	s_set_gpr_idx_on s19, gpr_idx(SRC0)
	v_mov_b32_e32 v112, v34
	s_set_gpr_idx_off
	s_add_i32 s21, s11, -6
	s_set_gpr_idx_on s20, gpr_idx(SRC0)
	v_mov_b32_e32 v115, v34
	s_set_gpr_idx_off
	s_add_i32 s22, s11, -3
	;; [unrolled: 4-line block ×3, first 2 shown]
	ds_read2_b64 v[104:107], v118 offset0:4 offset1:5
	s_waitcnt lgkmcnt(1)
	v_fmac_f64_e32 v[98:99], v[116:117], v[108:109]
	s_set_gpr_idx_on s22, gpr_idx(SRC0)
	v_mov_b32_e32 v117, v34
	s_set_gpr_idx_off
	s_add_i32 s24, s11, -1
	v_fmac_f64_e32 v[98:99], v[112:113], v[110:111]
	s_set_gpr_idx_on s23, gpr_idx(SRC0)
	v_mov_b32_e32 v116, v34
	s_set_gpr_idx_off
	s_add_i32 s25, s11, -2
	s_set_gpr_idx_on s24, gpr_idx(SRC0)
	v_mov_b32_e32 v113, v34
	s_set_gpr_idx_off
	s_set_gpr_idx_on s25, gpr_idx(SRC0)
	v_mov_b32_e32 v112, v34
	s_set_gpr_idx_off
	ds_read2_b64 v[108:111], v118 offset0:6 offset1:7
	s_add_u32 s4, s4, 8
	s_waitcnt lgkmcnt(1)
	v_fmac_f64_e32 v[98:99], v[114:115], v[104:105]
	s_set_gpr_idx_on s11, gpr_idx(SRC0)
	v_mov_b32_e32 v105, v35
	s_set_gpr_idx_off
	v_add_u32_e32 v100, s4, v102
	v_fmac_f64_e32 v[98:99], v[116:117], v[106:107]
	s_set_gpr_idx_on s11, gpr_idx(SRC0)
	v_mov_b32_e32 v104, v34
	s_set_gpr_idx_off
	s_addc_u32 s5, s5, 0
	s_add_i32 s10, s10, 64
	s_add_i32 s12, s4, -7
	v_cmp_eq_u32_e32 vcc, 14, v100
	s_waitcnt lgkmcnt(0)
	v_fmac_f64_e32 v[98:99], v[112:113], v[108:109]
	v_mov_b32_e32 v100, s12
	s_or_b64 s[8:9], vcc, s[8:9]
	v_fmac_f64_e32 v[98:99], v[104:105], v[110:111]
	s_andn2_b64 exec, exec, s[8:9]
	s_cbranch_execnz .LBB79_121
; %bb.122:
	s_or_b64 exec, exec, s[8:9]
.LBB79_123:
	s_or_b64 exec, exec, s[2:3]
	v_and_b32_e32 v102, 7, v101
	v_cmp_ne_u32_e32 vcc, 0, v102
	s_and_saveexec_b64 s[8:9], vcc
	s_cbranch_execz .LBB79_127
; %bb.124:
	v_mov_b32_e32 v101, 0x80
	v_lshl_add_u32 v104, v100, 3, v101
	v_mov_b32_e32 v101, 0
	s_mov_b64 s[10:11], 0
.LBB79_125:                             ; =>This Inner Loop Header: Depth=1
	v_cmp_eq_u32_e32 vcc, 1, v100
	v_cndmask_b32_e32 v105, v35, v37, vcc
	v_add_u32_e32 v102, -1, v102
	v_cmp_eq_u32_e64 s[2:3], 2, v100
	v_cndmask_b32_e64 v105, v105, v39, s[2:3]
	v_cndmask_b32_e32 v108, v34, v36, vcc
	v_cmp_eq_u32_e32 vcc, 0, v102
	v_cmp_eq_u32_e64 s[4:5], 3, v100
	v_cndmask_b32_e64 v105, v105, v41, s[4:5]
	v_cndmask_b32_e64 v108, v108, v38, s[2:3]
	s_or_b64 s[10:11], vcc, s[10:11]
	v_cmp_eq_u32_e32 vcc, 4, v100
	v_cndmask_b32_e32 v105, v105, v43, vcc
	v_cndmask_b32_e64 v108, v108, v40, s[4:5]
	v_cmp_eq_u32_e64 s[2:3], 5, v100
	v_cndmask_b32_e64 v105, v105, v45, s[2:3]
	v_cndmask_b32_e32 v108, v108, v42, vcc
	v_cmp_eq_u32_e32 vcc, 6, v100
	v_cndmask_b32_e32 v105, v105, v47, vcc
	v_cndmask_b32_e64 v108, v108, v44, s[2:3]
	v_cmp_eq_u32_e64 s[2:3], 7, v100
	v_cndmask_b32_e64 v105, v105, v49, s[2:3]
	v_cndmask_b32_e32 v108, v108, v46, vcc
	;; [unrolled: 6-line block ×4, first 2 shown]
	v_cmp_eq_u32_e32 vcc, 12, v100
	ds_read_b64 v[106:107], v104
	v_cndmask_b32_e32 v105, v105, v59, vcc
	v_cndmask_b32_e64 v108, v108, v56, s[2:3]
	v_cmp_eq_u32_e64 s[2:3], 13, v100
	v_cndmask_b32_e64 v105, v105, v61, s[2:3]
	v_cndmask_b32_e32 v108, v108, v58, vcc
	v_cmp_eq_u32_e32 vcc, 14, v100
	v_cndmask_b32_e32 v105, v105, v63, vcc
	v_cmp_eq_u32_e64 s[4:5], 15, v100
	v_cndmask_b32_e64 v108, v108, v60, s[2:3]
	v_cndmask_b32_e64 v109, v105, v65, s[4:5]
	v_cndmask_b32_e32 v105, v108, v62, vcc
	v_add_co_u32_e64 v100, s[2:3], 1, v100
	v_cndmask_b32_e64 v108, v105, v64, s[4:5]
	v_add_u32_e32 v104, 8, v104
	v_addc_co_u32_e64 v101, s[2:3], 0, v101, s[2:3]
	s_waitcnt lgkmcnt(0)
	v_fmac_f64_e32 v[98:99], v[108:109], v[106:107]
	s_andn2_b64 exec, exec, s[10:11]
	s_cbranch_execnz .LBB79_125
; %bb.126:
	s_or_b64 exec, exec, s[10:11]
.LBB79_127:
	s_or_b64 exec, exec, s[8:9]
.LBB79_128:
	s_or_b64 exec, exec, s[6:7]
	v_mov_b32_e32 v46, 0
	ds_read_b64 v[46:47], v46 offset:48
	s_waitcnt lgkmcnt(0)
	v_mul_f64 v[46:47], v[98:99], v[46:47]
.LBB79_129:
	s_or_b64 exec, exec, s[36:37]
	v_cmp_lt_u32_e64 s[2:3], 5, v0
	ds_write_b64 v103, v[44:45]
	s_waitcnt lgkmcnt(0)
	; wave barrier
	s_waitcnt lgkmcnt(0)
	s_and_saveexec_b64 s[36:37], s[2:3]
	s_cbranch_execz .LBB79_145
; %bb.130:
	s_andn2_b64 vcc, exec, s[34:35]
	s_cbranch_vccnz .LBB79_132
; %bb.131:
	v_cmp_eq_u32_e32 vcc, 1, v0
	v_cndmask_b32_e32 v98, v35, v37, vcc
	v_cmp_eq_u32_e64 s[4:5], 2, v0
	v_cndmask_b32_e64 v98, v98, v39, s[4:5]
	v_cmp_eq_u32_e64 s[6:7], 3, v0
	v_cndmask_b32_e64 v98, v98, v41, s[6:7]
	;; [unrolled: 2-line block ×14, first 2 shown]
	v_cndmask_b32_e32 v98, v34, v36, vcc
	v_cndmask_b32_e64 v98, v98, v38, s[4:5]
	v_cndmask_b32_e64 v98, v98, v40, s[6:7]
	;; [unrolled: 1-line block ×10, first 2 shown]
	ds_read_b64 v[100:101], v103
	v_cndmask_b32_e64 v98, v98, v58, s[24:25]
	v_cndmask_b32_e64 v98, v98, v60, s[26:27]
	;; [unrolled: 1-line block ×4, first 2 shown]
	s_waitcnt lgkmcnt(0)
	v_mul_f64 v[98:99], v[98:99], v[100:101]
	s_cbranch_execz .LBB79_133
	s_branch .LBB79_134
.LBB79_132:
                                        ; implicit-def: $vgpr98_vgpr99
.LBB79_133:
	ds_read_b64 v[98:99], v103
.LBB79_134:
	s_and_saveexec_b64 s[6:7], s[0:1]
	s_cbranch_execz .LBB79_144
; %bb.135:
	v_add_u32_e32 v100, -7, v0
	v_add_u32_e32 v101, -6, v0
	v_cmp_lt_u32_e32 vcc, 6, v100
	v_mov_b32_e32 v100, 6
	s_and_saveexec_b64 s[0:1], vcc
	s_cbranch_execz .LBB79_139
; %bb.136:
	v_and_b32_e32 v100, -8, v101
	v_sub_u32_e32 v102, 0, v100
	s_mov_b64 s[4:5], 13
	s_movk_i32 s10, 0xb0
	s_mov_b64 s[8:9], 0
.LBB79_137:                             ; =>This Inner Loop Header: Depth=1
	s_lshl_b32 s11, s4, 1
	s_add_i32 s12, s11, -13
	s_add_i32 s13, s11, -14
	s_set_gpr_idx_on s12, gpr_idx(SRC0)
	v_mov_b32_e32 v121, v34
	s_set_gpr_idx_off
	v_mov_b32_e32 v100, s10
	s_add_i32 s14, s11, -11
	s_set_gpr_idx_on s13, gpr_idx(SRC0)
	v_mov_b32_e32 v120, v34
	s_set_gpr_idx_off
	s_add_i32 s15, s11, -12
	ds_read_b128 v[104:107], v100
	ds_read_b128 v[108:111], v100 offset:16
	ds_read_b128 v[112:115], v100 offset:32
	;; [unrolled: 1-line block ×3, first 2 shown]
	s_set_gpr_idx_on s14, gpr_idx(SRC0)
	v_mov_b32_e32 v123, v34
	s_set_gpr_idx_off
	s_add_i32 s16, s11, -9
	s_set_gpr_idx_on s15, gpr_idx(SRC0)
	v_mov_b32_e32 v122, v34
	s_set_gpr_idx_off
	s_add_i32 s17, s11, -10
	;; [unrolled: 4-line block ×4, first 2 shown]
	s_waitcnt lgkmcnt(3)
	v_fmac_f64_e32 v[98:99], v[120:121], v[104:105]
	s_set_gpr_idx_on s18, gpr_idx(SRC0)
	v_mov_b32_e32 v105, v34
	s_set_gpr_idx_off
	s_add_i32 s20, s11, -5
	v_fmac_f64_e32 v[98:99], v[122:123], v[106:107]
	s_set_gpr_idx_on s19, gpr_idx(SRC0)
	v_mov_b32_e32 v104, v34
	s_set_gpr_idx_off
	s_add_i32 s21, s11, -6
	s_waitcnt lgkmcnt(2)
	v_fmac_f64_e32 v[98:99], v[124:125], v[108:109]
	s_set_gpr_idx_on s20, gpr_idx(SRC0)
	v_mov_b32_e32 v107, v34
	s_set_gpr_idx_off
	s_add_i32 s22, s11, -3
	v_fmac_f64_e32 v[98:99], v[104:105], v[110:111]
	s_set_gpr_idx_on s21, gpr_idx(SRC0)
	v_mov_b32_e32 v106, v34
	s_set_gpr_idx_off
	s_add_i32 s23, s11, -4
	s_waitcnt lgkmcnt(1)
	v_fmac_f64_e32 v[98:99], v[106:107], v[112:113]
	s_set_gpr_idx_on s22, gpr_idx(SRC0)
	v_mov_b32_e32 v105, v34
	s_set_gpr_idx_off
	s_add_i32 s24, s11, -1
	s_set_gpr_idx_on s23, gpr_idx(SRC0)
	v_mov_b32_e32 v104, v34
	s_set_gpr_idx_off
	s_add_i32 s25, s11, -2
	v_fmac_f64_e32 v[98:99], v[104:105], v[114:115]
	s_set_gpr_idx_on s24, gpr_idx(SRC0)
	v_mov_b32_e32 v105, v34
	s_set_gpr_idx_off
	s_add_u32 s4, s4, 8
	s_set_gpr_idx_on s25, gpr_idx(SRC0)
	v_mov_b32_e32 v104, v34
	s_set_gpr_idx_off
	v_add_u32_e32 v100, s4, v102
	s_waitcnt lgkmcnt(0)
	v_fmac_f64_e32 v[98:99], v[104:105], v[116:117]
	s_set_gpr_idx_on s11, gpr_idx(SRC0)
	v_mov_b32_e32 v105, v35
	s_set_gpr_idx_off
	s_addc_u32 s5, s5, 0
	s_add_i32 s10, s10, 64
	s_add_i32 s12, s4, -7
	v_cmp_eq_u32_e32 vcc, 13, v100
	s_set_gpr_idx_on s11, gpr_idx(SRC0)
	v_mov_b32_e32 v104, v34
	s_set_gpr_idx_off
	v_mov_b32_e32 v100, s12
	s_or_b64 s[8:9], vcc, s[8:9]
	v_fmac_f64_e32 v[98:99], v[104:105], v[118:119]
	s_andn2_b64 exec, exec, s[8:9]
	s_cbranch_execnz .LBB79_137
; %bb.138:
	s_or_b64 exec, exec, s[8:9]
.LBB79_139:
	s_or_b64 exec, exec, s[0:1]
	v_and_b32_e32 v102, 7, v101
	v_cmp_ne_u32_e32 vcc, 0, v102
	s_and_saveexec_b64 s[8:9], vcc
	s_cbranch_execz .LBB79_143
; %bb.140:
	v_mov_b32_e32 v101, 0x80
	v_lshl_add_u32 v104, v100, 3, v101
	v_mov_b32_e32 v101, 0
	s_mov_b64 s[10:11], 0
.LBB79_141:                             ; =>This Inner Loop Header: Depth=1
	v_cmp_eq_u32_e32 vcc, 1, v100
	v_cndmask_b32_e32 v105, v35, v37, vcc
	v_add_u32_e32 v102, -1, v102
	v_cmp_eq_u32_e64 s[0:1], 2, v100
	v_cndmask_b32_e64 v105, v105, v39, s[0:1]
	v_cndmask_b32_e32 v108, v34, v36, vcc
	v_cmp_eq_u32_e32 vcc, 0, v102
	v_cmp_eq_u32_e64 s[4:5], 3, v100
	v_cndmask_b32_e64 v105, v105, v41, s[4:5]
	v_cndmask_b32_e64 v108, v108, v38, s[0:1]
	s_or_b64 s[10:11], vcc, s[10:11]
	v_cmp_eq_u32_e32 vcc, 4, v100
	v_cndmask_b32_e32 v105, v105, v43, vcc
	v_cndmask_b32_e64 v108, v108, v40, s[4:5]
	v_cmp_eq_u32_e64 s[0:1], 5, v100
	v_cndmask_b32_e64 v105, v105, v45, s[0:1]
	v_cndmask_b32_e32 v108, v108, v42, vcc
	v_cmp_eq_u32_e32 vcc, 6, v100
	v_cndmask_b32_e32 v105, v105, v47, vcc
	v_cndmask_b32_e64 v108, v108, v44, s[0:1]
	v_cmp_eq_u32_e64 s[0:1], 7, v100
	v_cndmask_b32_e64 v105, v105, v49, s[0:1]
	v_cndmask_b32_e32 v108, v108, v46, vcc
	;; [unrolled: 6-line block ×4, first 2 shown]
	v_cmp_eq_u32_e32 vcc, 12, v100
	ds_read_b64 v[106:107], v104
	v_cndmask_b32_e32 v105, v105, v59, vcc
	v_cndmask_b32_e64 v108, v108, v56, s[0:1]
	v_cmp_eq_u32_e64 s[0:1], 13, v100
	v_cndmask_b32_e64 v105, v105, v61, s[0:1]
	v_cndmask_b32_e32 v108, v108, v58, vcc
	v_cmp_eq_u32_e32 vcc, 14, v100
	v_cndmask_b32_e32 v105, v105, v63, vcc
	v_cmp_eq_u32_e64 s[4:5], 15, v100
	v_cndmask_b32_e64 v108, v108, v60, s[0:1]
	v_cndmask_b32_e64 v109, v105, v65, s[4:5]
	v_cndmask_b32_e32 v105, v108, v62, vcc
	v_add_co_u32_e64 v100, s[0:1], 1, v100
	v_cndmask_b32_e64 v108, v105, v64, s[4:5]
	v_add_u32_e32 v104, 8, v104
	v_addc_co_u32_e64 v101, s[0:1], 0, v101, s[0:1]
	s_waitcnt lgkmcnt(0)
	v_fmac_f64_e32 v[98:99], v[108:109], v[106:107]
	s_andn2_b64 exec, exec, s[10:11]
	s_cbranch_execnz .LBB79_141
; %bb.142:
	s_or_b64 exec, exec, s[10:11]
.LBB79_143:
	s_or_b64 exec, exec, s[8:9]
.LBB79_144:
	s_or_b64 exec, exec, s[6:7]
	v_mov_b32_e32 v44, 0
	ds_read_b64 v[44:45], v44 offset:40
	s_waitcnt lgkmcnt(0)
	v_mul_f64 v[44:45], v[98:99], v[44:45]
.LBB79_145:
	s_or_b64 exec, exec, s[36:37]
	v_cmp_lt_u32_e64 s[0:1], 4, v0
	ds_write_b64 v103, v[42:43]
	s_waitcnt lgkmcnt(0)
	; wave barrier
	s_waitcnt lgkmcnt(0)
	s_and_saveexec_b64 s[36:37], s[0:1]
	s_cbranch_execz .LBB79_161
; %bb.146:
	s_andn2_b64 vcc, exec, s[34:35]
	s_cbranch_vccnz .LBB79_148
; %bb.147:
	v_cmp_eq_u32_e32 vcc, 1, v0
	v_cndmask_b32_e32 v98, v35, v37, vcc
	v_cmp_eq_u32_e64 s[4:5], 2, v0
	v_cndmask_b32_e64 v98, v98, v39, s[4:5]
	v_cmp_eq_u32_e64 s[6:7], 3, v0
	v_cndmask_b32_e64 v98, v98, v41, s[6:7]
	;; [unrolled: 2-line block ×14, first 2 shown]
	v_cndmask_b32_e32 v98, v34, v36, vcc
	v_cndmask_b32_e64 v98, v98, v38, s[4:5]
	v_cndmask_b32_e64 v98, v98, v40, s[6:7]
	v_cndmask_b32_e64 v98, v98, v42, s[8:9]
	v_cndmask_b32_e64 v98, v98, v44, s[10:11]
	v_cndmask_b32_e64 v98, v98, v46, s[12:13]
	v_cndmask_b32_e64 v98, v98, v48, s[14:15]
	v_cndmask_b32_e64 v98, v98, v50, s[16:17]
	v_cndmask_b32_e64 v98, v98, v52, s[18:19]
	v_cndmask_b32_e64 v98, v98, v54, s[20:21]
	v_cndmask_b32_e64 v98, v98, v56, s[22:23]
	ds_read_b64 v[100:101], v103
	v_cndmask_b32_e64 v98, v98, v58, s[24:25]
	v_cndmask_b32_e64 v98, v98, v60, s[26:27]
	;; [unrolled: 1-line block ×4, first 2 shown]
	s_waitcnt lgkmcnt(0)
	v_mul_f64 v[98:99], v[98:99], v[100:101]
	s_cbranch_execz .LBB79_149
	s_branch .LBB79_150
.LBB79_148:
                                        ; implicit-def: $vgpr98_vgpr99
.LBB79_149:
	ds_read_b64 v[98:99], v103
.LBB79_150:
	s_and_saveexec_b64 s[6:7], s[2:3]
	s_cbranch_execz .LBB79_160
; %bb.151:
	v_add_u32_e32 v100, -6, v0
	v_add_u32_e32 v101, -5, v0
	v_cmp_lt_u32_e32 vcc, 6, v100
	v_mov_b32_e32 v100, 5
	s_and_saveexec_b64 s[2:3], vcc
	s_cbranch_execz .LBB79_155
; %bb.152:
	v_and_b32_e32 v100, -8, v101
	v_sub_u32_e32 v102, 0, v100
	s_mov_b64 s[4:5], 12
	s_movk_i32 s10, 0xa8
	s_mov_b64 s[8:9], 0
.LBB79_153:                             ; =>This Inner Loop Header: Depth=1
	s_lshl_b32 s11, s4, 1
	s_add_i32 s12, s11, -13
	v_mov_b32_e32 v118, s10
	s_add_i32 s13, s11, -14
	s_set_gpr_idx_on s12, gpr_idx(SRC0)
	v_mov_b32_e32 v113, v34
	s_set_gpr_idx_off
	s_add_i32 s14, s11, -11
	s_set_gpr_idx_on s13, gpr_idx(SRC0)
	v_mov_b32_e32 v112, v34
	s_set_gpr_idx_off
	ds_read2_b64 v[104:107], v118 offset1:1
	s_add_i32 s15, s11, -12
	s_set_gpr_idx_on s14, gpr_idx(SRC0)
	v_mov_b32_e32 v115, v34
	s_set_gpr_idx_off
	s_add_i32 s16, s11, -9
	s_set_gpr_idx_on s15, gpr_idx(SRC0)
	v_mov_b32_e32 v114, v34
	s_set_gpr_idx_off
	;; [unrolled: 4-line block ×4, first 2 shown]
	ds_read2_b64 v[108:111], v118 offset0:2 offset1:3
	s_add_i32 s19, s11, -8
	s_waitcnt lgkmcnt(1)
	v_fmac_f64_e32 v[98:99], v[112:113], v[104:105]
	s_set_gpr_idx_on s18, gpr_idx(SRC0)
	v_mov_b32_e32 v113, v34
	s_set_gpr_idx_off
	s_add_i32 s20, s11, -5
	v_fmac_f64_e32 v[98:99], v[114:115], v[106:107]
	s_set_gpr_idx_on s19, gpr_idx(SRC0)
	v_mov_b32_e32 v112, v34
	s_set_gpr_idx_off
	s_add_i32 s21, s11, -6
	s_set_gpr_idx_on s20, gpr_idx(SRC0)
	v_mov_b32_e32 v115, v34
	s_set_gpr_idx_off
	s_add_i32 s22, s11, -3
	;; [unrolled: 4-line block ×3, first 2 shown]
	ds_read2_b64 v[104:107], v118 offset0:4 offset1:5
	s_waitcnt lgkmcnt(1)
	v_fmac_f64_e32 v[98:99], v[116:117], v[108:109]
	s_set_gpr_idx_on s22, gpr_idx(SRC0)
	v_mov_b32_e32 v117, v34
	s_set_gpr_idx_off
	s_add_i32 s24, s11, -1
	v_fmac_f64_e32 v[98:99], v[112:113], v[110:111]
	s_set_gpr_idx_on s23, gpr_idx(SRC0)
	v_mov_b32_e32 v116, v34
	s_set_gpr_idx_off
	s_add_i32 s25, s11, -2
	s_set_gpr_idx_on s24, gpr_idx(SRC0)
	v_mov_b32_e32 v113, v34
	s_set_gpr_idx_off
	s_set_gpr_idx_on s25, gpr_idx(SRC0)
	v_mov_b32_e32 v112, v34
	s_set_gpr_idx_off
	ds_read2_b64 v[108:111], v118 offset0:6 offset1:7
	s_add_u32 s4, s4, 8
	s_waitcnt lgkmcnt(1)
	v_fmac_f64_e32 v[98:99], v[114:115], v[104:105]
	s_set_gpr_idx_on s11, gpr_idx(SRC0)
	v_mov_b32_e32 v105, v35
	s_set_gpr_idx_off
	v_add_u32_e32 v100, s4, v102
	v_fmac_f64_e32 v[98:99], v[116:117], v[106:107]
	s_set_gpr_idx_on s11, gpr_idx(SRC0)
	v_mov_b32_e32 v104, v34
	s_set_gpr_idx_off
	s_addc_u32 s5, s5, 0
	s_add_i32 s10, s10, 64
	s_add_i32 s12, s4, -7
	v_cmp_eq_u32_e32 vcc, 12, v100
	s_waitcnt lgkmcnt(0)
	v_fmac_f64_e32 v[98:99], v[112:113], v[108:109]
	v_mov_b32_e32 v100, s12
	s_or_b64 s[8:9], vcc, s[8:9]
	v_fmac_f64_e32 v[98:99], v[104:105], v[110:111]
	s_andn2_b64 exec, exec, s[8:9]
	s_cbranch_execnz .LBB79_153
; %bb.154:
	s_or_b64 exec, exec, s[8:9]
.LBB79_155:
	s_or_b64 exec, exec, s[2:3]
	v_and_b32_e32 v102, 7, v101
	v_cmp_ne_u32_e32 vcc, 0, v102
	s_and_saveexec_b64 s[8:9], vcc
	s_cbranch_execz .LBB79_159
; %bb.156:
	v_mov_b32_e32 v101, 0x80
	v_lshl_add_u32 v104, v100, 3, v101
	v_mov_b32_e32 v101, 0
	s_mov_b64 s[10:11], 0
.LBB79_157:                             ; =>This Inner Loop Header: Depth=1
	v_cmp_eq_u32_e32 vcc, 1, v100
	v_cndmask_b32_e32 v105, v35, v37, vcc
	v_add_u32_e32 v102, -1, v102
	v_cmp_eq_u32_e64 s[2:3], 2, v100
	v_cndmask_b32_e64 v105, v105, v39, s[2:3]
	v_cndmask_b32_e32 v108, v34, v36, vcc
	v_cmp_eq_u32_e32 vcc, 0, v102
	v_cmp_eq_u32_e64 s[4:5], 3, v100
	v_cndmask_b32_e64 v105, v105, v41, s[4:5]
	v_cndmask_b32_e64 v108, v108, v38, s[2:3]
	s_or_b64 s[10:11], vcc, s[10:11]
	v_cmp_eq_u32_e32 vcc, 4, v100
	v_cndmask_b32_e32 v105, v105, v43, vcc
	v_cndmask_b32_e64 v108, v108, v40, s[4:5]
	v_cmp_eq_u32_e64 s[2:3], 5, v100
	v_cndmask_b32_e64 v105, v105, v45, s[2:3]
	v_cndmask_b32_e32 v108, v108, v42, vcc
	v_cmp_eq_u32_e32 vcc, 6, v100
	v_cndmask_b32_e32 v105, v105, v47, vcc
	v_cndmask_b32_e64 v108, v108, v44, s[2:3]
	v_cmp_eq_u32_e64 s[2:3], 7, v100
	v_cndmask_b32_e64 v105, v105, v49, s[2:3]
	v_cndmask_b32_e32 v108, v108, v46, vcc
	;; [unrolled: 6-line block ×4, first 2 shown]
	v_cmp_eq_u32_e32 vcc, 12, v100
	ds_read_b64 v[106:107], v104
	v_cndmask_b32_e32 v105, v105, v59, vcc
	v_cndmask_b32_e64 v108, v108, v56, s[2:3]
	v_cmp_eq_u32_e64 s[2:3], 13, v100
	v_cndmask_b32_e64 v105, v105, v61, s[2:3]
	v_cndmask_b32_e32 v108, v108, v58, vcc
	v_cmp_eq_u32_e32 vcc, 14, v100
	v_cndmask_b32_e32 v105, v105, v63, vcc
	v_cmp_eq_u32_e64 s[4:5], 15, v100
	v_cndmask_b32_e64 v108, v108, v60, s[2:3]
	v_cndmask_b32_e64 v109, v105, v65, s[4:5]
	v_cndmask_b32_e32 v105, v108, v62, vcc
	v_add_co_u32_e64 v100, s[2:3], 1, v100
	v_cndmask_b32_e64 v108, v105, v64, s[4:5]
	v_add_u32_e32 v104, 8, v104
	v_addc_co_u32_e64 v101, s[2:3], 0, v101, s[2:3]
	s_waitcnt lgkmcnt(0)
	v_fmac_f64_e32 v[98:99], v[108:109], v[106:107]
	s_andn2_b64 exec, exec, s[10:11]
	s_cbranch_execnz .LBB79_157
; %bb.158:
	s_or_b64 exec, exec, s[10:11]
.LBB79_159:
	s_or_b64 exec, exec, s[8:9]
.LBB79_160:
	s_or_b64 exec, exec, s[6:7]
	v_mov_b32_e32 v42, 0
	ds_read_b64 v[42:43], v42 offset:32
	s_waitcnt lgkmcnt(0)
	v_mul_f64 v[42:43], v[98:99], v[42:43]
.LBB79_161:
	s_or_b64 exec, exec, s[36:37]
	v_cmp_lt_u32_e64 s[2:3], 3, v0
	ds_write_b64 v103, v[40:41]
	s_waitcnt lgkmcnt(0)
	; wave barrier
	s_waitcnt lgkmcnt(0)
	s_and_saveexec_b64 s[36:37], s[2:3]
	s_cbranch_execz .LBB79_177
; %bb.162:
	s_andn2_b64 vcc, exec, s[34:35]
	s_cbranch_vccnz .LBB79_164
; %bb.163:
	v_cmp_eq_u32_e32 vcc, 1, v0
	v_cndmask_b32_e32 v98, v35, v37, vcc
	v_cmp_eq_u32_e64 s[4:5], 2, v0
	v_cndmask_b32_e64 v98, v98, v39, s[4:5]
	v_cmp_eq_u32_e64 s[6:7], 3, v0
	v_cndmask_b32_e64 v98, v98, v41, s[6:7]
	;; [unrolled: 2-line block ×14, first 2 shown]
	v_cndmask_b32_e32 v98, v34, v36, vcc
	v_cndmask_b32_e64 v98, v98, v38, s[4:5]
	v_cndmask_b32_e64 v98, v98, v40, s[6:7]
	;; [unrolled: 1-line block ×10, first 2 shown]
	ds_read_b64 v[100:101], v103
	v_cndmask_b32_e64 v98, v98, v58, s[24:25]
	v_cndmask_b32_e64 v98, v98, v60, s[26:27]
	v_cndmask_b32_e64 v98, v98, v62, s[28:29]
	v_cndmask_b32_e64 v98, v98, v64, s[30:31]
	s_waitcnt lgkmcnt(0)
	v_mul_f64 v[98:99], v[98:99], v[100:101]
	s_cbranch_execz .LBB79_165
	s_branch .LBB79_166
.LBB79_164:
                                        ; implicit-def: $vgpr98_vgpr99
.LBB79_165:
	ds_read_b64 v[98:99], v103
.LBB79_166:
	s_and_saveexec_b64 s[6:7], s[0:1]
	s_cbranch_execz .LBB79_176
; %bb.167:
	v_add_u32_e32 v100, -5, v0
	v_add_u32_e32 v101, -4, v0
	v_cmp_lt_u32_e32 vcc, 6, v100
	v_mov_b32_e32 v100, 4
	s_and_saveexec_b64 s[0:1], vcc
	s_cbranch_execz .LBB79_171
; %bb.168:
	v_and_b32_e32 v100, -8, v101
	v_sub_u32_e32 v102, 0, v100
	s_mov_b64 s[4:5], 5
	s_movk_i32 s10, 0xa0
	s_mov_b64 s[8:9], 0
.LBB79_169:                             ; =>This Inner Loop Header: Depth=1
	s_lshl_b32 s11, s4, 1
	s_add_i32 s12, s11, -1
	s_add_i32 s13, s11, -2
	s_set_gpr_idx_on s12, gpr_idx(SRC0)
	v_mov_b32_e32 v121, v34
	s_set_gpr_idx_off
	v_mov_b32_e32 v100, s10
	s_set_gpr_idx_on s13, gpr_idx(SRC0)
	v_mov_b32_e32 v120, v34
	s_set_gpr_idx_off
	ds_read_b128 v[104:107], v100
	ds_read_b128 v[108:111], v100 offset:16
	ds_read_b128 v[112:115], v100 offset:32
	ds_read_b128 v[116:119], v100 offset:48
	s_set_gpr_idx_on s11, gpr_idx(SRC0)
	v_mov_b32_e32 v123, v35
	s_add_i32 s14, s11, 3
	v_mov_b32_e32 v122, v34
	s_set_gpr_idx_off
	s_add_i32 s15, s11, 2
	s_set_gpr_idx_on s14, gpr_idx(SRC0)
	v_mov_b32_e32 v125, v34
	s_set_gpr_idx_off
	s_add_i32 s16, s11, 5
	s_set_gpr_idx_on s15, gpr_idx(SRC0)
	v_mov_b32_e32 v124, v34
	s_set_gpr_idx_off
	s_add_i32 s17, s11, 4
	s_waitcnt lgkmcnt(3)
	v_fmac_f64_e32 v[98:99], v[120:121], v[104:105]
	s_set_gpr_idx_on s16, gpr_idx(SRC0)
	v_mov_b32_e32 v105, v34
	s_set_gpr_idx_off
	s_add_i32 s18, s11, 7
	v_fmac_f64_e32 v[98:99], v[122:123], v[106:107]
	s_set_gpr_idx_on s17, gpr_idx(SRC0)
	v_mov_b32_e32 v104, v34
	s_set_gpr_idx_off
	s_add_i32 s19, s11, 6
	s_waitcnt lgkmcnt(2)
	v_fmac_f64_e32 v[98:99], v[124:125], v[108:109]
	s_set_gpr_idx_on s18, gpr_idx(SRC0)
	v_mov_b32_e32 v107, v34
	s_set_gpr_idx_off
	s_add_i32 s20, s11, 9
	v_fmac_f64_e32 v[98:99], v[104:105], v[110:111]
	s_set_gpr_idx_on s19, gpr_idx(SRC0)
	v_mov_b32_e32 v106, v34
	s_set_gpr_idx_off
	s_add_i32 s21, s11, 8
	s_waitcnt lgkmcnt(1)
	v_fmac_f64_e32 v[98:99], v[106:107], v[112:113]
	s_set_gpr_idx_on s20, gpr_idx(SRC0)
	v_mov_b32_e32 v105, v34
	s_set_gpr_idx_off
	s_add_i32 s22, s11, 11
	s_set_gpr_idx_on s21, gpr_idx(SRC0)
	v_mov_b32_e32 v104, v34
	s_set_gpr_idx_off
	s_add_i32 s23, s11, 10
	s_add_i32 s24, s11, 13
	;; [unrolled: 1-line block ×3, first 2 shown]
	v_fmac_f64_e32 v[98:99], v[104:105], v[114:115]
	s_set_gpr_idx_on s22, gpr_idx(SRC0)
	v_mov_b32_e32 v105, v34
	s_set_gpr_idx_off
	s_add_u32 s4, s4, 8
	s_set_gpr_idx_on s23, gpr_idx(SRC0)
	v_mov_b32_e32 v104, v34
	s_set_gpr_idx_off
	v_add_u32_e32 v100, s4, v102
	s_waitcnt lgkmcnt(0)
	v_fmac_f64_e32 v[98:99], v[104:105], v[116:117]
	s_set_gpr_idx_on s24, gpr_idx(SRC0)
	v_mov_b32_e32 v105, v34
	s_set_gpr_idx_off
	s_addc_u32 s5, s5, 0
	s_add_i32 s10, s10, 64
	s_add_i32 s12, s4, -1
	v_cmp_eq_u32_e32 vcc, 5, v100
	s_set_gpr_idx_on s25, gpr_idx(SRC0)
	v_mov_b32_e32 v104, v34
	s_set_gpr_idx_off
	v_mov_b32_e32 v100, s12
	s_or_b64 s[8:9], vcc, s[8:9]
	v_fmac_f64_e32 v[98:99], v[104:105], v[118:119]
	s_andn2_b64 exec, exec, s[8:9]
	s_cbranch_execnz .LBB79_169
; %bb.170:
	s_or_b64 exec, exec, s[8:9]
.LBB79_171:
	s_or_b64 exec, exec, s[0:1]
	v_and_b32_e32 v102, 7, v101
	v_cmp_ne_u32_e32 vcc, 0, v102
	s_and_saveexec_b64 s[8:9], vcc
	s_cbranch_execz .LBB79_175
; %bb.172:
	v_mov_b32_e32 v101, 0x80
	v_lshl_add_u32 v104, v100, 3, v101
	v_mov_b32_e32 v101, 0
	s_mov_b64 s[10:11], 0
.LBB79_173:                             ; =>This Inner Loop Header: Depth=1
	v_cmp_eq_u32_e32 vcc, 1, v100
	v_cndmask_b32_e32 v105, v35, v37, vcc
	v_add_u32_e32 v102, -1, v102
	v_cmp_eq_u32_e64 s[0:1], 2, v100
	v_cndmask_b32_e64 v105, v105, v39, s[0:1]
	v_cndmask_b32_e32 v108, v34, v36, vcc
	v_cmp_eq_u32_e32 vcc, 0, v102
	v_cmp_eq_u32_e64 s[4:5], 3, v100
	v_cndmask_b32_e64 v105, v105, v41, s[4:5]
	v_cndmask_b32_e64 v108, v108, v38, s[0:1]
	s_or_b64 s[10:11], vcc, s[10:11]
	v_cmp_eq_u32_e32 vcc, 4, v100
	v_cndmask_b32_e32 v105, v105, v43, vcc
	v_cndmask_b32_e64 v108, v108, v40, s[4:5]
	v_cmp_eq_u32_e64 s[0:1], 5, v100
	v_cndmask_b32_e64 v105, v105, v45, s[0:1]
	v_cndmask_b32_e32 v108, v108, v42, vcc
	v_cmp_eq_u32_e32 vcc, 6, v100
	v_cndmask_b32_e32 v105, v105, v47, vcc
	v_cndmask_b32_e64 v108, v108, v44, s[0:1]
	v_cmp_eq_u32_e64 s[0:1], 7, v100
	v_cndmask_b32_e64 v105, v105, v49, s[0:1]
	v_cndmask_b32_e32 v108, v108, v46, vcc
	;; [unrolled: 6-line block ×4, first 2 shown]
	v_cmp_eq_u32_e32 vcc, 12, v100
	ds_read_b64 v[106:107], v104
	v_cndmask_b32_e32 v105, v105, v59, vcc
	v_cndmask_b32_e64 v108, v108, v56, s[0:1]
	v_cmp_eq_u32_e64 s[0:1], 13, v100
	v_cndmask_b32_e64 v105, v105, v61, s[0:1]
	v_cndmask_b32_e32 v108, v108, v58, vcc
	v_cmp_eq_u32_e32 vcc, 14, v100
	v_cndmask_b32_e32 v105, v105, v63, vcc
	v_cmp_eq_u32_e64 s[4:5], 15, v100
	v_cndmask_b32_e64 v108, v108, v60, s[0:1]
	v_cndmask_b32_e64 v109, v105, v65, s[4:5]
	v_cndmask_b32_e32 v105, v108, v62, vcc
	v_add_co_u32_e64 v100, s[0:1], 1, v100
	v_cndmask_b32_e64 v108, v105, v64, s[4:5]
	v_add_u32_e32 v104, 8, v104
	v_addc_co_u32_e64 v101, s[0:1], 0, v101, s[0:1]
	s_waitcnt lgkmcnt(0)
	v_fmac_f64_e32 v[98:99], v[108:109], v[106:107]
	s_andn2_b64 exec, exec, s[10:11]
	s_cbranch_execnz .LBB79_173
; %bb.174:
	s_or_b64 exec, exec, s[10:11]
.LBB79_175:
	s_or_b64 exec, exec, s[8:9]
.LBB79_176:
	s_or_b64 exec, exec, s[6:7]
	v_mov_b32_e32 v40, 0
	ds_read_b64 v[40:41], v40 offset:24
	s_waitcnt lgkmcnt(0)
	v_mul_f64 v[40:41], v[98:99], v[40:41]
.LBB79_177:
	s_or_b64 exec, exec, s[36:37]
	v_cmp_lt_u32_e64 s[0:1], 2, v0
	ds_write_b64 v103, v[38:39]
	s_waitcnt lgkmcnt(0)
	; wave barrier
	s_waitcnt lgkmcnt(0)
	s_and_saveexec_b64 s[36:37], s[0:1]
	s_cbranch_execz .LBB79_193
; %bb.178:
	s_andn2_b64 vcc, exec, s[34:35]
	s_cbranch_vccnz .LBB79_180
; %bb.179:
	v_cmp_eq_u32_e32 vcc, 1, v0
	v_cndmask_b32_e32 v98, v35, v37, vcc
	v_cmp_eq_u32_e64 s[4:5], 2, v0
	v_cndmask_b32_e64 v98, v98, v39, s[4:5]
	v_cmp_eq_u32_e64 s[6:7], 3, v0
	v_cndmask_b32_e64 v98, v98, v41, s[6:7]
	;; [unrolled: 2-line block ×14, first 2 shown]
	v_cndmask_b32_e32 v98, v34, v36, vcc
	v_cndmask_b32_e64 v98, v98, v38, s[4:5]
	v_cndmask_b32_e64 v98, v98, v40, s[6:7]
	;; [unrolled: 1-line block ×10, first 2 shown]
	ds_read_b64 v[100:101], v103
	v_cndmask_b32_e64 v98, v98, v58, s[24:25]
	v_cndmask_b32_e64 v98, v98, v60, s[26:27]
	;; [unrolled: 1-line block ×4, first 2 shown]
	s_waitcnt lgkmcnt(0)
	v_mul_f64 v[98:99], v[98:99], v[100:101]
	s_cbranch_execz .LBB79_181
	s_branch .LBB79_182
.LBB79_180:
                                        ; implicit-def: $vgpr98_vgpr99
.LBB79_181:
	ds_read_b64 v[98:99], v103
.LBB79_182:
	s_and_saveexec_b64 s[6:7], s[2:3]
	s_cbranch_execz .LBB79_192
; %bb.183:
	v_add_u32_e32 v100, -4, v0
	v_add_u32_e32 v101, -3, v0
	v_cmp_lt_u32_e32 vcc, 6, v100
	v_mov_b32_e32 v100, 3
	s_and_saveexec_b64 s[2:3], vcc
	s_cbranch_execz .LBB79_187
; %bb.184:
	v_and_b32_e32 v100, -8, v101
	v_sub_u32_e32 v102, 0, v100
	s_mov_b64 s[4:5], 10
	s_movk_i32 s10, 0x98
	s_mov_b64 s[8:9], 0
.LBB79_185:                             ; =>This Inner Loop Header: Depth=1
	s_lshl_b32 s11, s4, 1
	s_add_i32 s12, s11, -13
	v_mov_b32_e32 v118, s10
	s_add_i32 s13, s11, -14
	s_set_gpr_idx_on s12, gpr_idx(SRC0)
	v_mov_b32_e32 v113, v34
	s_set_gpr_idx_off
	s_add_i32 s14, s11, -11
	s_set_gpr_idx_on s13, gpr_idx(SRC0)
	v_mov_b32_e32 v112, v34
	s_set_gpr_idx_off
	ds_read2_b64 v[104:107], v118 offset1:1
	s_add_i32 s15, s11, -12
	s_set_gpr_idx_on s14, gpr_idx(SRC0)
	v_mov_b32_e32 v115, v34
	s_set_gpr_idx_off
	s_add_i32 s16, s11, -9
	s_set_gpr_idx_on s15, gpr_idx(SRC0)
	v_mov_b32_e32 v114, v34
	s_set_gpr_idx_off
	;; [unrolled: 4-line block ×4, first 2 shown]
	ds_read2_b64 v[108:111], v118 offset0:2 offset1:3
	s_add_i32 s19, s11, -8
	s_waitcnt lgkmcnt(1)
	v_fmac_f64_e32 v[98:99], v[112:113], v[104:105]
	s_set_gpr_idx_on s18, gpr_idx(SRC0)
	v_mov_b32_e32 v113, v34
	s_set_gpr_idx_off
	s_add_i32 s20, s11, -5
	v_fmac_f64_e32 v[98:99], v[114:115], v[106:107]
	s_set_gpr_idx_on s19, gpr_idx(SRC0)
	v_mov_b32_e32 v112, v34
	s_set_gpr_idx_off
	s_add_i32 s21, s11, -6
	s_set_gpr_idx_on s20, gpr_idx(SRC0)
	v_mov_b32_e32 v115, v34
	s_set_gpr_idx_off
	s_add_i32 s22, s11, -3
	;; [unrolled: 4-line block ×3, first 2 shown]
	ds_read2_b64 v[104:107], v118 offset0:4 offset1:5
	s_waitcnt lgkmcnt(1)
	v_fmac_f64_e32 v[98:99], v[116:117], v[108:109]
	s_set_gpr_idx_on s22, gpr_idx(SRC0)
	v_mov_b32_e32 v117, v34
	s_set_gpr_idx_off
	s_add_i32 s24, s11, -1
	v_fmac_f64_e32 v[98:99], v[112:113], v[110:111]
	s_set_gpr_idx_on s23, gpr_idx(SRC0)
	v_mov_b32_e32 v116, v34
	s_set_gpr_idx_off
	s_add_i32 s25, s11, -2
	s_set_gpr_idx_on s24, gpr_idx(SRC0)
	v_mov_b32_e32 v113, v34
	s_set_gpr_idx_off
	s_set_gpr_idx_on s25, gpr_idx(SRC0)
	v_mov_b32_e32 v112, v34
	s_set_gpr_idx_off
	ds_read2_b64 v[108:111], v118 offset0:6 offset1:7
	s_add_u32 s4, s4, 8
	s_waitcnt lgkmcnt(1)
	v_fmac_f64_e32 v[98:99], v[114:115], v[104:105]
	s_set_gpr_idx_on s11, gpr_idx(SRC0)
	v_mov_b32_e32 v105, v35
	s_set_gpr_idx_off
	v_add_u32_e32 v100, s4, v102
	v_fmac_f64_e32 v[98:99], v[116:117], v[106:107]
	s_set_gpr_idx_on s11, gpr_idx(SRC0)
	v_mov_b32_e32 v104, v34
	s_set_gpr_idx_off
	s_addc_u32 s5, s5, 0
	s_add_i32 s10, s10, 64
	s_add_i32 s12, s4, -7
	v_cmp_eq_u32_e32 vcc, 10, v100
	s_waitcnt lgkmcnt(0)
	v_fmac_f64_e32 v[98:99], v[112:113], v[108:109]
	v_mov_b32_e32 v100, s12
	s_or_b64 s[8:9], vcc, s[8:9]
	v_fmac_f64_e32 v[98:99], v[104:105], v[110:111]
	s_andn2_b64 exec, exec, s[8:9]
	s_cbranch_execnz .LBB79_185
; %bb.186:
	s_or_b64 exec, exec, s[8:9]
.LBB79_187:
	s_or_b64 exec, exec, s[2:3]
	v_and_b32_e32 v102, 7, v101
	v_cmp_ne_u32_e32 vcc, 0, v102
	s_and_saveexec_b64 s[8:9], vcc
	s_cbranch_execz .LBB79_191
; %bb.188:
	v_mov_b32_e32 v101, 0x80
	v_lshl_add_u32 v104, v100, 3, v101
	v_mov_b32_e32 v101, 0
	s_mov_b64 s[10:11], 0
.LBB79_189:                             ; =>This Inner Loop Header: Depth=1
	v_cmp_eq_u32_e32 vcc, 1, v100
	v_cndmask_b32_e32 v105, v35, v37, vcc
	v_add_u32_e32 v102, -1, v102
	v_cmp_eq_u32_e64 s[2:3], 2, v100
	v_cndmask_b32_e64 v105, v105, v39, s[2:3]
	v_cndmask_b32_e32 v108, v34, v36, vcc
	v_cmp_eq_u32_e32 vcc, 0, v102
	v_cmp_eq_u32_e64 s[4:5], 3, v100
	v_cndmask_b32_e64 v105, v105, v41, s[4:5]
	v_cndmask_b32_e64 v108, v108, v38, s[2:3]
	s_or_b64 s[10:11], vcc, s[10:11]
	v_cmp_eq_u32_e32 vcc, 4, v100
	v_cndmask_b32_e32 v105, v105, v43, vcc
	v_cndmask_b32_e64 v108, v108, v40, s[4:5]
	v_cmp_eq_u32_e64 s[2:3], 5, v100
	v_cndmask_b32_e64 v105, v105, v45, s[2:3]
	v_cndmask_b32_e32 v108, v108, v42, vcc
	v_cmp_eq_u32_e32 vcc, 6, v100
	v_cndmask_b32_e32 v105, v105, v47, vcc
	v_cndmask_b32_e64 v108, v108, v44, s[2:3]
	v_cmp_eq_u32_e64 s[2:3], 7, v100
	v_cndmask_b32_e64 v105, v105, v49, s[2:3]
	v_cndmask_b32_e32 v108, v108, v46, vcc
	;; [unrolled: 6-line block ×4, first 2 shown]
	v_cmp_eq_u32_e32 vcc, 12, v100
	ds_read_b64 v[106:107], v104
	v_cndmask_b32_e32 v105, v105, v59, vcc
	v_cndmask_b32_e64 v108, v108, v56, s[2:3]
	v_cmp_eq_u32_e64 s[2:3], 13, v100
	v_cndmask_b32_e64 v105, v105, v61, s[2:3]
	v_cndmask_b32_e32 v108, v108, v58, vcc
	v_cmp_eq_u32_e32 vcc, 14, v100
	v_cndmask_b32_e32 v105, v105, v63, vcc
	v_cmp_eq_u32_e64 s[4:5], 15, v100
	v_cndmask_b32_e64 v108, v108, v60, s[2:3]
	v_cndmask_b32_e64 v109, v105, v65, s[4:5]
	v_cndmask_b32_e32 v105, v108, v62, vcc
	v_add_co_u32_e64 v100, s[2:3], 1, v100
	v_cndmask_b32_e64 v108, v105, v64, s[4:5]
	v_add_u32_e32 v104, 8, v104
	v_addc_co_u32_e64 v101, s[2:3], 0, v101, s[2:3]
	s_waitcnt lgkmcnt(0)
	v_fmac_f64_e32 v[98:99], v[108:109], v[106:107]
	s_andn2_b64 exec, exec, s[10:11]
	s_cbranch_execnz .LBB79_189
; %bb.190:
	s_or_b64 exec, exec, s[10:11]
.LBB79_191:
	s_or_b64 exec, exec, s[8:9]
.LBB79_192:
	s_or_b64 exec, exec, s[6:7]
	v_mov_b32_e32 v38, 0
	ds_read_b64 v[38:39], v38 offset:16
	s_waitcnt lgkmcnt(0)
	v_mul_f64 v[38:39], v[98:99], v[38:39]
.LBB79_193:
	s_or_b64 exec, exec, s[36:37]
	v_cmp_lt_u32_e64 s[2:3], 1, v0
	ds_write_b64 v103, v[36:37]
	s_waitcnt lgkmcnt(0)
	; wave barrier
	s_waitcnt lgkmcnt(0)
	s_and_saveexec_b64 s[36:37], s[2:3]
	s_cbranch_execz .LBB79_209
; %bb.194:
	s_andn2_b64 vcc, exec, s[34:35]
	s_cbranch_vccnz .LBB79_196
; %bb.195:
	v_cmp_eq_u32_e32 vcc, 1, v0
	v_cndmask_b32_e32 v98, v35, v37, vcc
	v_cmp_eq_u32_e64 s[4:5], 2, v0
	v_cndmask_b32_e64 v98, v98, v39, s[4:5]
	v_cmp_eq_u32_e64 s[6:7], 3, v0
	v_cndmask_b32_e64 v98, v98, v41, s[6:7]
	;; [unrolled: 2-line block ×14, first 2 shown]
	v_cndmask_b32_e32 v98, v34, v36, vcc
	v_cndmask_b32_e64 v98, v98, v38, s[4:5]
	v_cndmask_b32_e64 v98, v98, v40, s[6:7]
	;; [unrolled: 1-line block ×10, first 2 shown]
	ds_read_b64 v[100:101], v103
	v_cndmask_b32_e64 v98, v98, v58, s[24:25]
	v_cndmask_b32_e64 v98, v98, v60, s[26:27]
	;; [unrolled: 1-line block ×4, first 2 shown]
	s_waitcnt lgkmcnt(0)
	v_mul_f64 v[98:99], v[98:99], v[100:101]
	s_cbranch_execz .LBB79_197
	s_branch .LBB79_198
.LBB79_196:
                                        ; implicit-def: $vgpr98_vgpr99
.LBB79_197:
	ds_read_b64 v[98:99], v103
.LBB79_198:
	s_and_saveexec_b64 s[6:7], s[0:1]
	s_cbranch_execz .LBB79_208
; %bb.199:
	v_add_u32_e32 v100, -3, v0
	v_add_u32_e32 v101, -2, v0
	v_cmp_lt_u32_e32 vcc, 6, v100
	v_mov_b32_e32 v100, 2
	s_and_saveexec_b64 s[0:1], vcc
	s_cbranch_execz .LBB79_203
; %bb.200:
	v_and_b32_e32 v100, -8, v101
	v_sub_u32_e32 v102, 0, v100
	s_mov_b64 s[4:5], 9
	s_movk_i32 s10, 0x90
	s_mov_b64 s[8:9], 0
.LBB79_201:                             ; =>This Inner Loop Header: Depth=1
	s_lshl_b32 s11, s4, 1
	s_add_i32 s12, s11, -13
	s_add_i32 s13, s11, -14
	s_set_gpr_idx_on s12, gpr_idx(SRC0)
	v_mov_b32_e32 v121, v34
	s_set_gpr_idx_off
	v_mov_b32_e32 v100, s10
	s_add_i32 s14, s11, -11
	s_set_gpr_idx_on s13, gpr_idx(SRC0)
	v_mov_b32_e32 v120, v34
	s_set_gpr_idx_off
	s_add_i32 s15, s11, -12
	ds_read_b128 v[104:107], v100
	ds_read_b128 v[108:111], v100 offset:16
	ds_read_b128 v[112:115], v100 offset:32
	;; [unrolled: 1-line block ×3, first 2 shown]
	s_set_gpr_idx_on s14, gpr_idx(SRC0)
	v_mov_b32_e32 v123, v34
	s_set_gpr_idx_off
	s_add_i32 s16, s11, -9
	s_set_gpr_idx_on s15, gpr_idx(SRC0)
	v_mov_b32_e32 v122, v34
	s_set_gpr_idx_off
	s_add_i32 s17, s11, -10
	;; [unrolled: 4-line block ×4, first 2 shown]
	s_waitcnt lgkmcnt(3)
	v_fmac_f64_e32 v[98:99], v[120:121], v[104:105]
	s_set_gpr_idx_on s18, gpr_idx(SRC0)
	v_mov_b32_e32 v105, v34
	s_set_gpr_idx_off
	s_add_i32 s20, s11, -5
	v_fmac_f64_e32 v[98:99], v[122:123], v[106:107]
	s_set_gpr_idx_on s19, gpr_idx(SRC0)
	v_mov_b32_e32 v104, v34
	s_set_gpr_idx_off
	s_add_i32 s21, s11, -6
	s_waitcnt lgkmcnt(2)
	v_fmac_f64_e32 v[98:99], v[124:125], v[108:109]
	s_set_gpr_idx_on s20, gpr_idx(SRC0)
	v_mov_b32_e32 v107, v34
	s_set_gpr_idx_off
	s_add_i32 s22, s11, -3
	v_fmac_f64_e32 v[98:99], v[104:105], v[110:111]
	s_set_gpr_idx_on s21, gpr_idx(SRC0)
	v_mov_b32_e32 v106, v34
	s_set_gpr_idx_off
	s_add_i32 s23, s11, -4
	s_waitcnt lgkmcnt(1)
	v_fmac_f64_e32 v[98:99], v[106:107], v[112:113]
	s_set_gpr_idx_on s22, gpr_idx(SRC0)
	v_mov_b32_e32 v105, v34
	s_set_gpr_idx_off
	s_add_i32 s24, s11, -1
	s_set_gpr_idx_on s23, gpr_idx(SRC0)
	v_mov_b32_e32 v104, v34
	s_set_gpr_idx_off
	s_add_i32 s25, s11, -2
	v_fmac_f64_e32 v[98:99], v[104:105], v[114:115]
	s_set_gpr_idx_on s24, gpr_idx(SRC0)
	v_mov_b32_e32 v105, v34
	s_set_gpr_idx_off
	s_add_u32 s4, s4, 8
	s_set_gpr_idx_on s25, gpr_idx(SRC0)
	v_mov_b32_e32 v104, v34
	s_set_gpr_idx_off
	v_add_u32_e32 v100, s4, v102
	s_waitcnt lgkmcnt(0)
	v_fmac_f64_e32 v[98:99], v[104:105], v[116:117]
	s_set_gpr_idx_on s11, gpr_idx(SRC0)
	v_mov_b32_e32 v105, v35
	s_set_gpr_idx_off
	s_addc_u32 s5, s5, 0
	s_add_i32 s10, s10, 64
	s_add_i32 s12, s4, -7
	v_cmp_eq_u32_e32 vcc, 9, v100
	s_set_gpr_idx_on s11, gpr_idx(SRC0)
	v_mov_b32_e32 v104, v34
	s_set_gpr_idx_off
	v_mov_b32_e32 v100, s12
	s_or_b64 s[8:9], vcc, s[8:9]
	v_fmac_f64_e32 v[98:99], v[104:105], v[118:119]
	s_andn2_b64 exec, exec, s[8:9]
	s_cbranch_execnz .LBB79_201
; %bb.202:
	s_or_b64 exec, exec, s[8:9]
.LBB79_203:
	s_or_b64 exec, exec, s[0:1]
	v_and_b32_e32 v102, 7, v101
	v_cmp_ne_u32_e32 vcc, 0, v102
	s_and_saveexec_b64 s[8:9], vcc
	s_cbranch_execz .LBB79_207
; %bb.204:
	v_mov_b32_e32 v101, 0x80
	v_lshl_add_u32 v104, v100, 3, v101
	v_mov_b32_e32 v101, 0
	s_mov_b64 s[10:11], 0
.LBB79_205:                             ; =>This Inner Loop Header: Depth=1
	v_cmp_eq_u32_e32 vcc, 1, v100
	v_cndmask_b32_e32 v105, v35, v37, vcc
	v_add_u32_e32 v102, -1, v102
	v_cmp_eq_u32_e64 s[0:1], 2, v100
	v_cndmask_b32_e64 v105, v105, v39, s[0:1]
	v_cndmask_b32_e32 v108, v34, v36, vcc
	v_cmp_eq_u32_e32 vcc, 0, v102
	v_cmp_eq_u32_e64 s[4:5], 3, v100
	v_cndmask_b32_e64 v105, v105, v41, s[4:5]
	v_cndmask_b32_e64 v108, v108, v38, s[0:1]
	s_or_b64 s[10:11], vcc, s[10:11]
	v_cmp_eq_u32_e32 vcc, 4, v100
	v_cndmask_b32_e32 v105, v105, v43, vcc
	v_cndmask_b32_e64 v108, v108, v40, s[4:5]
	v_cmp_eq_u32_e64 s[0:1], 5, v100
	v_cndmask_b32_e64 v105, v105, v45, s[0:1]
	v_cndmask_b32_e32 v108, v108, v42, vcc
	v_cmp_eq_u32_e32 vcc, 6, v100
	v_cndmask_b32_e32 v105, v105, v47, vcc
	v_cndmask_b32_e64 v108, v108, v44, s[0:1]
	v_cmp_eq_u32_e64 s[0:1], 7, v100
	v_cndmask_b32_e64 v105, v105, v49, s[0:1]
	v_cndmask_b32_e32 v108, v108, v46, vcc
	;; [unrolled: 6-line block ×4, first 2 shown]
	v_cmp_eq_u32_e32 vcc, 12, v100
	ds_read_b64 v[106:107], v104
	v_cndmask_b32_e32 v105, v105, v59, vcc
	v_cndmask_b32_e64 v108, v108, v56, s[0:1]
	v_cmp_eq_u32_e64 s[0:1], 13, v100
	v_cndmask_b32_e64 v105, v105, v61, s[0:1]
	v_cndmask_b32_e32 v108, v108, v58, vcc
	v_cmp_eq_u32_e32 vcc, 14, v100
	v_cndmask_b32_e32 v105, v105, v63, vcc
	v_cmp_eq_u32_e64 s[4:5], 15, v100
	v_cndmask_b32_e64 v108, v108, v60, s[0:1]
	v_cndmask_b32_e64 v109, v105, v65, s[4:5]
	v_cndmask_b32_e32 v105, v108, v62, vcc
	v_add_co_u32_e64 v100, s[0:1], 1, v100
	v_cndmask_b32_e64 v108, v105, v64, s[4:5]
	v_add_u32_e32 v104, 8, v104
	v_addc_co_u32_e64 v101, s[0:1], 0, v101, s[0:1]
	s_waitcnt lgkmcnt(0)
	v_fmac_f64_e32 v[98:99], v[108:109], v[106:107]
	s_andn2_b64 exec, exec, s[10:11]
	s_cbranch_execnz .LBB79_205
; %bb.206:
	s_or_b64 exec, exec, s[10:11]
.LBB79_207:
	s_or_b64 exec, exec, s[8:9]
.LBB79_208:
	s_or_b64 exec, exec, s[6:7]
	v_mov_b32_e32 v36, 0
	ds_read_b64 v[36:37], v36 offset:8
	s_waitcnt lgkmcnt(0)
	v_mul_f64 v[36:37], v[98:99], v[36:37]
.LBB79_209:
	s_or_b64 exec, exec, s[36:37]
	v_cmp_ne_u32_e32 vcc, 0, v0
	ds_write_b64 v103, v[34:35]
	s_waitcnt lgkmcnt(0)
	; wave barrier
	s_waitcnt lgkmcnt(0)
	s_and_saveexec_b64 s[30:31], vcc
	s_cbranch_execz .LBB79_225
; %bb.210:
	s_andn2_b64 vcc, exec, s[34:35]
	s_cbranch_vccnz .LBB79_212
; %bb.211:
	v_cmp_eq_u32_e32 vcc, 1, v0
	v_cndmask_b32_e32 v98, v35, v37, vcc
	v_cmp_eq_u32_e64 s[0:1], 2, v0
	v_cndmask_b32_e64 v98, v98, v39, s[0:1]
	v_cmp_eq_u32_e64 s[4:5], 3, v0
	v_cndmask_b32_e64 v98, v98, v41, s[4:5]
	;; [unrolled: 2-line block ×14, first 2 shown]
	v_cndmask_b32_e32 v98, v34, v36, vcc
	v_cndmask_b32_e64 v98, v98, v38, s[0:1]
	v_cndmask_b32_e64 v98, v98, v40, s[4:5]
	v_cndmask_b32_e64 v98, v98, v42, s[6:7]
	v_cndmask_b32_e64 v98, v98, v44, s[8:9]
	v_cndmask_b32_e64 v98, v98, v46, s[10:11]
	v_cndmask_b32_e64 v98, v98, v48, s[12:13]
	v_cndmask_b32_e64 v98, v98, v50, s[14:15]
	v_cndmask_b32_e64 v98, v98, v52, s[16:17]
	v_cndmask_b32_e64 v98, v98, v54, s[18:19]
	v_cndmask_b32_e64 v98, v98, v56, s[20:21]
	ds_read_b64 v[100:101], v103
	v_cndmask_b32_e64 v98, v98, v58, s[22:23]
	v_cndmask_b32_e64 v98, v98, v60, s[24:25]
	;; [unrolled: 1-line block ×4, first 2 shown]
	s_waitcnt lgkmcnt(0)
	v_mul_f64 v[98:99], v[98:99], v[100:101]
	s_cbranch_execz .LBB79_213
	s_branch .LBB79_214
.LBB79_212:
                                        ; implicit-def: $vgpr98_vgpr99
.LBB79_213:
	ds_read_b64 v[98:99], v103
.LBB79_214:
	s_and_saveexec_b64 s[4:5], s[2:3]
	s_cbranch_execz .LBB79_224
; %bb.215:
	v_add_u32_e32 v100, -2, v0
	v_add_u32_e32 v101, -1, v0
	v_cmp_lt_u32_e32 vcc, 6, v100
	v_mov_b32_e32 v100, 1
	s_and_saveexec_b64 s[0:1], vcc
	s_cbranch_execz .LBB79_219
; %bb.216:
	v_and_b32_e32 v100, -8, v101
	v_sub_u32_e32 v102, 0, v100
	s_mov_b64 s[2:3], 8
	s_movk_i32 s8, 0x88
	s_mov_b64 s[6:7], 0
.LBB79_217:                             ; =>This Inner Loop Header: Depth=1
	s_lshl_b32 s9, s2, 1
	s_add_i32 s10, s9, -13
	v_mov_b32_e32 v118, s8
	s_add_i32 s11, s9, -14
	s_set_gpr_idx_on s10, gpr_idx(SRC0)
	v_mov_b32_e32 v113, v34
	s_set_gpr_idx_off
	s_add_i32 s12, s9, -11
	s_set_gpr_idx_on s11, gpr_idx(SRC0)
	v_mov_b32_e32 v112, v34
	s_set_gpr_idx_off
	ds_read2_b64 v[104:107], v118 offset1:1
	s_add_i32 s13, s9, -12
	s_set_gpr_idx_on s12, gpr_idx(SRC0)
	v_mov_b32_e32 v115, v34
	s_set_gpr_idx_off
	s_add_i32 s14, s9, -9
	s_set_gpr_idx_on s13, gpr_idx(SRC0)
	v_mov_b32_e32 v114, v34
	s_set_gpr_idx_off
	;; [unrolled: 4-line block ×4, first 2 shown]
	ds_read2_b64 v[108:111], v118 offset0:2 offset1:3
	s_add_i32 s17, s9, -8
	s_waitcnt lgkmcnt(1)
	v_fmac_f64_e32 v[98:99], v[112:113], v[104:105]
	s_set_gpr_idx_on s16, gpr_idx(SRC0)
	v_mov_b32_e32 v113, v34
	s_set_gpr_idx_off
	s_add_i32 s18, s9, -5
	v_fmac_f64_e32 v[98:99], v[114:115], v[106:107]
	s_set_gpr_idx_on s17, gpr_idx(SRC0)
	v_mov_b32_e32 v112, v34
	s_set_gpr_idx_off
	s_add_i32 s19, s9, -6
	s_set_gpr_idx_on s18, gpr_idx(SRC0)
	v_mov_b32_e32 v115, v34
	s_set_gpr_idx_off
	s_add_i32 s20, s9, -3
	;; [unrolled: 4-line block ×3, first 2 shown]
	ds_read2_b64 v[104:107], v118 offset0:4 offset1:5
	s_waitcnt lgkmcnt(1)
	v_fmac_f64_e32 v[98:99], v[116:117], v[108:109]
	s_set_gpr_idx_on s20, gpr_idx(SRC0)
	v_mov_b32_e32 v117, v34
	s_set_gpr_idx_off
	s_add_i32 s22, s9, -1
	v_fmac_f64_e32 v[98:99], v[112:113], v[110:111]
	s_set_gpr_idx_on s21, gpr_idx(SRC0)
	v_mov_b32_e32 v116, v34
	s_set_gpr_idx_off
	s_add_i32 s23, s9, -2
	s_set_gpr_idx_on s22, gpr_idx(SRC0)
	v_mov_b32_e32 v113, v34
	s_set_gpr_idx_off
	s_set_gpr_idx_on s23, gpr_idx(SRC0)
	v_mov_b32_e32 v112, v34
	s_set_gpr_idx_off
	ds_read2_b64 v[108:111], v118 offset0:6 offset1:7
	s_add_u32 s2, s2, 8
	s_waitcnt lgkmcnt(1)
	v_fmac_f64_e32 v[98:99], v[114:115], v[104:105]
	s_set_gpr_idx_on s9, gpr_idx(SRC0)
	v_mov_b32_e32 v105, v35
	s_set_gpr_idx_off
	v_add_u32_e32 v100, s2, v102
	v_fmac_f64_e32 v[98:99], v[116:117], v[106:107]
	s_set_gpr_idx_on s9, gpr_idx(SRC0)
	v_mov_b32_e32 v104, v34
	s_set_gpr_idx_off
	s_addc_u32 s3, s3, 0
	s_add_i32 s8, s8, 64
	s_add_i32 s10, s2, -7
	v_cmp_eq_u32_e32 vcc, 8, v100
	s_waitcnt lgkmcnt(0)
	v_fmac_f64_e32 v[98:99], v[112:113], v[108:109]
	v_mov_b32_e32 v100, s10
	s_or_b64 s[6:7], vcc, s[6:7]
	v_fmac_f64_e32 v[98:99], v[104:105], v[110:111]
	s_andn2_b64 exec, exec, s[6:7]
	s_cbranch_execnz .LBB79_217
; %bb.218:
	s_or_b64 exec, exec, s[6:7]
.LBB79_219:
	s_or_b64 exec, exec, s[0:1]
	v_and_b32_e32 v102, 7, v101
	v_cmp_ne_u32_e32 vcc, 0, v102
	s_and_saveexec_b64 s[6:7], vcc
	s_cbranch_execz .LBB79_223
; %bb.220:
	v_mov_b32_e32 v101, 0x80
	v_lshl_add_u32 v104, v100, 3, v101
	v_mov_b32_e32 v101, 0
	s_mov_b64 s[8:9], 0
.LBB79_221:                             ; =>This Inner Loop Header: Depth=1
	v_cmp_eq_u32_e32 vcc, 1, v100
	v_cndmask_b32_e32 v105, v35, v37, vcc
	v_add_u32_e32 v102, -1, v102
	v_cmp_eq_u32_e64 s[0:1], 2, v100
	v_cndmask_b32_e64 v105, v105, v39, s[0:1]
	v_cndmask_b32_e32 v108, v34, v36, vcc
	v_cmp_eq_u32_e32 vcc, 0, v102
	v_cmp_eq_u32_e64 s[2:3], 3, v100
	v_cndmask_b32_e64 v105, v105, v41, s[2:3]
	v_cndmask_b32_e64 v108, v108, v38, s[0:1]
	s_or_b64 s[8:9], vcc, s[8:9]
	v_cmp_eq_u32_e32 vcc, 4, v100
	v_cndmask_b32_e32 v105, v105, v43, vcc
	v_cndmask_b32_e64 v108, v108, v40, s[2:3]
	v_cmp_eq_u32_e64 s[0:1], 5, v100
	v_cndmask_b32_e64 v105, v105, v45, s[0:1]
	v_cndmask_b32_e32 v108, v108, v42, vcc
	v_cmp_eq_u32_e32 vcc, 6, v100
	v_cndmask_b32_e32 v105, v105, v47, vcc
	v_cndmask_b32_e64 v108, v108, v44, s[0:1]
	v_cmp_eq_u32_e64 s[0:1], 7, v100
	v_cndmask_b32_e64 v105, v105, v49, s[0:1]
	v_cndmask_b32_e32 v108, v108, v46, vcc
	;; [unrolled: 6-line block ×4, first 2 shown]
	v_cmp_eq_u32_e32 vcc, 12, v100
	ds_read_b64 v[106:107], v104
	v_cndmask_b32_e32 v105, v105, v59, vcc
	v_cndmask_b32_e64 v108, v108, v56, s[0:1]
	v_cmp_eq_u32_e64 s[0:1], 13, v100
	v_cndmask_b32_e64 v105, v105, v61, s[0:1]
	v_cndmask_b32_e32 v108, v108, v58, vcc
	v_cmp_eq_u32_e32 vcc, 14, v100
	v_cndmask_b32_e32 v105, v105, v63, vcc
	v_cmp_eq_u32_e64 s[2:3], 15, v100
	v_cndmask_b32_e64 v108, v108, v60, s[0:1]
	v_cndmask_b32_e64 v109, v105, v65, s[2:3]
	v_cndmask_b32_e32 v105, v108, v62, vcc
	v_add_co_u32_e64 v100, s[0:1], 1, v100
	v_cndmask_b32_e64 v108, v105, v64, s[2:3]
	v_add_u32_e32 v104, 8, v104
	v_addc_co_u32_e64 v101, s[0:1], 0, v101, s[0:1]
	s_waitcnt lgkmcnt(0)
	v_fmac_f64_e32 v[98:99], v[108:109], v[106:107]
	s_andn2_b64 exec, exec, s[8:9]
	s_cbranch_execnz .LBB79_221
; %bb.222:
	s_or_b64 exec, exec, s[8:9]
.LBB79_223:
	s_or_b64 exec, exec, s[6:7]
.LBB79_224:
	s_or_b64 exec, exec, s[4:5]
	v_mov_b32_e32 v34, 0
	ds_read_b64 v[34:35], v34
	s_waitcnt lgkmcnt(0)
	v_mul_f64 v[34:35], v[98:99], v[34:35]
.LBB79_225:
	s_or_b64 exec, exec, s[30:31]
	s_branch .LBB79_381
.LBB79_226:
	v_cmp_eq_u32_e64 s[2:3], 0, v0
	s_waitcnt vmcnt(15)
	ds_write_b64 v103, v[4:5]
	s_waitcnt lgkmcnt(0)
	; wave barrier
	s_waitcnt lgkmcnt(0)
	s_and_saveexec_b64 s[30:31], s[2:3]
	s_cbranch_execz .LBB79_232
; %bb.227:
	s_and_b64 vcc, exec, s[34:35]
	s_cbranch_vccz .LBB79_229
; %bb.228:
	v_cmp_eq_u32_e32 vcc, 1, v0
	s_waitcnt vmcnt(1)
	v_cndmask_b32_e32 v5, v3, v5, vcc
	v_cmp_eq_u32_e64 s[0:1], 2, v0
	v_cndmask_b32_e32 v4, v2, v4, vcc
	v_cndmask_b32_e64 v5, v5, v7, s[0:1]
	v_cmp_eq_u32_e64 s[4:5], 3, v0
	v_cndmask_b32_e64 v4, v4, v6, s[0:1]
	v_cndmask_b32_e64 v5, v5, v9, s[4:5]
	v_cmp_eq_u32_e64 s[6:7], 4, v0
	v_cndmask_b32_e64 v4, v4, v8, s[4:5]
	;; [unrolled: 3-line block ×10, first 2 shown]
	ds_read_b64 v[34:35], v103
	v_cndmask_b32_e64 v5, v5, v27, s[22:23]
	v_cmp_eq_u32_e64 s[24:25], 13, v0
	v_cndmask_b32_e64 v4, v4, v26, s[22:23]
	v_cndmask_b32_e64 v5, v5, v29, s[24:25]
	v_cmp_eq_u32_e64 s[26:27], 14, v0
	v_cndmask_b32_e64 v4, v4, v28, s[24:25]
	;; [unrolled: 3-line block ×3, first 2 shown]
	s_waitcnt vmcnt(0)
	v_cndmask_b32_e64 v5, v5, v33, s[28:29]
	v_cndmask_b32_e64 v4, v4, v32, s[28:29]
	s_waitcnt lgkmcnt(0)
	v_mul_f64 v[4:5], v[4:5], v[34:35]
	s_cbranch_execz .LBB79_230
	s_branch .LBB79_231
.LBB79_229:
                                        ; implicit-def: $vgpr4_vgpr5
.LBB79_230:
	ds_read_b64 v[4:5], v103
.LBB79_231:
	v_mov_b32_e32 v34, 0
	ds_read_b64 v[34:35], v34 offset:8
	s_waitcnt lgkmcnt(0)
	v_mul_f64 v[4:5], v[4:5], v[34:35]
.LBB79_232:
	s_or_b64 exec, exec, s[30:31]
	v_cndmask_b32_e64 v34, 0, 1, s[34:35]
	v_add_u32_e32 v38, 1, v0
	v_cmp_gt_u32_e32 vcc, 2, v0
	v_cmp_ne_u32_e64 s[0:1], 1, v34
	s_waitcnt vmcnt(14)
	ds_write_b64 v103, v[6:7]
	s_waitcnt lgkmcnt(0)
	; wave barrier
	s_waitcnt lgkmcnt(0)
	s_and_saveexec_b64 s[34:35], vcc
	s_cbranch_execz .LBB79_240
; %bb.233:
	s_and_b64 vcc, exec, s[0:1]
	s_cbranch_vccnz .LBB79_235
; %bb.234:
	v_cmp_eq_u32_e32 vcc, 1, v0
	s_waitcnt vmcnt(1)
	v_cndmask_b32_e32 v34, v3, v5, vcc
	v_cmp_eq_u32_e64 s[4:5], 2, v0
	v_cndmask_b32_e64 v34, v34, v7, s[4:5]
	v_cmp_eq_u32_e64 s[6:7], 3, v0
	v_cndmask_b32_e64 v34, v34, v9, s[6:7]
	;; [unrolled: 2-line block ×13, first 2 shown]
	v_cmp_eq_u32_e64 s[30:31], 15, v0
	s_waitcnt vmcnt(0)
	v_cndmask_b32_e64 v35, v34, v33, s[30:31]
	v_cndmask_b32_e32 v34, v2, v4, vcc
	v_cndmask_b32_e64 v34, v34, v6, s[4:5]
	v_cndmask_b32_e64 v34, v34, v8, s[6:7]
	;; [unrolled: 1-line block ×10, first 2 shown]
	ds_read_b64 v[36:37], v103
	v_cndmask_b32_e64 v34, v34, v26, s[24:25]
	v_cndmask_b32_e64 v34, v34, v28, s[26:27]
	;; [unrolled: 1-line block ×4, first 2 shown]
	s_waitcnt lgkmcnt(0)
	v_mul_f64 v[34:35], v[34:35], v[36:37]
	s_cbranch_execz .LBB79_236
	s_branch .LBB79_237
.LBB79_235:
                                        ; implicit-def: $vgpr34_vgpr35
.LBB79_236:
	ds_read_b64 v[34:35], v103
.LBB79_237:
	s_and_saveexec_b64 s[36:37], s[2:3]
	s_cbranch_execz .LBB79_239
; %bb.238:
	v_cmp_eq_u32_e32 vcc, 1, v38
	s_waitcnt vmcnt(1)
	v_cndmask_b32_e32 v36, v3, v5, vcc
	v_cmp_eq_u32_e64 s[4:5], 2, v38
	v_cndmask_b32_e64 v7, v36, v7, s[4:5]
	v_cndmask_b32_e32 v36, v2, v4, vcc
	v_cmp_eq_u32_e64 s[6:7], 3, v38
	v_cndmask_b32_e64 v6, v36, v6, s[4:5]
	v_cndmask_b32_e64 v7, v7, v9, s[6:7]
	v_cmp_eq_u32_e64 s[8:9], 4, v38
	v_cndmask_b32_e64 v6, v6, v8, s[6:7]
	v_cndmask_b32_e64 v7, v7, v11, s[8:9]
	;; [unrolled: 3-line block ×9, first 2 shown]
	v_cmp_eq_u32_e64 s[24:25], 12, v38
	v_cndmask_b32_e64 v6, v6, v24, s[22:23]
	ds_read_b64 v[36:37], v103 offset:8
	v_cndmask_b32_e64 v7, v7, v27, s[24:25]
	v_cmp_eq_u32_e64 s[26:27], 13, v38
	v_cndmask_b32_e64 v6, v6, v26, s[24:25]
	v_cndmask_b32_e64 v7, v7, v29, s[26:27]
	v_cmp_eq_u32_e64 s[28:29], 14, v38
	v_cndmask_b32_e64 v6, v6, v28, s[26:27]
	;; [unrolled: 3-line block ×3, first 2 shown]
	s_waitcnt vmcnt(0)
	v_cndmask_b32_e64 v7, v7, v33, s[30:31]
	v_cndmask_b32_e64 v6, v6, v32, s[30:31]
	s_waitcnt lgkmcnt(0)
	v_fmac_f64_e32 v[34:35], v[6:7], v[36:37]
.LBB79_239:
	s_or_b64 exec, exec, s[36:37]
	v_mov_b32_e32 v6, 0
	ds_read_b64 v[6:7], v6 offset:16
	s_waitcnt lgkmcnt(0)
	v_mul_f64 v[6:7], v[34:35], v[6:7]
.LBB79_240:
	s_or_b64 exec, exec, s[34:35]
	v_cmp_gt_u32_e64 s[4:5], 3, v0
	s_waitcnt vmcnt(13)
	ds_write_b64 v103, v[8:9]
	s_waitcnt lgkmcnt(0)
	; wave barrier
	s_waitcnt lgkmcnt(0)
	s_and_saveexec_b64 s[36:37], s[4:5]
	s_cbranch_execz .LBB79_248
; %bb.241:
	s_and_b64 vcc, exec, s[0:1]
	s_cbranch_vccnz .LBB79_243
; %bb.242:
	v_cmp_eq_u32_e32 vcc, 1, v0
	s_waitcnt vmcnt(1)
	v_cndmask_b32_e32 v34, v3, v5, vcc
	v_cmp_eq_u32_e64 s[6:7], 2, v0
	v_cndmask_b32_e64 v34, v34, v7, s[6:7]
	v_cmp_eq_u32_e64 s[8:9], 3, v0
	v_cndmask_b32_e64 v34, v34, v9, s[8:9]
	;; [unrolled: 2-line block ×13, first 2 shown]
	v_cmp_eq_u32_e64 s[34:35], 15, v0
	s_waitcnt vmcnt(0)
	v_cndmask_b32_e64 v35, v34, v33, s[34:35]
	v_cndmask_b32_e32 v34, v2, v4, vcc
	v_cndmask_b32_e64 v34, v34, v6, s[6:7]
	v_cndmask_b32_e64 v34, v34, v8, s[8:9]
	;; [unrolled: 1-line block ×10, first 2 shown]
	ds_read_b64 v[36:37], v103
	v_cndmask_b32_e64 v34, v34, v26, s[26:27]
	v_cndmask_b32_e64 v34, v34, v28, s[28:29]
	;; [unrolled: 1-line block ×4, first 2 shown]
	s_waitcnt lgkmcnt(0)
	v_mul_f64 v[34:35], v[34:35], v[36:37]
	s_cbranch_execz .LBB79_244
	s_branch .LBB79_245
.LBB79_243:
                                        ; implicit-def: $vgpr34_vgpr35
.LBB79_244:
	ds_read_b64 v[34:35], v103
.LBB79_245:
	v_cmp_ne_u32_e32 vcc, 2, v0
	s_and_saveexec_b64 s[38:39], vcc
	s_cbranch_execz .LBB79_247
; %bb.246:
	v_cmp_eq_u32_e32 vcc, 1, v38
	s_waitcnt vmcnt(1)
	v_cndmask_b32_e32 v36, v3, v5, vcc
	v_cmp_eq_u32_e64 s[6:7], 2, v38
	v_cndmask_b32_e64 v36, v36, v7, s[6:7]
	v_cmp_eq_u32_e64 s[8:9], 3, v38
	v_cndmask_b32_e64 v9, v36, v9, s[8:9]
	v_cndmask_b32_e32 v36, v2, v4, vcc
	v_cndmask_b32_e64 v36, v36, v6, s[6:7]
	v_cmp_eq_u32_e64 s[10:11], 4, v38
	v_cndmask_b32_e64 v8, v36, v8, s[8:9]
	v_cndmask_b32_e64 v9, v9, v11, s[10:11]
	v_cmp_eq_u32_e64 s[12:13], 5, v38
	v_cndmask_b32_e64 v8, v8, v10, s[10:11]
	;; [unrolled: 3-line block ×10, first 2 shown]
	v_mov_b32_e32 v39, 0
	ds_read_b64 v[36:37], v103 offset:8
	ds_read_b64 v[40:41], v39 offset:144
	v_cndmask_b32_e64 v9, v9, v29, s[28:29]
	v_cmp_eq_u32_e64 s[30:31], 14, v38
	v_cndmask_b32_e64 v8, v8, v28, s[28:29]
	v_cndmask_b32_e64 v9, v9, v31, s[30:31]
	v_cmp_eq_u32_e64 s[34:35], 15, v38
	v_cndmask_b32_e64 v8, v8, v30, s[30:31]
	s_waitcnt vmcnt(0)
	v_cndmask_b32_e64 v9, v9, v33, s[34:35]
	v_cndmask_b32_e64 v8, v8, v32, s[34:35]
	s_waitcnt lgkmcnt(1)
	v_fmac_f64_e32 v[34:35], v[8:9], v[36:37]
	s_waitcnt lgkmcnt(0)
	v_fma_f64 v[8:9], v[6:7], v[40:41], v[34:35]
	v_cndmask_b32_e64 v35, v35, v9, s[2:3]
	v_cndmask_b32_e64 v34, v34, v8, s[2:3]
.LBB79_247:
	s_or_b64 exec, exec, s[38:39]
	v_mov_b32_e32 v8, 0
	ds_read_b64 v[8:9], v8 offset:24
	s_waitcnt lgkmcnt(0)
	v_mul_f64 v[8:9], v[34:35], v[8:9]
.LBB79_248:
	s_or_b64 exec, exec, s[36:37]
	v_cmp_gt_u32_e32 vcc, 4, v0
	s_waitcnt vmcnt(12)
	ds_write_b64 v103, v[10:11]
	s_waitcnt lgkmcnt(0)
	; wave barrier
	s_waitcnt lgkmcnt(0)
	s_and_saveexec_b64 s[36:37], vcc
	s_cbranch_execz .LBB79_258
; %bb.249:
	s_and_b64 vcc, exec, s[0:1]
	s_cbranch_vccnz .LBB79_251
; %bb.250:
	v_cmp_eq_u32_e32 vcc, 1, v0
	s_waitcnt vmcnt(1)
	v_cndmask_b32_e32 v34, v3, v5, vcc
	v_cmp_eq_u32_e64 s[6:7], 2, v0
	v_cndmask_b32_e64 v34, v34, v7, s[6:7]
	v_cmp_eq_u32_e64 s[8:9], 3, v0
	v_cndmask_b32_e64 v34, v34, v9, s[8:9]
	;; [unrolled: 2-line block ×13, first 2 shown]
	v_cmp_eq_u32_e64 s[34:35], 15, v0
	s_waitcnt vmcnt(0)
	v_cndmask_b32_e64 v35, v34, v33, s[34:35]
	v_cndmask_b32_e32 v34, v2, v4, vcc
	v_cndmask_b32_e64 v34, v34, v6, s[6:7]
	v_cndmask_b32_e64 v34, v34, v8, s[8:9]
	;; [unrolled: 1-line block ×10, first 2 shown]
	ds_read_b64 v[36:37], v103
	v_cndmask_b32_e64 v34, v34, v26, s[26:27]
	v_cndmask_b32_e64 v34, v34, v28, s[28:29]
	;; [unrolled: 1-line block ×4, first 2 shown]
	s_waitcnt lgkmcnt(0)
	v_mul_f64 v[34:35], v[34:35], v[36:37]
	s_cbranch_execz .LBB79_252
	s_branch .LBB79_253
.LBB79_251:
                                        ; implicit-def: $vgpr34_vgpr35
.LBB79_252:
	ds_read_b64 v[34:35], v103
.LBB79_253:
	v_cmp_ne_u32_e32 vcc, 3, v0
	s_and_saveexec_b64 s[10:11], vcc
	s_cbranch_execz .LBB79_257
; %bb.254:
	v_mov_b32_e32 v36, 0x88
	v_lshl_add_u32 v39, v0, 3, v36
	s_mov_b64 s[12:13], 0
	v_pk_mov_b32 v[36:37], v[0:1], v[0:1] op_sel:[0,1]
.LBB79_255:                             ; =>This Inner Loop Header: Depth=1
	v_add_co_u32_e32 v36, vcc, 1, v36
	v_addc_co_u32_e32 v37, vcc, 0, v37, vcc
	v_cmp_eq_u32_e32 vcc, 1, v36
	s_waitcnt vmcnt(1)
	v_cndmask_b32_e32 v42, v3, v5, vcc
	v_cmp_eq_u32_e64 s[8:9], 2, v36
	v_cmp_lt_u32_e64 s[6:7], 2, v36
	v_cndmask_b32_e64 v42, v42, v7, s[8:9]
	v_cndmask_b32_e32 v43, v2, v4, vcc
	v_cmp_eq_u32_e32 vcc, 3, v36
	s_or_b64 s[12:13], s[6:7], s[12:13]
	v_cndmask_b32_e32 v42, v42, v9, vcc
	v_cndmask_b32_e64 v43, v43, v6, s[8:9]
	v_cmp_eq_u32_e64 s[6:7], 4, v36
	v_cndmask_b32_e64 v42, v42, v11, s[6:7]
	v_cndmask_b32_e32 v43, v43, v8, vcc
	v_cmp_eq_u32_e32 vcc, 5, v36
	v_cndmask_b32_e32 v42, v42, v13, vcc
	v_cndmask_b32_e64 v43, v43, v10, s[6:7]
	v_cmp_eq_u32_e64 s[6:7], 6, v36
	v_cndmask_b32_e64 v42, v42, v15, s[6:7]
	v_cndmask_b32_e32 v43, v43, v12, vcc
	v_cmp_eq_u32_e32 vcc, 7, v36
	;; [unrolled: 6-line block ×4, first 2 shown]
	v_cndmask_b32_e32 v42, v42, v25, vcc
	v_cndmask_b32_e64 v43, v43, v22, s[6:7]
	v_cmp_eq_u32_e64 s[6:7], 12, v36
	ds_read_b64 v[40:41], v39
	v_cndmask_b32_e64 v42, v42, v27, s[6:7]
	v_cndmask_b32_e32 v43, v43, v24, vcc
	v_cmp_eq_u32_e32 vcc, 13, v36
	v_cndmask_b32_e32 v42, v42, v29, vcc
	v_cndmask_b32_e64 v43, v43, v26, s[6:7]
	v_cmp_eq_u32_e64 s[6:7], 14, v36
	v_cndmask_b32_e64 v42, v42, v31, s[6:7]
	v_cndmask_b32_e32 v44, v43, v28, vcc
	v_cmp_eq_u32_e32 vcc, 15, v36
	s_waitcnt vmcnt(0)
	v_cndmask_b32_e32 v43, v42, v33, vcc
	v_cndmask_b32_e64 v42, v44, v30, s[6:7]
	v_cndmask_b32_e32 v42, v42, v32, vcc
	v_add_u32_e32 v39, 8, v39
	s_waitcnt lgkmcnt(0)
	v_fmac_f64_e32 v[34:35], v[42:43], v[40:41]
	s_andn2_b64 exec, exec, s[12:13]
	s_cbranch_execnz .LBB79_255
; %bb.256:
	s_or_b64 exec, exec, s[12:13]
.LBB79_257:
	s_or_b64 exec, exec, s[10:11]
	v_mov_b32_e32 v10, 0
	ds_read_b64 v[10:11], v10 offset:32
	s_waitcnt lgkmcnt(0)
	v_mul_f64 v[10:11], v[34:35], v[10:11]
.LBB79_258:
	s_or_b64 exec, exec, s[36:37]
	v_cmp_gt_u32_e64 s[6:7], 5, v0
	s_waitcnt vmcnt(11)
	ds_write_b64 v103, v[12:13]
	s_waitcnt lgkmcnt(0)
	; wave barrier
	s_waitcnt lgkmcnt(0)
	s_and_saveexec_b64 s[38:39], s[6:7]
	s_cbranch_execz .LBB79_268
; %bb.259:
	s_and_b64 vcc, exec, s[0:1]
	s_cbranch_vccnz .LBB79_261
; %bb.260:
	v_cmp_eq_u32_e32 vcc, 1, v0
	s_waitcnt vmcnt(1)
	v_cndmask_b32_e32 v34, v3, v5, vcc
	v_cmp_eq_u32_e64 s[8:9], 2, v0
	v_cndmask_b32_e64 v34, v34, v7, s[8:9]
	v_cmp_eq_u32_e64 s[10:11], 3, v0
	v_cndmask_b32_e64 v34, v34, v9, s[10:11]
	;; [unrolled: 2-line block ×13, first 2 shown]
	v_cmp_eq_u32_e64 s[36:37], 15, v0
	s_waitcnt vmcnt(0)
	v_cndmask_b32_e64 v35, v34, v33, s[36:37]
	v_cndmask_b32_e32 v34, v2, v4, vcc
	v_cndmask_b32_e64 v34, v34, v6, s[8:9]
	v_cndmask_b32_e64 v34, v34, v8, s[10:11]
	;; [unrolled: 1-line block ×10, first 2 shown]
	ds_read_b64 v[36:37], v103
	v_cndmask_b32_e64 v34, v34, v26, s[28:29]
	v_cndmask_b32_e64 v34, v34, v28, s[30:31]
	;; [unrolled: 1-line block ×4, first 2 shown]
	s_waitcnt lgkmcnt(0)
	v_mul_f64 v[34:35], v[34:35], v[36:37]
	s_cbranch_execz .LBB79_262
	s_branch .LBB79_263
.LBB79_261:
                                        ; implicit-def: $vgpr34_vgpr35
.LBB79_262:
	ds_read_b64 v[34:35], v103
.LBB79_263:
	v_cmp_ne_u32_e32 vcc, 4, v0
	s_and_saveexec_b64 s[12:13], vcc
	s_cbranch_execz .LBB79_267
; %bb.264:
	v_mov_b32_e32 v36, 0x88
	v_lshl_add_u32 v39, v0, 3, v36
	s_mov_b64 s[14:15], 0
	v_pk_mov_b32 v[36:37], v[0:1], v[0:1] op_sel:[0,1]
.LBB79_265:                             ; =>This Inner Loop Header: Depth=1
	v_add_co_u32_e32 v36, vcc, 1, v36
	v_addc_co_u32_e32 v37, vcc, 0, v37, vcc
	v_cmp_eq_u32_e32 vcc, 1, v36
	s_waitcnt vmcnt(1)
	v_cndmask_b32_e32 v42, v3, v5, vcc
	v_cmp_eq_u32_e64 s[10:11], 2, v36
	v_cmp_lt_u32_e64 s[8:9], 3, v36
	v_cndmask_b32_e64 v42, v42, v7, s[10:11]
	v_cndmask_b32_e32 v43, v2, v4, vcc
	v_cmp_eq_u32_e32 vcc, 3, v36
	s_or_b64 s[14:15], s[8:9], s[14:15]
	v_cndmask_b32_e32 v42, v42, v9, vcc
	v_cndmask_b32_e64 v43, v43, v6, s[10:11]
	v_cmp_eq_u32_e64 s[8:9], 4, v36
	v_cndmask_b32_e64 v42, v42, v11, s[8:9]
	v_cndmask_b32_e32 v43, v43, v8, vcc
	v_cmp_eq_u32_e32 vcc, 5, v36
	v_cndmask_b32_e32 v42, v42, v13, vcc
	v_cndmask_b32_e64 v43, v43, v10, s[8:9]
	v_cmp_eq_u32_e64 s[8:9], 6, v36
	v_cndmask_b32_e64 v42, v42, v15, s[8:9]
	v_cndmask_b32_e32 v43, v43, v12, vcc
	v_cmp_eq_u32_e32 vcc, 7, v36
	;; [unrolled: 6-line block ×4, first 2 shown]
	v_cndmask_b32_e32 v42, v42, v25, vcc
	v_cndmask_b32_e64 v43, v43, v22, s[8:9]
	v_cmp_eq_u32_e64 s[8:9], 12, v36
	ds_read_b64 v[40:41], v39
	v_cndmask_b32_e64 v42, v42, v27, s[8:9]
	v_cndmask_b32_e32 v43, v43, v24, vcc
	v_cmp_eq_u32_e32 vcc, 13, v36
	v_cndmask_b32_e32 v42, v42, v29, vcc
	v_cndmask_b32_e64 v43, v43, v26, s[8:9]
	v_cmp_eq_u32_e64 s[8:9], 14, v36
	v_cndmask_b32_e64 v42, v42, v31, s[8:9]
	v_cndmask_b32_e32 v44, v43, v28, vcc
	v_cmp_eq_u32_e32 vcc, 15, v36
	s_waitcnt vmcnt(0)
	v_cndmask_b32_e32 v43, v42, v33, vcc
	v_cndmask_b32_e64 v42, v44, v30, s[8:9]
	v_cndmask_b32_e32 v42, v42, v32, vcc
	v_add_u32_e32 v39, 8, v39
	s_waitcnt lgkmcnt(0)
	v_fmac_f64_e32 v[34:35], v[42:43], v[40:41]
	s_andn2_b64 exec, exec, s[14:15]
	s_cbranch_execnz .LBB79_265
; %bb.266:
	s_or_b64 exec, exec, s[14:15]
.LBB79_267:
	s_or_b64 exec, exec, s[12:13]
	v_mov_b32_e32 v12, 0
	ds_read_b64 v[12:13], v12 offset:40
	s_waitcnt lgkmcnt(0)
	v_mul_f64 v[12:13], v[34:35], v[12:13]
.LBB79_268:
	s_or_b64 exec, exec, s[38:39]
	v_cmp_gt_u32_e32 vcc, 6, v0
	s_waitcnt vmcnt(10)
	ds_write_b64 v103, v[14:15]
	s_waitcnt lgkmcnt(0)
	; wave barrier
	s_waitcnt lgkmcnt(0)
	s_and_saveexec_b64 s[38:39], vcc
	s_cbranch_execz .LBB79_278
; %bb.269:
	s_and_b64 vcc, exec, s[0:1]
	s_cbranch_vccnz .LBB79_271
; %bb.270:
	v_cmp_eq_u32_e32 vcc, 1, v0
	s_waitcnt vmcnt(1)
	v_cndmask_b32_e32 v34, v3, v5, vcc
	v_cmp_eq_u32_e64 s[8:9], 2, v0
	v_cndmask_b32_e64 v34, v34, v7, s[8:9]
	v_cmp_eq_u32_e64 s[10:11], 3, v0
	v_cndmask_b32_e64 v34, v34, v9, s[10:11]
	;; [unrolled: 2-line block ×13, first 2 shown]
	v_cmp_eq_u32_e64 s[36:37], 15, v0
	s_waitcnt vmcnt(0)
	v_cndmask_b32_e64 v35, v34, v33, s[36:37]
	v_cndmask_b32_e32 v34, v2, v4, vcc
	v_cndmask_b32_e64 v34, v34, v6, s[8:9]
	v_cndmask_b32_e64 v34, v34, v8, s[10:11]
	;; [unrolled: 1-line block ×10, first 2 shown]
	ds_read_b64 v[36:37], v103
	v_cndmask_b32_e64 v34, v34, v26, s[28:29]
	v_cndmask_b32_e64 v34, v34, v28, s[30:31]
	;; [unrolled: 1-line block ×4, first 2 shown]
	s_waitcnt lgkmcnt(0)
	v_mul_f64 v[34:35], v[34:35], v[36:37]
	s_cbranch_execz .LBB79_272
	s_branch .LBB79_273
.LBB79_271:
                                        ; implicit-def: $vgpr34_vgpr35
.LBB79_272:
	ds_read_b64 v[34:35], v103
.LBB79_273:
	v_cmp_ne_u32_e32 vcc, 5, v0
	s_and_saveexec_b64 s[12:13], vcc
	s_cbranch_execz .LBB79_277
; %bb.274:
	v_mov_b32_e32 v36, 0x88
	v_lshl_add_u32 v39, v0, 3, v36
	s_mov_b64 s[14:15], 0
	v_pk_mov_b32 v[36:37], v[0:1], v[0:1] op_sel:[0,1]
.LBB79_275:                             ; =>This Inner Loop Header: Depth=1
	v_add_co_u32_e32 v36, vcc, 1, v36
	v_addc_co_u32_e32 v37, vcc, 0, v37, vcc
	v_cmp_eq_u32_e32 vcc, 1, v36
	s_waitcnt vmcnt(1)
	v_cndmask_b32_e32 v42, v3, v5, vcc
	v_cmp_eq_u32_e64 s[10:11], 2, v36
	v_cmp_lt_u32_e64 s[8:9], 4, v36
	v_cndmask_b32_e64 v42, v42, v7, s[10:11]
	v_cndmask_b32_e32 v43, v2, v4, vcc
	v_cmp_eq_u32_e32 vcc, 3, v36
	s_or_b64 s[14:15], s[8:9], s[14:15]
	v_cndmask_b32_e32 v42, v42, v9, vcc
	v_cndmask_b32_e64 v43, v43, v6, s[10:11]
	v_cmp_eq_u32_e64 s[8:9], 4, v36
	v_cndmask_b32_e64 v42, v42, v11, s[8:9]
	v_cndmask_b32_e32 v43, v43, v8, vcc
	v_cmp_eq_u32_e32 vcc, 5, v36
	v_cndmask_b32_e32 v42, v42, v13, vcc
	v_cndmask_b32_e64 v43, v43, v10, s[8:9]
	v_cmp_eq_u32_e64 s[8:9], 6, v36
	v_cndmask_b32_e64 v42, v42, v15, s[8:9]
	v_cndmask_b32_e32 v43, v43, v12, vcc
	v_cmp_eq_u32_e32 vcc, 7, v36
	v_cndmask_b32_e32 v42, v42, v17, vcc
	v_cndmask_b32_e64 v43, v43, v14, s[8:9]
	v_cmp_eq_u32_e64 s[8:9], 8, v36
	v_cndmask_b32_e64 v42, v42, v19, s[8:9]
	v_cndmask_b32_e32 v43, v43, v16, vcc
	v_cmp_eq_u32_e32 vcc, 9, v36
	v_cndmask_b32_e32 v42, v42, v21, vcc
	v_cndmask_b32_e64 v43, v43, v18, s[8:9]
	v_cmp_eq_u32_e64 s[8:9], 10, v36
	v_cndmask_b32_e64 v42, v42, v23, s[8:9]
	v_cndmask_b32_e32 v43, v43, v20, vcc
	v_cmp_eq_u32_e32 vcc, 11, v36
	v_cndmask_b32_e32 v42, v42, v25, vcc
	v_cndmask_b32_e64 v43, v43, v22, s[8:9]
	v_cmp_eq_u32_e64 s[8:9], 12, v36
	ds_read_b64 v[40:41], v39
	v_cndmask_b32_e64 v42, v42, v27, s[8:9]
	v_cndmask_b32_e32 v43, v43, v24, vcc
	v_cmp_eq_u32_e32 vcc, 13, v36
	v_cndmask_b32_e32 v42, v42, v29, vcc
	v_cndmask_b32_e64 v43, v43, v26, s[8:9]
	v_cmp_eq_u32_e64 s[8:9], 14, v36
	v_cndmask_b32_e64 v42, v42, v31, s[8:9]
	v_cndmask_b32_e32 v44, v43, v28, vcc
	v_cmp_eq_u32_e32 vcc, 15, v36
	s_waitcnt vmcnt(0)
	v_cndmask_b32_e32 v43, v42, v33, vcc
	v_cndmask_b32_e64 v42, v44, v30, s[8:9]
	v_cndmask_b32_e32 v42, v42, v32, vcc
	v_add_u32_e32 v39, 8, v39
	s_waitcnt lgkmcnt(0)
	v_fmac_f64_e32 v[34:35], v[42:43], v[40:41]
	s_andn2_b64 exec, exec, s[14:15]
	s_cbranch_execnz .LBB79_275
; %bb.276:
	s_or_b64 exec, exec, s[14:15]
.LBB79_277:
	s_or_b64 exec, exec, s[12:13]
	v_mov_b32_e32 v14, 0
	ds_read_b64 v[14:15], v14 offset:48
	s_waitcnt lgkmcnt(0)
	v_mul_f64 v[14:15], v[34:35], v[14:15]
.LBB79_278:
	s_or_b64 exec, exec, s[38:39]
	v_cmp_gt_u32_e64 s[8:9], 7, v0
	s_waitcnt vmcnt(9)
	ds_write_b64 v103, v[16:17]
	s_waitcnt lgkmcnt(0)
	; wave barrier
	s_waitcnt lgkmcnt(0)
	s_and_saveexec_b64 s[40:41], s[8:9]
	s_cbranch_execz .LBB79_288
; %bb.279:
	s_and_b64 vcc, exec, s[0:1]
	s_cbranch_vccnz .LBB79_281
; %bb.280:
	v_cmp_eq_u32_e32 vcc, 1, v0
	s_waitcnt vmcnt(1)
	v_cndmask_b32_e32 v34, v3, v5, vcc
	v_cmp_eq_u32_e64 s[10:11], 2, v0
	v_cndmask_b32_e64 v34, v34, v7, s[10:11]
	v_cmp_eq_u32_e64 s[12:13], 3, v0
	v_cndmask_b32_e64 v34, v34, v9, s[12:13]
	;; [unrolled: 2-line block ×13, first 2 shown]
	v_cmp_eq_u32_e64 s[38:39], 15, v0
	s_waitcnt vmcnt(0)
	v_cndmask_b32_e64 v35, v34, v33, s[38:39]
	v_cndmask_b32_e32 v34, v2, v4, vcc
	v_cndmask_b32_e64 v34, v34, v6, s[10:11]
	v_cndmask_b32_e64 v34, v34, v8, s[12:13]
	;; [unrolled: 1-line block ×10, first 2 shown]
	ds_read_b64 v[36:37], v103
	v_cndmask_b32_e64 v34, v34, v26, s[30:31]
	v_cndmask_b32_e64 v34, v34, v28, s[34:35]
	;; [unrolled: 1-line block ×4, first 2 shown]
	s_waitcnt lgkmcnt(0)
	v_mul_f64 v[34:35], v[34:35], v[36:37]
	s_cbranch_execz .LBB79_282
	s_branch .LBB79_283
.LBB79_281:
                                        ; implicit-def: $vgpr34_vgpr35
.LBB79_282:
	ds_read_b64 v[34:35], v103
.LBB79_283:
	v_cmp_ne_u32_e32 vcc, 6, v0
	s_and_saveexec_b64 s[14:15], vcc
	s_cbranch_execz .LBB79_287
; %bb.284:
	v_mov_b32_e32 v36, 0x88
	v_lshl_add_u32 v39, v0, 3, v36
	s_mov_b64 s[16:17], 0
	v_pk_mov_b32 v[36:37], v[0:1], v[0:1] op_sel:[0,1]
.LBB79_285:                             ; =>This Inner Loop Header: Depth=1
	v_add_co_u32_e32 v36, vcc, 1, v36
	v_addc_co_u32_e32 v37, vcc, 0, v37, vcc
	v_cmp_eq_u32_e32 vcc, 1, v36
	s_waitcnt vmcnt(1)
	v_cndmask_b32_e32 v42, v3, v5, vcc
	v_cmp_eq_u32_e64 s[12:13], 2, v36
	v_cmp_lt_u32_e64 s[10:11], 5, v36
	v_cndmask_b32_e64 v42, v42, v7, s[12:13]
	v_cndmask_b32_e32 v43, v2, v4, vcc
	v_cmp_eq_u32_e32 vcc, 3, v36
	s_or_b64 s[16:17], s[10:11], s[16:17]
	v_cndmask_b32_e32 v42, v42, v9, vcc
	v_cndmask_b32_e64 v43, v43, v6, s[12:13]
	v_cmp_eq_u32_e64 s[10:11], 4, v36
	v_cndmask_b32_e64 v42, v42, v11, s[10:11]
	v_cndmask_b32_e32 v43, v43, v8, vcc
	v_cmp_eq_u32_e32 vcc, 5, v36
	v_cndmask_b32_e32 v42, v42, v13, vcc
	v_cndmask_b32_e64 v43, v43, v10, s[10:11]
	v_cmp_eq_u32_e64 s[10:11], 6, v36
	v_cndmask_b32_e64 v42, v42, v15, s[10:11]
	v_cndmask_b32_e32 v43, v43, v12, vcc
	v_cmp_eq_u32_e32 vcc, 7, v36
	;; [unrolled: 6-line block ×4, first 2 shown]
	v_cndmask_b32_e32 v42, v42, v25, vcc
	v_cndmask_b32_e64 v43, v43, v22, s[10:11]
	v_cmp_eq_u32_e64 s[10:11], 12, v36
	ds_read_b64 v[40:41], v39
	v_cndmask_b32_e64 v42, v42, v27, s[10:11]
	v_cndmask_b32_e32 v43, v43, v24, vcc
	v_cmp_eq_u32_e32 vcc, 13, v36
	v_cndmask_b32_e32 v42, v42, v29, vcc
	v_cndmask_b32_e64 v43, v43, v26, s[10:11]
	v_cmp_eq_u32_e64 s[10:11], 14, v36
	v_cndmask_b32_e64 v42, v42, v31, s[10:11]
	v_cndmask_b32_e32 v44, v43, v28, vcc
	v_cmp_eq_u32_e32 vcc, 15, v36
	s_waitcnt vmcnt(0)
	v_cndmask_b32_e32 v43, v42, v33, vcc
	v_cndmask_b32_e64 v42, v44, v30, s[10:11]
	v_cndmask_b32_e32 v42, v42, v32, vcc
	v_add_u32_e32 v39, 8, v39
	s_waitcnt lgkmcnt(0)
	v_fmac_f64_e32 v[34:35], v[42:43], v[40:41]
	s_andn2_b64 exec, exec, s[16:17]
	s_cbranch_execnz .LBB79_285
; %bb.286:
	s_or_b64 exec, exec, s[16:17]
.LBB79_287:
	s_or_b64 exec, exec, s[14:15]
	v_mov_b32_e32 v16, 0
	ds_read_b64 v[16:17], v16 offset:56
	s_waitcnt lgkmcnt(0)
	v_mul_f64 v[16:17], v[34:35], v[16:17]
.LBB79_288:
	s_or_b64 exec, exec, s[40:41]
	v_cmp_gt_u32_e32 vcc, 8, v0
	s_waitcnt vmcnt(8)
	ds_write_b64 v103, v[18:19]
	s_waitcnt lgkmcnt(0)
	; wave barrier
	s_waitcnt lgkmcnt(0)
	s_and_saveexec_b64 s[40:41], vcc
	s_cbranch_execz .LBB79_298
; %bb.289:
	s_and_b64 vcc, exec, s[0:1]
	s_cbranch_vccnz .LBB79_291
; %bb.290:
	v_cmp_eq_u32_e32 vcc, 1, v0
	s_waitcnt vmcnt(1)
	v_cndmask_b32_e32 v34, v3, v5, vcc
	v_cmp_eq_u32_e64 s[10:11], 2, v0
	v_cndmask_b32_e64 v34, v34, v7, s[10:11]
	v_cmp_eq_u32_e64 s[12:13], 3, v0
	v_cndmask_b32_e64 v34, v34, v9, s[12:13]
	v_cmp_eq_u32_e64 s[14:15], 4, v0
	v_cndmask_b32_e64 v34, v34, v11, s[14:15]
	v_cmp_eq_u32_e64 s[16:17], 5, v0
	v_cndmask_b32_e64 v34, v34, v13, s[16:17]
	v_cmp_eq_u32_e64 s[18:19], 6, v0
	v_cndmask_b32_e64 v34, v34, v15, s[18:19]
	v_cmp_eq_u32_e64 s[20:21], 7, v0
	v_cndmask_b32_e64 v34, v34, v17, s[20:21]
	v_cmp_eq_u32_e64 s[22:23], 8, v0
	v_cndmask_b32_e64 v34, v34, v19, s[22:23]
	v_cmp_eq_u32_e64 s[24:25], 9, v0
	v_cndmask_b32_e64 v34, v34, v21, s[24:25]
	v_cmp_eq_u32_e64 s[26:27], 10, v0
	v_cndmask_b32_e64 v34, v34, v23, s[26:27]
	v_cmp_eq_u32_e64 s[28:29], 11, v0
	v_cndmask_b32_e64 v34, v34, v25, s[28:29]
	v_cmp_eq_u32_e64 s[30:31], 12, v0
	v_cndmask_b32_e64 v34, v34, v27, s[30:31]
	v_cmp_eq_u32_e64 s[34:35], 13, v0
	v_cndmask_b32_e64 v34, v34, v29, s[34:35]
	v_cmp_eq_u32_e64 s[36:37], 14, v0
	v_cndmask_b32_e64 v34, v34, v31, s[36:37]
	v_cmp_eq_u32_e64 s[38:39], 15, v0
	s_waitcnt vmcnt(0)
	v_cndmask_b32_e64 v35, v34, v33, s[38:39]
	v_cndmask_b32_e32 v34, v2, v4, vcc
	v_cndmask_b32_e64 v34, v34, v6, s[10:11]
	v_cndmask_b32_e64 v34, v34, v8, s[12:13]
	;; [unrolled: 1-line block ×10, first 2 shown]
	ds_read_b64 v[36:37], v103
	v_cndmask_b32_e64 v34, v34, v26, s[30:31]
	v_cndmask_b32_e64 v34, v34, v28, s[34:35]
	;; [unrolled: 1-line block ×4, first 2 shown]
	s_waitcnt lgkmcnt(0)
	v_mul_f64 v[34:35], v[34:35], v[36:37]
	s_cbranch_execz .LBB79_292
	s_branch .LBB79_293
.LBB79_291:
                                        ; implicit-def: $vgpr34_vgpr35
.LBB79_292:
	ds_read_b64 v[34:35], v103
.LBB79_293:
	v_cmp_ne_u32_e32 vcc, 7, v0
	s_and_saveexec_b64 s[14:15], vcc
	s_cbranch_execz .LBB79_297
; %bb.294:
	v_mov_b32_e32 v36, 0x88
	v_lshl_add_u32 v39, v0, 3, v36
	s_mov_b64 s[16:17], 0
	v_pk_mov_b32 v[36:37], v[0:1], v[0:1] op_sel:[0,1]
.LBB79_295:                             ; =>This Inner Loop Header: Depth=1
	v_add_co_u32_e32 v36, vcc, 1, v36
	v_addc_co_u32_e32 v37, vcc, 0, v37, vcc
	v_cmp_eq_u32_e32 vcc, 1, v36
	s_waitcnt vmcnt(1)
	v_cndmask_b32_e32 v42, v3, v5, vcc
	v_cmp_eq_u32_e64 s[12:13], 2, v36
	v_cmp_lt_u32_e64 s[10:11], 6, v36
	v_cndmask_b32_e64 v42, v42, v7, s[12:13]
	v_cndmask_b32_e32 v43, v2, v4, vcc
	v_cmp_eq_u32_e32 vcc, 3, v36
	s_or_b64 s[16:17], s[10:11], s[16:17]
	v_cndmask_b32_e32 v42, v42, v9, vcc
	v_cndmask_b32_e64 v43, v43, v6, s[12:13]
	v_cmp_eq_u32_e64 s[10:11], 4, v36
	v_cndmask_b32_e64 v42, v42, v11, s[10:11]
	v_cndmask_b32_e32 v43, v43, v8, vcc
	v_cmp_eq_u32_e32 vcc, 5, v36
	v_cndmask_b32_e32 v42, v42, v13, vcc
	v_cndmask_b32_e64 v43, v43, v10, s[10:11]
	v_cmp_eq_u32_e64 s[10:11], 6, v36
	v_cndmask_b32_e64 v42, v42, v15, s[10:11]
	v_cndmask_b32_e32 v43, v43, v12, vcc
	v_cmp_eq_u32_e32 vcc, 7, v36
	;; [unrolled: 6-line block ×4, first 2 shown]
	v_cndmask_b32_e32 v42, v42, v25, vcc
	v_cndmask_b32_e64 v43, v43, v22, s[10:11]
	v_cmp_eq_u32_e64 s[10:11], 12, v36
	ds_read_b64 v[40:41], v39
	v_cndmask_b32_e64 v42, v42, v27, s[10:11]
	v_cndmask_b32_e32 v43, v43, v24, vcc
	v_cmp_eq_u32_e32 vcc, 13, v36
	v_cndmask_b32_e32 v42, v42, v29, vcc
	v_cndmask_b32_e64 v43, v43, v26, s[10:11]
	v_cmp_eq_u32_e64 s[10:11], 14, v36
	v_cndmask_b32_e64 v42, v42, v31, s[10:11]
	v_cndmask_b32_e32 v44, v43, v28, vcc
	v_cmp_eq_u32_e32 vcc, 15, v36
	s_waitcnt vmcnt(0)
	v_cndmask_b32_e32 v43, v42, v33, vcc
	v_cndmask_b32_e64 v42, v44, v30, s[10:11]
	v_cndmask_b32_e32 v42, v42, v32, vcc
	v_add_u32_e32 v39, 8, v39
	s_waitcnt lgkmcnt(0)
	v_fmac_f64_e32 v[34:35], v[42:43], v[40:41]
	s_andn2_b64 exec, exec, s[16:17]
	s_cbranch_execnz .LBB79_295
; %bb.296:
	s_or_b64 exec, exec, s[16:17]
.LBB79_297:
	s_or_b64 exec, exec, s[14:15]
	v_mov_b32_e32 v18, 0
	ds_read_b64 v[18:19], v18 offset:64
	s_waitcnt lgkmcnt(0)
	v_mul_f64 v[18:19], v[34:35], v[18:19]
.LBB79_298:
	s_or_b64 exec, exec, s[40:41]
	v_cmp_gt_u32_e32 vcc, 9, v0
	s_waitcnt vmcnt(7)
	ds_write_b64 v103, v[20:21]
	s_waitcnt lgkmcnt(0)
	; wave barrier
	s_waitcnt lgkmcnt(0)
	s_and_saveexec_b64 s[40:41], vcc
	s_cbranch_execz .LBB79_320
; %bb.299:
	s_and_b64 vcc, exec, s[0:1]
	s_cbranch_vccnz .LBB79_301
; %bb.300:
	v_cmp_eq_u32_e32 vcc, 1, v0
	s_waitcnt vmcnt(1)
	v_cndmask_b32_e32 v34, v3, v5, vcc
	v_cmp_eq_u32_e64 s[10:11], 2, v0
	v_cndmask_b32_e64 v34, v34, v7, s[10:11]
	v_cmp_eq_u32_e64 s[12:13], 3, v0
	v_cndmask_b32_e64 v34, v34, v9, s[12:13]
	;; [unrolled: 2-line block ×13, first 2 shown]
	v_cmp_eq_u32_e64 s[38:39], 15, v0
	s_waitcnt vmcnt(0)
	v_cndmask_b32_e64 v35, v34, v33, s[38:39]
	v_cndmask_b32_e32 v34, v2, v4, vcc
	v_cndmask_b32_e64 v34, v34, v6, s[10:11]
	v_cndmask_b32_e64 v34, v34, v8, s[12:13]
	;; [unrolled: 1-line block ×10, first 2 shown]
	ds_read_b64 v[36:37], v103
	v_cndmask_b32_e64 v34, v34, v26, s[30:31]
	v_cndmask_b32_e64 v34, v34, v28, s[34:35]
	;; [unrolled: 1-line block ×4, first 2 shown]
	s_waitcnt lgkmcnt(0)
	v_mul_f64 v[34:35], v[34:35], v[36:37]
	s_cbranch_execz .LBB79_302
	s_branch .LBB79_303
.LBB79_301:
                                        ; implicit-def: $vgpr34_vgpr35
.LBB79_302:
	ds_read_b64 v[34:35], v103
.LBB79_303:
	v_cmp_ne_u32_e32 vcc, 8, v0
	s_and_saveexec_b64 s[42:43], vcc
	s_cbranch_execz .LBB79_319
; %bb.304:
	v_cmp_eq_u32_e32 vcc, 1, v38
	s_waitcnt vmcnt(1)
	v_cndmask_b32_e32 v36, v3, v5, vcc
	v_cmp_eq_u32_e64 s[10:11], 2, v38
	v_cndmask_b32_e64 v36, v36, v7, s[10:11]
	v_cmp_eq_u32_e64 s[12:13], 3, v38
	v_cndmask_b32_e64 v36, v36, v9, s[12:13]
	;; [unrolled: 2-line block ×13, first 2 shown]
	v_cmp_eq_u32_e64 s[38:39], 15, v38
	s_waitcnt vmcnt(0)
	v_cndmask_b32_e64 v37, v36, v33, s[38:39]
	v_cndmask_b32_e32 v36, v2, v4, vcc
	v_cndmask_b32_e64 v36, v36, v6, s[10:11]
	v_cndmask_b32_e64 v36, v36, v8, s[12:13]
	;; [unrolled: 1-line block ×10, first 2 shown]
	ds_read_b64 v[38:39], v103 offset:8
	v_cndmask_b32_e64 v36, v36, v26, s[30:31]
	v_cndmask_b32_e64 v36, v36, v28, s[34:35]
	;; [unrolled: 1-line block ×4, first 2 shown]
	s_waitcnt lgkmcnt(0)
	v_fmac_f64_e32 v[34:35], v[36:37], v[38:39]
	s_and_saveexec_b64 s[38:39], s[8:9]
	s_cbranch_execz .LBB79_318
; %bb.305:
	v_add_u32_e32 v36, 2, v0
	v_cmp_eq_u32_e32 vcc, 1, v36
	v_cndmask_b32_e32 v37, v3, v5, vcc
	v_cmp_eq_u32_e64 s[8:9], 2, v36
	v_cmp_eq_u32_e64 s[10:11], 3, v36
	;; [unrolled: 1-line block ×14, first 2 shown]
	v_cndmask_b32_e32 v36, v2, v4, vcc
	v_cndmask_b32_e64 v37, v37, v7, s[8:9]
	v_cndmask_b32_e64 v36, v36, v6, s[8:9]
	;; [unrolled: 1-line block ×20, first 2 shown]
	ds_read_b64 v[38:39], v103 offset:16
	v_cndmask_b32_e64 v37, v37, v27, s[28:29]
	v_cndmask_b32_e64 v36, v36, v26, s[28:29]
	v_cndmask_b32_e64 v37, v37, v29, s[30:31]
	v_cndmask_b32_e64 v36, v36, v28, s[30:31]
	v_cndmask_b32_e64 v37, v37, v31, s[34:35]
	v_cndmask_b32_e64 v36, v36, v30, s[34:35]
	v_cndmask_b32_e64 v37, v37, v33, s[36:37]
	v_cndmask_b32_e64 v36, v36, v32, s[36:37]
	s_waitcnt lgkmcnt(0)
	v_fmac_f64_e32 v[34:35], v[36:37], v[38:39]
	v_cmp_ne_u32_e32 vcc, 6, v0
	s_and_saveexec_b64 s[44:45], vcc
	s_cbranch_execz .LBB79_317
; %bb.306:
	v_add_u32_e32 v36, 3, v0
	v_cmp_eq_u32_e32 vcc, 1, v36
	v_cndmask_b32_e32 v37, v3, v5, vcc
	v_cmp_eq_u32_e64 s[8:9], 2, v36
	v_cmp_eq_u32_e64 s[10:11], 3, v36
	;; [unrolled: 1-line block ×14, first 2 shown]
	v_cndmask_b32_e32 v36, v2, v4, vcc
	v_cndmask_b32_e64 v37, v37, v7, s[8:9]
	v_cndmask_b32_e64 v36, v36, v6, s[8:9]
	;; [unrolled: 1-line block ×20, first 2 shown]
	ds_read_b64 v[38:39], v103 offset:24
	v_cndmask_b32_e64 v37, v37, v27, s[28:29]
	v_cndmask_b32_e64 v36, v36, v26, s[28:29]
	;; [unrolled: 1-line block ×8, first 2 shown]
	s_waitcnt lgkmcnt(0)
	v_fmac_f64_e32 v[34:35], v[36:37], v[38:39]
	s_and_saveexec_b64 s[36:37], s[6:7]
	s_cbranch_execz .LBB79_316
; %bb.307:
	v_add_u32_e32 v36, 4, v0
	v_cmp_eq_u32_e32 vcc, 1, v36
	v_cndmask_b32_e32 v37, v3, v5, vcc
	v_cmp_eq_u32_e64 s[6:7], 2, v36
	v_cmp_eq_u32_e64 s[8:9], 3, v36
	;; [unrolled: 1-line block ×14, first 2 shown]
	v_cndmask_b32_e32 v36, v2, v4, vcc
	v_cndmask_b32_e64 v37, v37, v7, s[6:7]
	v_cndmask_b32_e64 v36, v36, v6, s[6:7]
	;; [unrolled: 1-line block ×20, first 2 shown]
	ds_read_b64 v[38:39], v103 offset:32
	v_cndmask_b32_e64 v37, v37, v27, s[26:27]
	v_cndmask_b32_e64 v36, v36, v26, s[26:27]
	;; [unrolled: 1-line block ×8, first 2 shown]
	s_waitcnt lgkmcnt(0)
	v_fmac_f64_e32 v[34:35], v[36:37], v[38:39]
	v_cmp_ne_u32_e32 vcc, 4, v0
	s_and_saveexec_b64 s[46:47], vcc
	s_cbranch_execz .LBB79_315
; %bb.308:
	v_add_u32_e32 v36, 5, v0
	v_cmp_eq_u32_e32 vcc, 1, v36
	v_cndmask_b32_e32 v37, v3, v5, vcc
	v_cmp_eq_u32_e64 s[6:7], 2, v36
	v_cmp_eq_u32_e64 s[8:9], 3, v36
	;; [unrolled: 1-line block ×14, first 2 shown]
	v_cndmask_b32_e32 v36, v2, v4, vcc
	v_cndmask_b32_e64 v37, v37, v7, s[6:7]
	v_cndmask_b32_e64 v36, v36, v6, s[6:7]
	;; [unrolled: 1-line block ×20, first 2 shown]
	ds_read_b64 v[38:39], v103 offset:40
	v_cndmask_b32_e64 v37, v37, v27, s[26:27]
	v_cndmask_b32_e64 v36, v36, v26, s[26:27]
	;; [unrolled: 1-line block ×8, first 2 shown]
	s_waitcnt lgkmcnt(0)
	v_fmac_f64_e32 v[34:35], v[36:37], v[38:39]
	s_and_saveexec_b64 s[34:35], s[4:5]
	s_cbranch_execz .LBB79_314
; %bb.309:
	v_add_u32_e32 v36, 6, v0
	v_cmp_eq_u32_e32 vcc, 1, v36
	v_cndmask_b32_e32 v37, v3, v5, vcc
	v_cmp_eq_u32_e64 s[4:5], 2, v36
	v_cmp_eq_u32_e64 s[6:7], 3, v36
	;; [unrolled: 1-line block ×14, first 2 shown]
	v_cndmask_b32_e32 v36, v2, v4, vcc
	v_cndmask_b32_e64 v37, v37, v7, s[4:5]
	v_cndmask_b32_e64 v36, v36, v6, s[4:5]
	;; [unrolled: 1-line block ×20, first 2 shown]
	ds_read_b64 v[38:39], v103 offset:48
	v_cndmask_b32_e64 v37, v37, v27, s[24:25]
	v_cndmask_b32_e64 v36, v36, v26, s[24:25]
	;; [unrolled: 1-line block ×8, first 2 shown]
	s_waitcnt lgkmcnt(0)
	v_fmac_f64_e32 v[34:35], v[36:37], v[38:39]
	v_cmp_ne_u32_e32 vcc, 2, v0
	s_and_saveexec_b64 s[48:49], vcc
	s_cbranch_execz .LBB79_313
; %bb.310:
	v_add_u32_e32 v36, 7, v0
	v_cmp_eq_u32_e32 vcc, 1, v36
	v_cndmask_b32_e32 v37, v3, v5, vcc
	v_cmp_eq_u32_e64 s[4:5], 2, v36
	v_cmp_eq_u32_e64 s[6:7], 3, v36
	;; [unrolled: 1-line block ×14, first 2 shown]
	v_cndmask_b32_e32 v36, v2, v4, vcc
	v_cndmask_b32_e64 v37, v37, v7, s[4:5]
	v_cndmask_b32_e64 v36, v36, v6, s[4:5]
	v_cndmask_b32_e64 v37, v37, v9, s[6:7]
	v_cndmask_b32_e64 v36, v36, v8, s[6:7]
	v_cndmask_b32_e64 v37, v37, v11, s[8:9]
	v_cndmask_b32_e64 v36, v36, v10, s[8:9]
	v_cndmask_b32_e64 v37, v37, v13, s[10:11]
	v_cndmask_b32_e64 v36, v36, v12, s[10:11]
	v_cndmask_b32_e64 v37, v37, v15, s[12:13]
	v_cndmask_b32_e64 v36, v36, v14, s[12:13]
	v_cndmask_b32_e64 v37, v37, v17, s[14:15]
	v_cndmask_b32_e64 v36, v36, v16, s[14:15]
	v_cndmask_b32_e64 v37, v37, v19, s[16:17]
	v_cndmask_b32_e64 v36, v36, v18, s[16:17]
	v_cndmask_b32_e64 v21, v37, v21, s[18:19]
	v_cndmask_b32_e64 v20, v36, v20, s[18:19]
	v_cndmask_b32_e64 v21, v21, v23, s[20:21]
	v_cndmask_b32_e64 v20, v20, v22, s[20:21]
	v_cndmask_b32_e64 v21, v21, v25, s[22:23]
	v_cndmask_b32_e64 v20, v20, v24, s[22:23]
	ds_read_b64 v[36:37], v103 offset:56
	v_cndmask_b32_e64 v21, v21, v27, s[24:25]
	v_cndmask_b32_e64 v20, v20, v26, s[24:25]
	;; [unrolled: 1-line block ×8, first 2 shown]
	s_waitcnt lgkmcnt(0)
	v_fmac_f64_e32 v[34:35], v[20:21], v[36:37]
	s_and_saveexec_b64 s[4:5], s[2:3]
	s_cbranch_execz .LBB79_312
; %bb.311:
	ds_read_b64 v[20:21], v103 offset:64
	s_waitcnt lgkmcnt(0)
	v_fmac_f64_e32 v[34:35], v[18:19], v[20:21]
.LBB79_312:
	s_or_b64 exec, exec, s[4:5]
.LBB79_313:
	s_or_b64 exec, exec, s[48:49]
.LBB79_314:
	s_or_b64 exec, exec, s[34:35]
.LBB79_315:
	s_or_b64 exec, exec, s[46:47]
.LBB79_316:
	s_or_b64 exec, exec, s[36:37]
.LBB79_317:
	s_or_b64 exec, exec, s[44:45]
.LBB79_318:
	s_or_b64 exec, exec, s[38:39]
.LBB79_319:
	s_or_b64 exec, exec, s[42:43]
	v_mov_b32_e32 v20, 0
	ds_read_b64 v[20:21], v20 offset:72
	s_waitcnt lgkmcnt(0)
	v_mul_f64 v[20:21], v[34:35], v[20:21]
.LBB79_320:
	s_or_b64 exec, exec, s[40:41]
	v_cmp_gt_u32_e32 vcc, 10, v0
	s_waitcnt vmcnt(6)
	ds_write_b64 v103, v[22:23]
	s_waitcnt lgkmcnt(0)
	; wave barrier
	s_waitcnt lgkmcnt(0)
	s_and_saveexec_b64 s[30:31], vcc
	s_cbranch_execz .LBB79_330
; %bb.321:
	s_and_b64 vcc, exec, s[0:1]
	s_cbranch_vccnz .LBB79_323
; %bb.322:
	v_cmp_eq_u32_e32 vcc, 1, v0
	s_waitcnt vmcnt(1)
	v_cndmask_b32_e32 v34, v3, v5, vcc
	v_cmp_eq_u32_e64 s[2:3], 2, v0
	v_cndmask_b32_e64 v34, v34, v7, s[2:3]
	v_cmp_eq_u32_e64 s[4:5], 3, v0
	v_cndmask_b32_e64 v34, v34, v9, s[4:5]
	;; [unrolled: 2-line block ×13, first 2 shown]
	v_cmp_eq_u32_e64 s[28:29], 15, v0
	s_waitcnt vmcnt(0)
	v_cndmask_b32_e64 v35, v34, v33, s[28:29]
	v_cndmask_b32_e32 v34, v2, v4, vcc
	v_cndmask_b32_e64 v34, v34, v6, s[2:3]
	v_cndmask_b32_e64 v34, v34, v8, s[4:5]
	;; [unrolled: 1-line block ×10, first 2 shown]
	ds_read_b64 v[36:37], v103
	v_cndmask_b32_e64 v34, v34, v26, s[22:23]
	v_cndmask_b32_e64 v34, v34, v28, s[24:25]
	;; [unrolled: 1-line block ×4, first 2 shown]
	s_waitcnt lgkmcnt(0)
	v_mul_f64 v[34:35], v[34:35], v[36:37]
	s_cbranch_execz .LBB79_324
	s_branch .LBB79_325
.LBB79_323:
                                        ; implicit-def: $vgpr34_vgpr35
.LBB79_324:
	ds_read_b64 v[34:35], v103
.LBB79_325:
	v_cmp_ne_u32_e32 vcc, 9, v0
	s_and_saveexec_b64 s[6:7], vcc
	s_cbranch_execz .LBB79_329
; %bb.326:
	v_mov_b32_e32 v36, 0x88
	v_lshl_add_u32 v38, v0, 3, v36
	s_mov_b64 s[8:9], 0
	v_pk_mov_b32 v[36:37], v[0:1], v[0:1] op_sel:[0,1]
.LBB79_327:                             ; =>This Inner Loop Header: Depth=1
	v_add_co_u32_e32 v36, vcc, 1, v36
	v_addc_co_u32_e32 v37, vcc, 0, v37, vcc
	v_cmp_eq_u32_e32 vcc, 1, v36
	s_waitcnt vmcnt(1)
	v_cndmask_b32_e32 v39, v3, v5, vcc
	v_cmp_eq_u32_e64 s[4:5], 2, v36
	v_cmp_lt_u32_e64 s[2:3], 8, v36
	v_cndmask_b32_e64 v39, v39, v7, s[4:5]
	v_cndmask_b32_e32 v42, v2, v4, vcc
	v_cmp_eq_u32_e32 vcc, 3, v36
	s_or_b64 s[8:9], s[2:3], s[8:9]
	v_cndmask_b32_e32 v39, v39, v9, vcc
	v_cndmask_b32_e64 v42, v42, v6, s[4:5]
	v_cmp_eq_u32_e64 s[2:3], 4, v36
	v_cndmask_b32_e64 v39, v39, v11, s[2:3]
	v_cndmask_b32_e32 v42, v42, v8, vcc
	v_cmp_eq_u32_e32 vcc, 5, v36
	v_cndmask_b32_e32 v39, v39, v13, vcc
	v_cndmask_b32_e64 v42, v42, v10, s[2:3]
	v_cmp_eq_u32_e64 s[2:3], 6, v36
	v_cndmask_b32_e64 v39, v39, v15, s[2:3]
	v_cndmask_b32_e32 v42, v42, v12, vcc
	v_cmp_eq_u32_e32 vcc, 7, v36
	;; [unrolled: 6-line block ×4, first 2 shown]
	v_cndmask_b32_e32 v39, v39, v25, vcc
	v_cndmask_b32_e64 v42, v42, v22, s[2:3]
	v_cmp_eq_u32_e64 s[2:3], 12, v36
	ds_read_b64 v[40:41], v38
	v_cndmask_b32_e64 v39, v39, v27, s[2:3]
	v_cndmask_b32_e32 v42, v42, v24, vcc
	v_cmp_eq_u32_e32 vcc, 13, v36
	v_cndmask_b32_e32 v39, v39, v29, vcc
	v_cndmask_b32_e64 v42, v42, v26, s[2:3]
	v_cmp_eq_u32_e64 s[2:3], 14, v36
	v_cndmask_b32_e64 v39, v39, v31, s[2:3]
	v_cndmask_b32_e32 v42, v42, v28, vcc
	v_cmp_eq_u32_e32 vcc, 15, v36
	s_waitcnt vmcnt(0)
	v_cndmask_b32_e32 v43, v39, v33, vcc
	v_cndmask_b32_e64 v39, v42, v30, s[2:3]
	v_cndmask_b32_e32 v42, v39, v32, vcc
	v_add_u32_e32 v38, 8, v38
	s_waitcnt lgkmcnt(0)
	v_fmac_f64_e32 v[34:35], v[42:43], v[40:41]
	s_andn2_b64 exec, exec, s[8:9]
	s_cbranch_execnz .LBB79_327
; %bb.328:
	s_or_b64 exec, exec, s[8:9]
.LBB79_329:
	s_or_b64 exec, exec, s[6:7]
	v_mov_b32_e32 v22, 0
	ds_read_b64 v[22:23], v22 offset:80
	s_waitcnt lgkmcnt(0)
	v_mul_f64 v[22:23], v[34:35], v[22:23]
.LBB79_330:
	s_or_b64 exec, exec, s[30:31]
	v_cmp_gt_u32_e32 vcc, 11, v0
	s_waitcnt vmcnt(5)
	ds_write_b64 v103, v[24:25]
	s_waitcnt lgkmcnt(0)
	; wave barrier
	s_waitcnt lgkmcnt(0)
	s_and_saveexec_b64 s[30:31], vcc
	s_cbranch_execz .LBB79_340
; %bb.331:
	s_and_b64 vcc, exec, s[0:1]
	s_cbranch_vccnz .LBB79_333
; %bb.332:
	v_cmp_eq_u32_e32 vcc, 1, v0
	s_waitcnt vmcnt(1)
	v_cndmask_b32_e32 v34, v3, v5, vcc
	v_cmp_eq_u32_e64 s[2:3], 2, v0
	v_cndmask_b32_e64 v34, v34, v7, s[2:3]
	v_cmp_eq_u32_e64 s[4:5], 3, v0
	v_cndmask_b32_e64 v34, v34, v9, s[4:5]
	;; [unrolled: 2-line block ×13, first 2 shown]
	v_cmp_eq_u32_e64 s[28:29], 15, v0
	s_waitcnt vmcnt(0)
	v_cndmask_b32_e64 v35, v34, v33, s[28:29]
	v_cndmask_b32_e32 v34, v2, v4, vcc
	v_cndmask_b32_e64 v34, v34, v6, s[2:3]
	v_cndmask_b32_e64 v34, v34, v8, s[4:5]
	;; [unrolled: 1-line block ×10, first 2 shown]
	ds_read_b64 v[36:37], v103
	v_cndmask_b32_e64 v34, v34, v26, s[22:23]
	v_cndmask_b32_e64 v34, v34, v28, s[24:25]
	;; [unrolled: 1-line block ×4, first 2 shown]
	s_waitcnt lgkmcnt(0)
	v_mul_f64 v[34:35], v[34:35], v[36:37]
	s_cbranch_execz .LBB79_334
	s_branch .LBB79_335
.LBB79_333:
                                        ; implicit-def: $vgpr34_vgpr35
.LBB79_334:
	ds_read_b64 v[34:35], v103
.LBB79_335:
	v_cmp_ne_u32_e32 vcc, 10, v0
	s_and_saveexec_b64 s[6:7], vcc
	s_cbranch_execz .LBB79_339
; %bb.336:
	v_mov_b32_e32 v36, 0x88
	v_lshl_add_u32 v38, v0, 3, v36
	s_mov_b64 s[8:9], 0
	v_pk_mov_b32 v[36:37], v[0:1], v[0:1] op_sel:[0,1]
.LBB79_337:                             ; =>This Inner Loop Header: Depth=1
	v_add_co_u32_e32 v36, vcc, 1, v36
	v_addc_co_u32_e32 v37, vcc, 0, v37, vcc
	v_cmp_eq_u32_e32 vcc, 1, v36
	s_waitcnt vmcnt(1)
	v_cndmask_b32_e32 v39, v3, v5, vcc
	v_cmp_eq_u32_e64 s[4:5], 2, v36
	v_cmp_lt_u32_e64 s[2:3], 9, v36
	v_cndmask_b32_e64 v39, v39, v7, s[4:5]
	v_cndmask_b32_e32 v42, v2, v4, vcc
	v_cmp_eq_u32_e32 vcc, 3, v36
	s_or_b64 s[8:9], s[2:3], s[8:9]
	v_cndmask_b32_e32 v39, v39, v9, vcc
	v_cndmask_b32_e64 v42, v42, v6, s[4:5]
	v_cmp_eq_u32_e64 s[2:3], 4, v36
	v_cndmask_b32_e64 v39, v39, v11, s[2:3]
	v_cndmask_b32_e32 v42, v42, v8, vcc
	v_cmp_eq_u32_e32 vcc, 5, v36
	v_cndmask_b32_e32 v39, v39, v13, vcc
	v_cndmask_b32_e64 v42, v42, v10, s[2:3]
	v_cmp_eq_u32_e64 s[2:3], 6, v36
	v_cndmask_b32_e64 v39, v39, v15, s[2:3]
	v_cndmask_b32_e32 v42, v42, v12, vcc
	v_cmp_eq_u32_e32 vcc, 7, v36
	;; [unrolled: 6-line block ×4, first 2 shown]
	v_cndmask_b32_e32 v39, v39, v25, vcc
	v_cndmask_b32_e64 v42, v42, v22, s[2:3]
	v_cmp_eq_u32_e64 s[2:3], 12, v36
	ds_read_b64 v[40:41], v38
	v_cndmask_b32_e64 v39, v39, v27, s[2:3]
	v_cndmask_b32_e32 v42, v42, v24, vcc
	v_cmp_eq_u32_e32 vcc, 13, v36
	v_cndmask_b32_e32 v39, v39, v29, vcc
	v_cndmask_b32_e64 v42, v42, v26, s[2:3]
	v_cmp_eq_u32_e64 s[2:3], 14, v36
	v_cndmask_b32_e64 v39, v39, v31, s[2:3]
	v_cndmask_b32_e32 v42, v42, v28, vcc
	v_cmp_eq_u32_e32 vcc, 15, v36
	s_waitcnt vmcnt(0)
	v_cndmask_b32_e32 v43, v39, v33, vcc
	v_cndmask_b32_e64 v39, v42, v30, s[2:3]
	v_cndmask_b32_e32 v42, v39, v32, vcc
	v_add_u32_e32 v38, 8, v38
	s_waitcnt lgkmcnt(0)
	v_fmac_f64_e32 v[34:35], v[42:43], v[40:41]
	s_andn2_b64 exec, exec, s[8:9]
	s_cbranch_execnz .LBB79_337
; %bb.338:
	s_or_b64 exec, exec, s[8:9]
.LBB79_339:
	s_or_b64 exec, exec, s[6:7]
	v_mov_b32_e32 v24, 0
	ds_read_b64 v[24:25], v24 offset:88
	s_waitcnt lgkmcnt(0)
	v_mul_f64 v[24:25], v[34:35], v[24:25]
.LBB79_340:
	s_or_b64 exec, exec, s[30:31]
	v_cmp_gt_u32_e32 vcc, 12, v0
	s_waitcnt vmcnt(4)
	ds_write_b64 v103, v[26:27]
	s_waitcnt lgkmcnt(0)
	; wave barrier
	s_waitcnt lgkmcnt(0)
	s_and_saveexec_b64 s[30:31], vcc
	s_cbranch_execz .LBB79_350
; %bb.341:
	s_and_b64 vcc, exec, s[0:1]
	s_cbranch_vccnz .LBB79_343
; %bb.342:
	v_cmp_eq_u32_e32 vcc, 1, v0
	s_waitcnt vmcnt(1)
	v_cndmask_b32_e32 v34, v3, v5, vcc
	v_cmp_eq_u32_e64 s[2:3], 2, v0
	v_cndmask_b32_e64 v34, v34, v7, s[2:3]
	v_cmp_eq_u32_e64 s[4:5], 3, v0
	v_cndmask_b32_e64 v34, v34, v9, s[4:5]
	;; [unrolled: 2-line block ×13, first 2 shown]
	v_cmp_eq_u32_e64 s[28:29], 15, v0
	s_waitcnt vmcnt(0)
	v_cndmask_b32_e64 v35, v34, v33, s[28:29]
	v_cndmask_b32_e32 v34, v2, v4, vcc
	v_cndmask_b32_e64 v34, v34, v6, s[2:3]
	v_cndmask_b32_e64 v34, v34, v8, s[4:5]
	;; [unrolled: 1-line block ×10, first 2 shown]
	ds_read_b64 v[36:37], v103
	v_cndmask_b32_e64 v34, v34, v26, s[22:23]
	v_cndmask_b32_e64 v34, v34, v28, s[24:25]
	;; [unrolled: 1-line block ×4, first 2 shown]
	s_waitcnt lgkmcnt(0)
	v_mul_f64 v[34:35], v[34:35], v[36:37]
	s_cbranch_execz .LBB79_344
	s_branch .LBB79_345
.LBB79_343:
                                        ; implicit-def: $vgpr34_vgpr35
.LBB79_344:
	ds_read_b64 v[34:35], v103
.LBB79_345:
	v_cmp_ne_u32_e32 vcc, 11, v0
	s_and_saveexec_b64 s[6:7], vcc
	s_cbranch_execz .LBB79_349
; %bb.346:
	v_mov_b32_e32 v36, 0x88
	v_lshl_add_u32 v38, v0, 3, v36
	s_mov_b64 s[8:9], 0
	v_pk_mov_b32 v[36:37], v[0:1], v[0:1] op_sel:[0,1]
.LBB79_347:                             ; =>This Inner Loop Header: Depth=1
	v_add_co_u32_e32 v36, vcc, 1, v36
	v_addc_co_u32_e32 v37, vcc, 0, v37, vcc
	v_cmp_eq_u32_e32 vcc, 1, v36
	s_waitcnt vmcnt(1)
	v_cndmask_b32_e32 v39, v3, v5, vcc
	v_cmp_eq_u32_e64 s[4:5], 2, v36
	v_cmp_lt_u32_e64 s[2:3], 10, v36
	v_cndmask_b32_e64 v39, v39, v7, s[4:5]
	v_cndmask_b32_e32 v42, v2, v4, vcc
	v_cmp_eq_u32_e32 vcc, 3, v36
	s_or_b64 s[8:9], s[2:3], s[8:9]
	v_cndmask_b32_e32 v39, v39, v9, vcc
	v_cndmask_b32_e64 v42, v42, v6, s[4:5]
	v_cmp_eq_u32_e64 s[2:3], 4, v36
	v_cndmask_b32_e64 v39, v39, v11, s[2:3]
	v_cndmask_b32_e32 v42, v42, v8, vcc
	v_cmp_eq_u32_e32 vcc, 5, v36
	v_cndmask_b32_e32 v39, v39, v13, vcc
	v_cndmask_b32_e64 v42, v42, v10, s[2:3]
	v_cmp_eq_u32_e64 s[2:3], 6, v36
	v_cndmask_b32_e64 v39, v39, v15, s[2:3]
	v_cndmask_b32_e32 v42, v42, v12, vcc
	v_cmp_eq_u32_e32 vcc, 7, v36
	;; [unrolled: 6-line block ×4, first 2 shown]
	v_cndmask_b32_e32 v39, v39, v25, vcc
	v_cndmask_b32_e64 v42, v42, v22, s[2:3]
	v_cmp_eq_u32_e64 s[2:3], 12, v36
	ds_read_b64 v[40:41], v38
	v_cndmask_b32_e64 v39, v39, v27, s[2:3]
	v_cndmask_b32_e32 v42, v42, v24, vcc
	v_cmp_eq_u32_e32 vcc, 13, v36
	v_cndmask_b32_e32 v39, v39, v29, vcc
	v_cndmask_b32_e64 v42, v42, v26, s[2:3]
	v_cmp_eq_u32_e64 s[2:3], 14, v36
	v_cndmask_b32_e64 v39, v39, v31, s[2:3]
	v_cndmask_b32_e32 v42, v42, v28, vcc
	v_cmp_eq_u32_e32 vcc, 15, v36
	s_waitcnt vmcnt(0)
	v_cndmask_b32_e32 v43, v39, v33, vcc
	v_cndmask_b32_e64 v39, v42, v30, s[2:3]
	v_cndmask_b32_e32 v42, v39, v32, vcc
	v_add_u32_e32 v38, 8, v38
	s_waitcnt lgkmcnt(0)
	v_fmac_f64_e32 v[34:35], v[42:43], v[40:41]
	s_andn2_b64 exec, exec, s[8:9]
	s_cbranch_execnz .LBB79_347
; %bb.348:
	s_or_b64 exec, exec, s[8:9]
.LBB79_349:
	s_or_b64 exec, exec, s[6:7]
	v_mov_b32_e32 v26, 0
	ds_read_b64 v[26:27], v26 offset:96
	s_waitcnt lgkmcnt(0)
	v_mul_f64 v[26:27], v[34:35], v[26:27]
.LBB79_350:
	s_or_b64 exec, exec, s[30:31]
	v_cmp_gt_u32_e32 vcc, 13, v0
	s_waitcnt vmcnt(3)
	ds_write_b64 v103, v[28:29]
	s_waitcnt lgkmcnt(0)
	; wave barrier
	s_waitcnt lgkmcnt(0)
	s_and_saveexec_b64 s[30:31], vcc
	s_cbranch_execz .LBB79_360
; %bb.351:
	s_and_b64 vcc, exec, s[0:1]
	s_cbranch_vccnz .LBB79_353
; %bb.352:
	v_cmp_eq_u32_e32 vcc, 1, v0
	s_waitcnt vmcnt(1)
	v_cndmask_b32_e32 v34, v3, v5, vcc
	v_cmp_eq_u32_e64 s[2:3], 2, v0
	v_cndmask_b32_e64 v34, v34, v7, s[2:3]
	v_cmp_eq_u32_e64 s[4:5], 3, v0
	v_cndmask_b32_e64 v34, v34, v9, s[4:5]
	;; [unrolled: 2-line block ×13, first 2 shown]
	v_cmp_eq_u32_e64 s[28:29], 15, v0
	s_waitcnt vmcnt(0)
	v_cndmask_b32_e64 v35, v34, v33, s[28:29]
	v_cndmask_b32_e32 v34, v2, v4, vcc
	v_cndmask_b32_e64 v34, v34, v6, s[2:3]
	v_cndmask_b32_e64 v34, v34, v8, s[4:5]
	;; [unrolled: 1-line block ×10, first 2 shown]
	ds_read_b64 v[36:37], v103
	v_cndmask_b32_e64 v34, v34, v26, s[22:23]
	v_cndmask_b32_e64 v34, v34, v28, s[24:25]
	;; [unrolled: 1-line block ×4, first 2 shown]
	s_waitcnt lgkmcnt(0)
	v_mul_f64 v[34:35], v[34:35], v[36:37]
	s_cbranch_execz .LBB79_354
	s_branch .LBB79_355
.LBB79_353:
                                        ; implicit-def: $vgpr34_vgpr35
.LBB79_354:
	ds_read_b64 v[34:35], v103
.LBB79_355:
	v_cmp_ne_u32_e32 vcc, 12, v0
	s_and_saveexec_b64 s[6:7], vcc
	s_cbranch_execz .LBB79_359
; %bb.356:
	v_mov_b32_e32 v36, 0x88
	v_lshl_add_u32 v38, v0, 3, v36
	s_mov_b64 s[8:9], 0
	v_pk_mov_b32 v[36:37], v[0:1], v[0:1] op_sel:[0,1]
.LBB79_357:                             ; =>This Inner Loop Header: Depth=1
	v_add_co_u32_e32 v36, vcc, 1, v36
	v_addc_co_u32_e32 v37, vcc, 0, v37, vcc
	v_cmp_eq_u32_e32 vcc, 1, v36
	s_waitcnt vmcnt(1)
	v_cndmask_b32_e32 v39, v3, v5, vcc
	v_cmp_eq_u32_e64 s[4:5], 2, v36
	v_cmp_lt_u32_e64 s[2:3], 11, v36
	v_cndmask_b32_e64 v39, v39, v7, s[4:5]
	v_cndmask_b32_e32 v42, v2, v4, vcc
	v_cmp_eq_u32_e32 vcc, 3, v36
	s_or_b64 s[8:9], s[2:3], s[8:9]
	v_cndmask_b32_e32 v39, v39, v9, vcc
	v_cndmask_b32_e64 v42, v42, v6, s[4:5]
	v_cmp_eq_u32_e64 s[2:3], 4, v36
	v_cndmask_b32_e64 v39, v39, v11, s[2:3]
	v_cndmask_b32_e32 v42, v42, v8, vcc
	v_cmp_eq_u32_e32 vcc, 5, v36
	v_cndmask_b32_e32 v39, v39, v13, vcc
	v_cndmask_b32_e64 v42, v42, v10, s[2:3]
	v_cmp_eq_u32_e64 s[2:3], 6, v36
	v_cndmask_b32_e64 v39, v39, v15, s[2:3]
	v_cndmask_b32_e32 v42, v42, v12, vcc
	v_cmp_eq_u32_e32 vcc, 7, v36
	;; [unrolled: 6-line block ×4, first 2 shown]
	v_cndmask_b32_e32 v39, v39, v25, vcc
	v_cndmask_b32_e64 v42, v42, v22, s[2:3]
	v_cmp_eq_u32_e64 s[2:3], 12, v36
	ds_read_b64 v[40:41], v38
	v_cndmask_b32_e64 v39, v39, v27, s[2:3]
	v_cndmask_b32_e32 v42, v42, v24, vcc
	v_cmp_eq_u32_e32 vcc, 13, v36
	v_cndmask_b32_e32 v39, v39, v29, vcc
	v_cndmask_b32_e64 v42, v42, v26, s[2:3]
	v_cmp_eq_u32_e64 s[2:3], 14, v36
	v_cndmask_b32_e64 v39, v39, v31, s[2:3]
	v_cndmask_b32_e32 v42, v42, v28, vcc
	v_cmp_eq_u32_e32 vcc, 15, v36
	s_waitcnt vmcnt(0)
	v_cndmask_b32_e32 v43, v39, v33, vcc
	v_cndmask_b32_e64 v39, v42, v30, s[2:3]
	v_cndmask_b32_e32 v42, v39, v32, vcc
	v_add_u32_e32 v38, 8, v38
	s_waitcnt lgkmcnt(0)
	v_fmac_f64_e32 v[34:35], v[42:43], v[40:41]
	s_andn2_b64 exec, exec, s[8:9]
	s_cbranch_execnz .LBB79_357
; %bb.358:
	s_or_b64 exec, exec, s[8:9]
.LBB79_359:
	s_or_b64 exec, exec, s[6:7]
	v_mov_b32_e32 v28, 0
	ds_read_b64 v[28:29], v28 offset:104
	s_waitcnt lgkmcnt(0)
	v_mul_f64 v[28:29], v[34:35], v[28:29]
.LBB79_360:
	s_or_b64 exec, exec, s[30:31]
	v_cmp_gt_u32_e64 s[2:3], 14, v0
	s_waitcnt vmcnt(2)
	ds_write_b64 v103, v[30:31]
	s_waitcnt lgkmcnt(0)
	; wave barrier
	s_waitcnt lgkmcnt(0)
	s_and_saveexec_b64 s[34:35], s[2:3]
	s_cbranch_execz .LBB79_370
; %bb.361:
	s_and_b64 vcc, exec, s[0:1]
	s_cbranch_vccnz .LBB79_363
; %bb.362:
	v_cmp_eq_u32_e32 vcc, 1, v0
	s_waitcnt vmcnt(1)
	v_cndmask_b32_e32 v34, v3, v5, vcc
	v_cmp_eq_u32_e64 s[4:5], 2, v0
	v_cndmask_b32_e64 v34, v34, v7, s[4:5]
	v_cmp_eq_u32_e64 s[6:7], 3, v0
	v_cndmask_b32_e64 v34, v34, v9, s[6:7]
	;; [unrolled: 2-line block ×13, first 2 shown]
	v_cmp_eq_u32_e64 s[30:31], 15, v0
	s_waitcnt vmcnt(0)
	v_cndmask_b32_e64 v35, v34, v33, s[30:31]
	v_cndmask_b32_e32 v34, v2, v4, vcc
	v_cndmask_b32_e64 v34, v34, v6, s[4:5]
	v_cndmask_b32_e64 v34, v34, v8, s[6:7]
	;; [unrolled: 1-line block ×10, first 2 shown]
	ds_read_b64 v[36:37], v103
	v_cndmask_b32_e64 v34, v34, v26, s[24:25]
	v_cndmask_b32_e64 v34, v34, v28, s[26:27]
	;; [unrolled: 1-line block ×4, first 2 shown]
	s_waitcnt lgkmcnt(0)
	v_mul_f64 v[34:35], v[34:35], v[36:37]
	s_cbranch_execz .LBB79_364
	s_branch .LBB79_365
.LBB79_363:
                                        ; implicit-def: $vgpr34_vgpr35
.LBB79_364:
	ds_read_b64 v[34:35], v103
.LBB79_365:
	v_cmp_ne_u32_e32 vcc, 13, v0
	s_and_saveexec_b64 s[8:9], vcc
	s_cbranch_execz .LBB79_369
; %bb.366:
	v_mov_b32_e32 v36, 0x88
	v_lshl_add_u32 v38, v0, 3, v36
	s_mov_b64 s[10:11], 0
	v_pk_mov_b32 v[36:37], v[0:1], v[0:1] op_sel:[0,1]
.LBB79_367:                             ; =>This Inner Loop Header: Depth=1
	v_add_co_u32_e32 v36, vcc, 1, v36
	v_addc_co_u32_e32 v37, vcc, 0, v37, vcc
	v_cmp_eq_u32_e32 vcc, 1, v36
	s_waitcnt vmcnt(1)
	v_cndmask_b32_e32 v39, v3, v5, vcc
	v_cmp_eq_u32_e64 s[6:7], 2, v36
	v_cmp_lt_u32_e64 s[4:5], 12, v36
	v_cndmask_b32_e64 v39, v39, v7, s[6:7]
	v_cndmask_b32_e32 v42, v2, v4, vcc
	v_cmp_eq_u32_e32 vcc, 3, v36
	s_or_b64 s[10:11], s[4:5], s[10:11]
	v_cndmask_b32_e32 v39, v39, v9, vcc
	v_cndmask_b32_e64 v42, v42, v6, s[6:7]
	v_cmp_eq_u32_e64 s[4:5], 4, v36
	v_cndmask_b32_e64 v39, v39, v11, s[4:5]
	v_cndmask_b32_e32 v42, v42, v8, vcc
	v_cmp_eq_u32_e32 vcc, 5, v36
	v_cndmask_b32_e32 v39, v39, v13, vcc
	v_cndmask_b32_e64 v42, v42, v10, s[4:5]
	v_cmp_eq_u32_e64 s[4:5], 6, v36
	v_cndmask_b32_e64 v39, v39, v15, s[4:5]
	v_cndmask_b32_e32 v42, v42, v12, vcc
	v_cmp_eq_u32_e32 vcc, 7, v36
	v_cndmask_b32_e32 v39, v39, v17, vcc
	v_cndmask_b32_e64 v42, v42, v14, s[4:5]
	v_cmp_eq_u32_e64 s[4:5], 8, v36
	v_cndmask_b32_e64 v39, v39, v19, s[4:5]
	v_cndmask_b32_e32 v42, v42, v16, vcc
	v_cmp_eq_u32_e32 vcc, 9, v36
	v_cndmask_b32_e32 v39, v39, v21, vcc
	v_cndmask_b32_e64 v42, v42, v18, s[4:5]
	v_cmp_eq_u32_e64 s[4:5], 10, v36
	v_cndmask_b32_e64 v39, v39, v23, s[4:5]
	v_cndmask_b32_e32 v42, v42, v20, vcc
	v_cmp_eq_u32_e32 vcc, 11, v36
	v_cndmask_b32_e32 v39, v39, v25, vcc
	v_cndmask_b32_e64 v42, v42, v22, s[4:5]
	v_cmp_eq_u32_e64 s[4:5], 12, v36
	ds_read_b64 v[40:41], v38
	v_cndmask_b32_e64 v39, v39, v27, s[4:5]
	v_cndmask_b32_e32 v42, v42, v24, vcc
	v_cmp_eq_u32_e32 vcc, 13, v36
	v_cndmask_b32_e32 v39, v39, v29, vcc
	v_cndmask_b32_e64 v42, v42, v26, s[4:5]
	v_cmp_eq_u32_e64 s[4:5], 14, v36
	v_cndmask_b32_e64 v39, v39, v31, s[4:5]
	v_cndmask_b32_e32 v42, v42, v28, vcc
	v_cmp_eq_u32_e32 vcc, 15, v36
	s_waitcnt vmcnt(0)
	v_cndmask_b32_e32 v43, v39, v33, vcc
	v_cndmask_b32_e64 v39, v42, v30, s[4:5]
	v_cndmask_b32_e32 v42, v39, v32, vcc
	v_add_u32_e32 v38, 8, v38
	s_waitcnt lgkmcnt(0)
	v_fmac_f64_e32 v[34:35], v[42:43], v[40:41]
	s_andn2_b64 exec, exec, s[10:11]
	s_cbranch_execnz .LBB79_367
; %bb.368:
	s_or_b64 exec, exec, s[10:11]
.LBB79_369:
	s_or_b64 exec, exec, s[8:9]
	v_mov_b32_e32 v30, 0
	ds_read_b64 v[30:31], v30 offset:112
	s_waitcnt lgkmcnt(0)
	v_mul_f64 v[30:31], v[34:35], v[30:31]
.LBB79_370:
	s_or_b64 exec, exec, s[34:35]
	v_cmp_ne_u32_e32 vcc, 15, v0
	s_waitcnt vmcnt(0)
	ds_write_b64 v103, v[32:33]
	s_waitcnt lgkmcnt(0)
	; wave barrier
	s_waitcnt lgkmcnt(0)
	s_and_saveexec_b64 s[30:31], vcc
	s_cbranch_execz .LBB79_380
; %bb.371:
	s_and_b64 vcc, exec, s[0:1]
	s_cbranch_vccnz .LBB79_373
; %bb.372:
	v_cmp_eq_u32_e32 vcc, 1, v0
	v_cndmask_b32_e32 v34, v3, v5, vcc
	v_cmp_eq_u32_e64 s[0:1], 2, v0
	v_cndmask_b32_e64 v34, v34, v7, s[0:1]
	v_cmp_eq_u32_e64 s[4:5], 3, v0
	v_cndmask_b32_e64 v34, v34, v9, s[4:5]
	;; [unrolled: 2-line block ×14, first 2 shown]
	v_cndmask_b32_e32 v34, v2, v4, vcc
	v_cndmask_b32_e64 v34, v34, v6, s[0:1]
	v_cndmask_b32_e64 v34, v34, v8, s[4:5]
	;; [unrolled: 1-line block ×10, first 2 shown]
	ds_read_b64 v[36:37], v103
	v_cndmask_b32_e64 v34, v34, v26, s[22:23]
	v_cndmask_b32_e64 v34, v34, v28, s[24:25]
	;; [unrolled: 1-line block ×4, first 2 shown]
	s_waitcnt lgkmcnt(0)
	v_mul_f64 v[34:35], v[34:35], v[36:37]
	s_cbranch_execz .LBB79_374
	s_branch .LBB79_375
.LBB79_373:
                                        ; implicit-def: $vgpr34_vgpr35
.LBB79_374:
	ds_read_b64 v[34:35], v103
.LBB79_375:
	s_and_saveexec_b64 s[4:5], s[2:3]
	s_cbranch_execz .LBB79_379
; %bb.376:
	v_mov_b32_e32 v36, 0x88
	v_lshl_add_u32 v36, v0, 3, v36
	s_mov_b64 s[6:7], 0
.LBB79_377:                             ; =>This Inner Loop Header: Depth=1
	v_add_co_u32_e32 v0, vcc, 1, v0
	v_addc_co_u32_e32 v1, vcc, 0, v1, vcc
	v_cmp_eq_u32_e32 vcc, 1, v0
	v_cndmask_b32_e32 v37, v3, v5, vcc
	v_cmp_eq_u32_e64 s[2:3], 2, v0
	v_cmp_lt_u32_e64 s[0:1], 13, v0
	v_cndmask_b32_e64 v37, v37, v7, s[2:3]
	v_cndmask_b32_e32 v40, v2, v4, vcc
	v_cmp_eq_u32_e32 vcc, 3, v0
	s_or_b64 s[6:7], s[0:1], s[6:7]
	v_cndmask_b32_e32 v37, v37, v9, vcc
	v_cndmask_b32_e64 v40, v40, v6, s[2:3]
	v_cmp_eq_u32_e64 s[0:1], 4, v0
	v_cndmask_b32_e64 v37, v37, v11, s[0:1]
	v_cndmask_b32_e32 v40, v40, v8, vcc
	v_cmp_eq_u32_e32 vcc, 5, v0
	v_cndmask_b32_e32 v37, v37, v13, vcc
	v_cndmask_b32_e64 v40, v40, v10, s[0:1]
	v_cmp_eq_u32_e64 s[0:1], 6, v0
	v_cndmask_b32_e64 v37, v37, v15, s[0:1]
	v_cndmask_b32_e32 v40, v40, v12, vcc
	v_cmp_eq_u32_e32 vcc, 7, v0
	;; [unrolled: 6-line block ×4, first 2 shown]
	v_cndmask_b32_e32 v37, v37, v25, vcc
	v_cndmask_b32_e64 v40, v40, v22, s[0:1]
	v_cmp_eq_u32_e64 s[0:1], 12, v0
	ds_read_b64 v[38:39], v36
	v_cndmask_b32_e64 v37, v37, v27, s[0:1]
	v_cndmask_b32_e32 v40, v40, v24, vcc
	v_cmp_eq_u32_e32 vcc, 13, v0
	v_cndmask_b32_e32 v37, v37, v29, vcc
	v_cndmask_b32_e64 v40, v40, v26, s[0:1]
	v_cmp_eq_u32_e64 s[0:1], 14, v0
	v_cndmask_b32_e64 v37, v37, v31, s[0:1]
	v_cndmask_b32_e32 v40, v40, v28, vcc
	v_cmp_eq_u32_e32 vcc, 15, v0
	v_cndmask_b32_e32 v41, v37, v33, vcc
	v_cndmask_b32_e64 v37, v40, v30, s[0:1]
	v_cndmask_b32_e32 v40, v37, v32, vcc
	v_add_u32_e32 v36, 8, v36
	s_waitcnt lgkmcnt(0)
	v_fmac_f64_e32 v[34:35], v[40:41], v[38:39]
	s_andn2_b64 exec, exec, s[6:7]
	s_cbranch_execnz .LBB79_377
; %bb.378:
	s_or_b64 exec, exec, s[6:7]
.LBB79_379:
	s_or_b64 exec, exec, s[4:5]
	v_mov_b32_e32 v0, 0
	ds_read_b64 v[0:1], v0 offset:120
	s_waitcnt lgkmcnt(0)
	v_mul_f64 v[32:33], v[34:35], v[0:1]
.LBB79_380:
	s_or_b64 exec, exec, s[30:31]
	v_pk_mov_b32 v[64:65], v[32:33], v[32:33] op_sel:[0,1]
	v_pk_mov_b32 v[62:63], v[30:31], v[30:31] op_sel:[0,1]
	;; [unrolled: 1-line block ×16, first 2 shown]
.LBB79_381:
	global_store_dwordx2 v[66:67], v[34:35], off
	global_store_dwordx2 v[68:69], v[36:37], off
	global_store_dwordx2 v[70:71], v[38:39], off
	global_store_dwordx2 v[72:73], v[40:41], off
	global_store_dwordx2 v[74:75], v[42:43], off
	global_store_dwordx2 v[76:77], v[44:45], off
	global_store_dwordx2 v[78:79], v[46:47], off
	global_store_dwordx2 v[80:81], v[48:49], off
	global_store_dwordx2 v[82:83], v[50:51], off
	global_store_dwordx2 v[84:85], v[52:53], off
	global_store_dwordx2 v[86:87], v[54:55], off
	global_store_dwordx2 v[88:89], v[56:57], off
	global_store_dwordx2 v[90:91], v[58:59], off
	global_store_dwordx2 v[92:93], v[60:61], off
	global_store_dwordx2 v[94:95], v[62:63], off
	global_store_dwordx2 v[96:97], v[64:65], off
.LBB79_382:
	s_endpgm
	.section	.rodata,"a",@progbits
	.p2align	6, 0x0
	.amdhsa_kernel _ZN9rocsolver6v33100L18trti2_kernel_smallILi16EdPKPdEEv13rocblas_fill_17rocblas_diagonal_T1_iil
		.amdhsa_group_segment_fixed_size 256
		.amdhsa_private_segment_fixed_size 0
		.amdhsa_kernarg_size 32
		.amdhsa_user_sgpr_count 6
		.amdhsa_user_sgpr_private_segment_buffer 1
		.amdhsa_user_sgpr_dispatch_ptr 0
		.amdhsa_user_sgpr_queue_ptr 0
		.amdhsa_user_sgpr_kernarg_segment_ptr 1
		.amdhsa_user_sgpr_dispatch_id 0
		.amdhsa_user_sgpr_flat_scratch_init 0
		.amdhsa_user_sgpr_kernarg_preload_length 0
		.amdhsa_user_sgpr_kernarg_preload_offset 0
		.amdhsa_user_sgpr_private_segment_size 0
		.amdhsa_uses_dynamic_stack 0
		.amdhsa_system_sgpr_private_segment_wavefront_offset 0
		.amdhsa_system_sgpr_workgroup_id_x 1
		.amdhsa_system_sgpr_workgroup_id_y 0
		.amdhsa_system_sgpr_workgroup_id_z 0
		.amdhsa_system_sgpr_workgroup_info 0
		.amdhsa_system_vgpr_workitem_id 0
		.amdhsa_next_free_vgpr 126
		.amdhsa_next_free_sgpr 50
		.amdhsa_accum_offset 128
		.amdhsa_reserve_vcc 1
		.amdhsa_reserve_flat_scratch 0
		.amdhsa_float_round_mode_32 0
		.amdhsa_float_round_mode_16_64 0
		.amdhsa_float_denorm_mode_32 3
		.amdhsa_float_denorm_mode_16_64 3
		.amdhsa_dx10_clamp 1
		.amdhsa_ieee_mode 1
		.amdhsa_fp16_overflow 0
		.amdhsa_tg_split 0
		.amdhsa_exception_fp_ieee_invalid_op 0
		.amdhsa_exception_fp_denorm_src 0
		.amdhsa_exception_fp_ieee_div_zero 0
		.amdhsa_exception_fp_ieee_overflow 0
		.amdhsa_exception_fp_ieee_underflow 0
		.amdhsa_exception_fp_ieee_inexact 0
		.amdhsa_exception_int_div_zero 0
	.end_amdhsa_kernel
	.section	.text._ZN9rocsolver6v33100L18trti2_kernel_smallILi16EdPKPdEEv13rocblas_fill_17rocblas_diagonal_T1_iil,"axG",@progbits,_ZN9rocsolver6v33100L18trti2_kernel_smallILi16EdPKPdEEv13rocblas_fill_17rocblas_diagonal_T1_iil,comdat
.Lfunc_end79:
	.size	_ZN9rocsolver6v33100L18trti2_kernel_smallILi16EdPKPdEEv13rocblas_fill_17rocblas_diagonal_T1_iil, .Lfunc_end79-_ZN9rocsolver6v33100L18trti2_kernel_smallILi16EdPKPdEEv13rocblas_fill_17rocblas_diagonal_T1_iil
                                        ; -- End function
	.section	.AMDGPU.csdata,"",@progbits
; Kernel info:
; codeLenInByte = 33828
; NumSgprs: 54
; NumVgprs: 126
; NumAgprs: 0
; TotalNumVgprs: 126
; ScratchSize: 0
; MemoryBound: 0
; FloatMode: 240
; IeeeMode: 1
; LDSByteSize: 256 bytes/workgroup (compile time only)
; SGPRBlocks: 6
; VGPRBlocks: 15
; NumSGPRsForWavesPerEU: 54
; NumVGPRsForWavesPerEU: 126
; AccumOffset: 128
; Occupancy: 4
; WaveLimiterHint : 1
; COMPUTE_PGM_RSRC2:SCRATCH_EN: 0
; COMPUTE_PGM_RSRC2:USER_SGPR: 6
; COMPUTE_PGM_RSRC2:TRAP_HANDLER: 0
; COMPUTE_PGM_RSRC2:TGID_X_EN: 1
; COMPUTE_PGM_RSRC2:TGID_Y_EN: 0
; COMPUTE_PGM_RSRC2:TGID_Z_EN: 0
; COMPUTE_PGM_RSRC2:TIDIG_COMP_CNT: 0
; COMPUTE_PGM_RSRC3_GFX90A:ACCUM_OFFSET: 31
; COMPUTE_PGM_RSRC3_GFX90A:TG_SPLIT: 0
	.section	.text._ZN9rocsolver6v33100L18trti2_kernel_smallILi17EdPKPdEEv13rocblas_fill_17rocblas_diagonal_T1_iil,"axG",@progbits,_ZN9rocsolver6v33100L18trti2_kernel_smallILi17EdPKPdEEv13rocblas_fill_17rocblas_diagonal_T1_iil,comdat
	.globl	_ZN9rocsolver6v33100L18trti2_kernel_smallILi17EdPKPdEEv13rocblas_fill_17rocblas_diagonal_T1_iil ; -- Begin function _ZN9rocsolver6v33100L18trti2_kernel_smallILi17EdPKPdEEv13rocblas_fill_17rocblas_diagonal_T1_iil
	.p2align	8
	.type	_ZN9rocsolver6v33100L18trti2_kernel_smallILi17EdPKPdEEv13rocblas_fill_17rocblas_diagonal_T1_iil,@function
_ZN9rocsolver6v33100L18trti2_kernel_smallILi17EdPKPdEEv13rocblas_fill_17rocblas_diagonal_T1_iil: ; @_ZN9rocsolver6v33100L18trti2_kernel_smallILi17EdPKPdEEv13rocblas_fill_17rocblas_diagonal_T1_iil
; %bb.0:
	s_add_u32 s0, s0, s9
	s_addc_u32 s1, s1, 0
	v_cmp_gt_u32_e32 vcc, 17, v0
	s_and_saveexec_b64 s[6:7], vcc
	s_cbranch_execz .LBB80_312
; %bb.1:
	s_load_dwordx2 s[6:7], s[4:5], 0x10
	s_load_dwordx4 s[12:15], s[4:5], 0x0
	s_ashr_i32 s9, s8, 31
	s_lshl_b64 s[4:5], s[8:9], 3
	v_lshlrev_b32_e32 v1, 3, v0
	s_waitcnt lgkmcnt(0)
	s_ashr_i32 s9, s6, 31
	s_add_u32 s4, s14, s4
	s_addc_u32 s5, s15, s5
	s_load_dwordx2 s[4:5], s[4:5], 0x0
	s_mov_b32 s8, s6
	s_lshl_b64 s[8:9], s[8:9], 3
	v_mov_b32_e32 v53, 0
	s_waitcnt lgkmcnt(0)
	s_add_u32 s4, s4, s8
	s_addc_u32 s5, s5, s9
	global_load_dwordx2 v[36:37], v1, s[4:5]
	v_mov_b32_e32 v3, s5
	v_add_co_u32_e32 v2, vcc, s4, v1
	s_ashr_i32 s9, s7, 31
	s_mov_b32 s8, s7
	s_add_i32 s6, s7, s7
	v_addc_co_u32_e32 v3, vcc, 0, v3, vcc
	s_lshl_b64 s[8:9], s[8:9], 3
	v_add_u32_e32 v8, s6, v0
	v_mov_b32_e32 v5, s9
	v_add_co_u32_e32 v4, vcc, s8, v2
	v_ashrrev_i32_e32 v9, 31, v8
	v_addc_co_u32_e32 v5, vcc, v3, v5, vcc
	v_lshlrev_b64 v[6:7], 3, v[8:9]
	v_add_u32_e32 v10, s7, v8
	v_mov_b32_e32 v9, s5
	v_add_co_u32_e32 v6, vcc, s4, v6
	v_ashrrev_i32_e32 v11, 31, v10
	v_addc_co_u32_e32 v7, vcc, v9, v7, vcc
	v_lshlrev_b64 v[8:9], 3, v[10:11]
	v_mov_b32_e32 v11, s5
	v_add_co_u32_e32 v8, vcc, s4, v8
	v_add_u32_e32 v10, s7, v10
	v_addc_co_u32_e32 v9, vcc, v11, v9, vcc
	v_ashrrev_i32_e32 v11, 31, v10
	v_add_u32_e32 v12, s7, v10
	v_lshlrev_b64 v[10:11], 3, v[10:11]
	v_mov_b32_e32 v15, s5
	v_ashrrev_i32_e32 v13, 31, v12
	v_add_co_u32_e32 v10, vcc, s4, v10
	v_add_u32_e32 v14, s7, v12
	v_addc_co_u32_e32 v11, vcc, v15, v11, vcc
	v_lshlrev_b64 v[12:13], 3, v[12:13]
	v_mov_b32_e32 v17, s5
	v_ashrrev_i32_e32 v15, 31, v14
	v_add_co_u32_e32 v12, vcc, s4, v12
	v_add_u32_e32 v16, s7, v14
	v_addc_co_u32_e32 v13, vcc, v17, v13, vcc
	;; [unrolled: 6-line block ×4, first 2 shown]
	v_lshlrev_b64 v[18:19], 3, v[18:19]
	v_mov_b32_e32 v21, s5
	v_add_co_u32_e32 v18, vcc, s4, v18
	v_ashrrev_i32_e32 v23, 31, v22
	v_addc_co_u32_e32 v19, vcc, v21, v19, vcc
	v_lshlrev_b64 v[20:21], 3, v[22:23]
	v_add_u32_e32 v24, s7, v22
	v_mov_b32_e32 v23, s5
	v_add_co_u32_e32 v20, vcc, s4, v20
	v_ashrrev_i32_e32 v25, 31, v24
	v_addc_co_u32_e32 v21, vcc, v23, v21, vcc
	v_lshlrev_b64 v[22:23], 3, v[24:25]
	v_add_u32_e32 v26, s7, v24
	;; [unrolled: 6-line block ×3, first 2 shown]
	v_mov_b32_e32 v27, s5
	v_add_co_u32_e32 v24, vcc, s4, v24
	v_ashrrev_i32_e32 v29, 31, v28
	v_addc_co_u32_e32 v25, vcc, v27, v25, vcc
	v_lshlrev_b64 v[26:27], 3, v[28:29]
	v_mov_b32_e32 v29, s5
	v_add_co_u32_e32 v26, vcc, s4, v26
	global_load_dwordx2 v[38:39], v[4:5], off
	global_load_dwordx2 v[40:41], v[6:7], off
	;; [unrolled: 1-line block ×8, first 2 shown]
	v_addc_co_u32_e32 v27, vcc, v29, v27, vcc
	global_load_dwordx2 v[56:57], v[20:21], off
	global_load_dwordx2 v[58:59], v[22:23], off
	;; [unrolled: 1-line block ×4, first 2 shown]
	v_add_u32_e32 v30, s7, v28
	v_ashrrev_i32_e32 v31, 31, v30
	v_lshlrev_b64 v[28:29], 3, v[30:31]
	v_add_u32_e32 v32, s7, v30
	v_mov_b32_e32 v31, s5
	v_add_co_u32_e32 v28, vcc, s4, v28
	v_ashrrev_i32_e32 v33, 31, v32
	v_addc_co_u32_e32 v29, vcc, v31, v29, vcc
	v_lshlrev_b64 v[30:31], 3, v[32:33]
	v_add_u32_e32 v34, s7, v32
	v_mov_b32_e32 v33, s5
	v_add_co_u32_e32 v30, vcc, s4, v30
	v_ashrrev_i32_e32 v35, 31, v34
	global_load_dwordx2 v[64:65], v[28:29], off
	v_addc_co_u32_e32 v31, vcc, v33, v31, vcc
	global_load_dwordx2 v[66:67], v[30:31], off
	v_lshlrev_b64 v[32:33], 3, v[34:35]
	v_mov_b32_e32 v35, s5
	v_add_co_u32_e32 v32, vcc, s4, v32
	v_add_u32_e32 v34, s7, v34
	v_addc_co_u32_e32 v33, vcc, v35, v33, vcc
	global_load_dwordx2 v[68:69], v[32:33], off
	v_ashrrev_i32_e32 v35, 31, v34
	v_lshlrev_b64 v[34:35], 3, v[34:35]
	v_mov_b32_e32 v52, s5
	v_add_co_u32_e32 v34, vcc, s4, v34
	v_addc_co_u32_e32 v35, vcc, v52, v35, vcc
	s_waitcnt vmcnt(15)
	buffer_store_dword v37, off, s[0:3], 0 offset:4
	buffer_store_dword v36, off, s[0:3], 0
	global_load_dwordx2 v[36:37], v[34:35], off
	s_waitcnt vmcnt(17)
	buffer_store_dword v39, off, s[0:3], 0 offset:12
	buffer_store_dword v38, off, s[0:3], 0 offset:8
	s_waitcnt vmcnt(18)
	buffer_store_dword v41, off, s[0:3], 0 offset:20
	buffer_store_dword v40, off, s[0:3], 0 offset:16
	;; [unrolled: 3-line block ×16, first 2 shown]
	s_cmpk_lg_i32 s13, 0x84
	v_mov_b32_e32 v36, 0
	s_cselect_b64 s[8:9], -1, 0
	s_cmpk_eq_i32 s13, 0x84
	v_mov_b32_e32 v37, 0xbff00000
	s_cbranch_scc1 .LBB80_3
; %bb.2:
	v_lshl_add_u32 v46, v0, 3, v53
	buffer_load_dword v36, v46, s[0:3], 0 offen
	buffer_load_dword v37, v46, s[0:3], 0 offen offset:4
	s_waitcnt vmcnt(0)
	v_div_scale_f64 v[38:39], s[4:5], v[36:37], v[36:37], 1.0
	v_rcp_f64_e32 v[40:41], v[38:39]
	v_div_scale_f64 v[42:43], vcc, 1.0, v[36:37], 1.0
	v_fma_f64 v[44:45], -v[38:39], v[40:41], 1.0
	v_fmac_f64_e32 v[40:41], v[40:41], v[44:45]
	v_fma_f64 v[44:45], -v[38:39], v[40:41], 1.0
	v_fmac_f64_e32 v[40:41], v[40:41], v[44:45]
	v_mul_f64 v[44:45], v[42:43], v[40:41]
	v_fma_f64 v[38:39], -v[38:39], v[44:45], v[42:43]
	v_div_fmas_f64 v[38:39], v[38:39], v[40:41], v[44:45]
	v_div_fixup_f64 v[36:37], v[38:39], v[36:37], 1.0
	buffer_store_dword v36, v46, s[0:3], 0 offen
	buffer_store_dword v37, v46, s[0:3], 0 offen offset:4
	v_xor_b32_e32 v37, 0x80000000, v37
.LBB80_3:
	s_cmpk_eq_i32 s12, 0x79
	v_add_u32_e32 v38, 0x90, v1
	v_add_u32_e32 v39, 0, v1
	s_mov_b64 s[4:5], -1
	ds_write_b64 v1, v[36:37]
	s_cbranch_scc1 .LBB80_157
; %bb.4:
	buffer_load_dword v36, off, s[0:3], 0 offset:120
	buffer_load_dword v37, off, s[0:3], 0 offset:124
	v_cmp_eq_u32_e64 s[4:5], 16, v0
	s_waitcnt vmcnt(0)
	ds_write_b64 v38, v[36:37]
	s_waitcnt lgkmcnt(0)
	; wave barrier
	s_waitcnt lgkmcnt(0)
	s_and_saveexec_b64 s[6:7], s[4:5]
	s_cbranch_execz .LBB80_10
; %bb.5:
	s_and_b64 vcc, exec, s[8:9]
	s_cbranch_vccz .LBB80_7
; %bb.6:
	buffer_load_dword v36, v39, s[0:3], 0 offen
	buffer_load_dword v37, v39, s[0:3], 0 offen offset:4
	ds_read_b64 v[40:41], v38
	s_waitcnt vmcnt(0) lgkmcnt(0)
	v_mul_f64 v[36:37], v[36:37], v[40:41]
	s_cbranch_execz .LBB80_8
	s_branch .LBB80_9
.LBB80_7:
                                        ; implicit-def: $vgpr36_vgpr37
.LBB80_8:
	ds_read_b64 v[36:37], v38
.LBB80_9:
	v_mov_b32_e32 v40, 0
	ds_read_b64 v[40:41], v40 offset:120
	s_waitcnt lgkmcnt(0)
	v_mul_f64 v[36:37], v[36:37], v[40:41]
	buffer_store_dword v37, off, s[0:3], 0 offset:124
	buffer_store_dword v36, off, s[0:3], 0 offset:120
.LBB80_10:
	s_or_b64 exec, exec, s[6:7]
	buffer_load_dword v36, off, s[0:3], 0 offset:112
	buffer_load_dword v37, off, s[0:3], 0 offset:116
	v_or_b32_e32 v40, 8, v53
	v_add_u32_e32 v41, 16, v53
	v_add_u32_e32 v42, 24, v53
	;; [unrolled: 1-line block ×13, first 2 shown]
	v_cmp_lt_u32_e64 s[6:7], 14, v0
	s_waitcnt vmcnt(0)
	ds_write_b64 v38, v[36:37]
	s_waitcnt lgkmcnt(0)
	; wave barrier
	s_waitcnt lgkmcnt(0)
	s_and_saveexec_b64 s[10:11], s[6:7]
	s_cbranch_execz .LBB80_16
; %bb.11:
	s_andn2_b64 vcc, exec, s[8:9]
	s_cbranch_vccnz .LBB80_13
; %bb.12:
	buffer_load_dword v36, v39, s[0:3], 0 offen
	buffer_load_dword v37, v39, s[0:3], 0 offen offset:4
	ds_read_b64 v[54:55], v38
	s_waitcnt vmcnt(0) lgkmcnt(0)
	v_mul_f64 v[36:37], v[36:37], v[54:55]
	s_cbranch_execz .LBB80_14
	s_branch .LBB80_15
.LBB80_13:
                                        ; implicit-def: $vgpr36_vgpr37
.LBB80_14:
	ds_read_b64 v[36:37], v38
.LBB80_15:
	buffer_load_dword v58, off, s[0:3], 0 offset:120
	buffer_load_dword v59, off, s[0:3], 0 offset:124
	v_mov_b32_e32 v54, 0
	ds_read2_b64 v[54:57], v54 offset0:14 offset1:33
	s_waitcnt vmcnt(0) lgkmcnt(0)
	v_fma_f64 v[56:57], v[58:59], v[56:57], v[36:37]
	v_cndmask_b32_e64 v37, v37, v57, s[4:5]
	v_cndmask_b32_e64 v36, v36, v56, s[4:5]
	v_mul_f64 v[36:37], v[36:37], v[54:55]
	buffer_store_dword v37, off, s[0:3], 0 offset:116
	buffer_store_dword v36, off, s[0:3], 0 offset:112
.LBB80_16:
	s_or_b64 exec, exec, s[10:11]
	buffer_load_dword v36, off, s[0:3], 0 offset:104
	buffer_load_dword v37, off, s[0:3], 0 offset:108
	v_cmp_lt_u32_e64 s[4:5], 13, v0
	s_waitcnt vmcnt(0)
	ds_write_b64 v38, v[36:37]
	s_waitcnt lgkmcnt(0)
	; wave barrier
	s_waitcnt lgkmcnt(0)
	s_and_saveexec_b64 s[10:11], s[4:5]
	s_cbranch_execz .LBB80_26
; %bb.17:
	s_andn2_b64 vcc, exec, s[8:9]
	s_cbranch_vccnz .LBB80_19
; %bb.18:
	buffer_load_dword v36, v39, s[0:3], 0 offen
	buffer_load_dword v37, v39, s[0:3], 0 offen offset:4
	ds_read_b64 v[54:55], v38
	s_waitcnt vmcnt(0) lgkmcnt(0)
	v_mul_f64 v[36:37], v[36:37], v[54:55]
	s_cbranch_execz .LBB80_20
	s_branch .LBB80_21
.LBB80_19:
                                        ; implicit-def: $vgpr36_vgpr37
.LBB80_20:
	ds_read_b64 v[36:37], v38
.LBB80_21:
	s_and_saveexec_b64 s[12:13], s[6:7]
	s_cbranch_execz .LBB80_25
; %bb.22:
	v_add_u32_e32 v54, -14, v0
	s_movk_i32 s14, 0x100
	s_mov_b64 s[6:7], 0
.LBB80_23:                              ; =>This Inner Loop Header: Depth=1
	buffer_load_dword v56, v53, s[0:3], 0 offen
	buffer_load_dword v57, v53, s[0:3], 0 offen offset:4
	v_mov_b32_e32 v55, s14
	ds_read_b64 v[58:59], v55
	v_add_u32_e32 v54, -1, v54
	s_add_i32 s14, s14, 8
	v_cmp_eq_u32_e32 vcc, 0, v54
	v_add_u32_e32 v53, 8, v53
	s_or_b64 s[6:7], vcc, s[6:7]
	s_waitcnt vmcnt(0) lgkmcnt(0)
	v_fmac_f64_e32 v[36:37], v[56:57], v[58:59]
	s_andn2_b64 exec, exec, s[6:7]
	s_cbranch_execnz .LBB80_23
; %bb.24:
	s_or_b64 exec, exec, s[6:7]
.LBB80_25:
	s_or_b64 exec, exec, s[12:13]
	v_mov_b32_e32 v53, 0
	ds_read_b64 v[54:55], v53 offset:104
	s_waitcnt lgkmcnt(0)
	v_mul_f64 v[36:37], v[36:37], v[54:55]
	buffer_store_dword v37, off, s[0:3], 0 offset:108
	buffer_store_dword v36, off, s[0:3], 0 offset:104
.LBB80_26:
	s_or_b64 exec, exec, s[10:11]
	buffer_load_dword v36, off, s[0:3], 0 offset:96
	buffer_load_dword v37, off, s[0:3], 0 offset:100
	v_cmp_lt_u32_e64 s[6:7], 12, v0
	s_waitcnt vmcnt(0)
	ds_write_b64 v38, v[36:37]
	s_waitcnt lgkmcnt(0)
	; wave barrier
	s_waitcnt lgkmcnt(0)
	s_and_saveexec_b64 s[10:11], s[6:7]
	s_cbranch_execz .LBB80_36
; %bb.27:
	s_andn2_b64 vcc, exec, s[8:9]
	s_cbranch_vccnz .LBB80_29
; %bb.28:
	buffer_load_dword v36, v39, s[0:3], 0 offen
	buffer_load_dword v37, v39, s[0:3], 0 offen offset:4
	ds_read_b64 v[54:55], v38
	s_waitcnt vmcnt(0) lgkmcnt(0)
	v_mul_f64 v[36:37], v[36:37], v[54:55]
	s_cbranch_execz .LBB80_30
	s_branch .LBB80_31
.LBB80_29:
                                        ; implicit-def: $vgpr36_vgpr37
.LBB80_30:
	ds_read_b64 v[36:37], v38
.LBB80_31:
	s_and_saveexec_b64 s[12:13], s[4:5]
	s_cbranch_execz .LBB80_35
; %bb.32:
	v_add_u32_e32 v53, -13, v0
	s_movk_i32 s14, 0xf8
	s_mov_b64 s[4:5], 0
.LBB80_33:                              ; =>This Inner Loop Header: Depth=1
	buffer_load_dword v54, v52, s[0:3], 0 offen
	buffer_load_dword v55, v52, s[0:3], 0 offen offset:4
	v_mov_b32_e32 v56, s14
	ds_read_b64 v[56:57], v56
	v_add_u32_e32 v53, -1, v53
	s_add_i32 s14, s14, 8
	v_cmp_eq_u32_e32 vcc, 0, v53
	v_add_u32_e32 v52, 8, v52
	s_or_b64 s[4:5], vcc, s[4:5]
	s_waitcnt vmcnt(0) lgkmcnt(0)
	v_fmac_f64_e32 v[36:37], v[54:55], v[56:57]
	s_andn2_b64 exec, exec, s[4:5]
	s_cbranch_execnz .LBB80_33
; %bb.34:
	s_or_b64 exec, exec, s[4:5]
.LBB80_35:
	s_or_b64 exec, exec, s[12:13]
	v_mov_b32_e32 v52, 0
	ds_read_b64 v[52:53], v52 offset:96
	s_waitcnt lgkmcnt(0)
	v_mul_f64 v[36:37], v[36:37], v[52:53]
	buffer_store_dword v37, off, s[0:3], 0 offset:100
	buffer_store_dword v36, off, s[0:3], 0 offset:96
.LBB80_36:
	;; [unrolled: 58-line block ×8, first 2 shown]
	s_or_b64 exec, exec, s[10:11]
	buffer_load_dword v36, off, s[0:3], 0 offset:40
	buffer_load_dword v37, off, s[0:3], 0 offset:44
	v_cmp_lt_u32_e64 s[4:5], 5, v0
	s_waitcnt vmcnt(0)
	ds_write_b64 v38, v[36:37]
	s_waitcnt lgkmcnt(0)
	; wave barrier
	s_waitcnt lgkmcnt(0)
	s_and_saveexec_b64 s[10:11], s[4:5]
	s_cbranch_execz .LBB80_106
; %bb.97:
	s_andn2_b64 vcc, exec, s[8:9]
	s_cbranch_vccnz .LBB80_99
; %bb.98:
	buffer_load_dword v36, v39, s[0:3], 0 offen
	buffer_load_dword v37, v39, s[0:3], 0 offen offset:4
	ds_read_b64 v[46:47], v38
	s_waitcnt vmcnt(0) lgkmcnt(0)
	v_mul_f64 v[36:37], v[36:37], v[46:47]
	s_cbranch_execz .LBB80_100
	s_branch .LBB80_101
.LBB80_99:
                                        ; implicit-def: $vgpr36_vgpr37
.LBB80_100:
	ds_read_b64 v[36:37], v38
.LBB80_101:
	s_and_saveexec_b64 s[12:13], s[6:7]
	s_cbranch_execz .LBB80_105
; %bb.102:
	v_add_u32_e32 v46, -6, v0
	s_movk_i32 s14, 0xc0
	s_mov_b64 s[6:7], 0
.LBB80_103:                             ; =>This Inner Loop Header: Depth=1
	buffer_load_dword v48, v45, s[0:3], 0 offen
	buffer_load_dword v49, v45, s[0:3], 0 offen offset:4
	v_mov_b32_e32 v47, s14
	ds_read_b64 v[50:51], v47
	v_add_u32_e32 v46, -1, v46
	s_add_i32 s14, s14, 8
	v_cmp_eq_u32_e32 vcc, 0, v46
	v_add_u32_e32 v45, 8, v45
	s_or_b64 s[6:7], vcc, s[6:7]
	s_waitcnt vmcnt(0) lgkmcnt(0)
	v_fmac_f64_e32 v[36:37], v[48:49], v[50:51]
	s_andn2_b64 exec, exec, s[6:7]
	s_cbranch_execnz .LBB80_103
; %bb.104:
	s_or_b64 exec, exec, s[6:7]
.LBB80_105:
	s_or_b64 exec, exec, s[12:13]
	v_mov_b32_e32 v45, 0
	ds_read_b64 v[46:47], v45 offset:40
	s_waitcnt lgkmcnt(0)
	v_mul_f64 v[36:37], v[36:37], v[46:47]
	buffer_store_dword v37, off, s[0:3], 0 offset:44
	buffer_store_dword v36, off, s[0:3], 0 offset:40
.LBB80_106:
	s_or_b64 exec, exec, s[10:11]
	buffer_load_dword v36, off, s[0:3], 0 offset:32
	buffer_load_dword v37, off, s[0:3], 0 offset:36
	v_cmp_lt_u32_e64 s[6:7], 4, v0
	s_waitcnt vmcnt(0)
	ds_write_b64 v38, v[36:37]
	s_waitcnt lgkmcnt(0)
	; wave barrier
	s_waitcnt lgkmcnt(0)
	s_and_saveexec_b64 s[10:11], s[6:7]
	s_cbranch_execz .LBB80_116
; %bb.107:
	s_andn2_b64 vcc, exec, s[8:9]
	s_cbranch_vccnz .LBB80_109
; %bb.108:
	buffer_load_dword v36, v39, s[0:3], 0 offen
	buffer_load_dword v37, v39, s[0:3], 0 offen offset:4
	ds_read_b64 v[46:47], v38
	s_waitcnt vmcnt(0) lgkmcnt(0)
	v_mul_f64 v[36:37], v[36:37], v[46:47]
	s_cbranch_execz .LBB80_110
	s_branch .LBB80_111
.LBB80_109:
                                        ; implicit-def: $vgpr36_vgpr37
.LBB80_110:
	ds_read_b64 v[36:37], v38
.LBB80_111:
	s_and_saveexec_b64 s[12:13], s[4:5]
	s_cbranch_execz .LBB80_115
; %bb.112:
	v_add_u32_e32 v45, -5, v0
	s_movk_i32 s14, 0xb8
	s_mov_b64 s[4:5], 0
.LBB80_113:                             ; =>This Inner Loop Header: Depth=1
	buffer_load_dword v46, v44, s[0:3], 0 offen
	buffer_load_dword v47, v44, s[0:3], 0 offen offset:4
	v_mov_b32_e32 v48, s14
	ds_read_b64 v[48:49], v48
	v_add_u32_e32 v45, -1, v45
	s_add_i32 s14, s14, 8
	v_cmp_eq_u32_e32 vcc, 0, v45
	v_add_u32_e32 v44, 8, v44
	s_or_b64 s[4:5], vcc, s[4:5]
	s_waitcnt vmcnt(0) lgkmcnt(0)
	v_fmac_f64_e32 v[36:37], v[46:47], v[48:49]
	s_andn2_b64 exec, exec, s[4:5]
	s_cbranch_execnz .LBB80_113
; %bb.114:
	s_or_b64 exec, exec, s[4:5]
.LBB80_115:
	s_or_b64 exec, exec, s[12:13]
	v_mov_b32_e32 v44, 0
	ds_read_b64 v[44:45], v44 offset:32
	s_waitcnt lgkmcnt(0)
	v_mul_f64 v[36:37], v[36:37], v[44:45]
	buffer_store_dword v37, off, s[0:3], 0 offset:36
	buffer_store_dword v36, off, s[0:3], 0 offset:32
.LBB80_116:
	;; [unrolled: 58-line block ×5, first 2 shown]
	s_or_b64 exec, exec, s[10:11]
	buffer_load_dword v36, off, s[0:3], 0
	buffer_load_dword v37, off, s[0:3], 0 offset:4
	v_cmp_ne_u32_e32 vcc, 0, v0
	s_waitcnt vmcnt(0)
	ds_write_b64 v38, v[36:37]
	s_waitcnt lgkmcnt(0)
	; wave barrier
	s_waitcnt lgkmcnt(0)
	s_and_saveexec_b64 s[6:7], vcc
	s_cbranch_execz .LBB80_156
; %bb.147:
	s_andn2_b64 vcc, exec, s[8:9]
	s_cbranch_vccnz .LBB80_149
; %bb.148:
	buffer_load_dword v36, v39, s[0:3], 0 offen
	buffer_load_dword v37, v39, s[0:3], 0 offen offset:4
	ds_read_b64 v[42:43], v38
	s_waitcnt vmcnt(0) lgkmcnt(0)
	v_mul_f64 v[36:37], v[36:37], v[42:43]
	s_cbranch_execz .LBB80_150
	s_branch .LBB80_151
.LBB80_149:
                                        ; implicit-def: $vgpr36_vgpr37
.LBB80_150:
	ds_read_b64 v[36:37], v38
.LBB80_151:
	s_and_saveexec_b64 s[10:11], s[4:5]
	s_cbranch_execz .LBB80_155
; %bb.152:
	v_add_u32_e32 v41, -1, v0
	s_movk_i32 s12, 0x98
	s_mov_b64 s[4:5], 0
.LBB80_153:                             ; =>This Inner Loop Header: Depth=1
	buffer_load_dword v42, v40, s[0:3], 0 offen
	buffer_load_dword v43, v40, s[0:3], 0 offen offset:4
	v_mov_b32_e32 v44, s12
	ds_read_b64 v[44:45], v44
	v_add_u32_e32 v41, -1, v41
	s_add_i32 s12, s12, 8
	v_cmp_eq_u32_e32 vcc, 0, v41
	v_add_u32_e32 v40, 8, v40
	s_or_b64 s[4:5], vcc, s[4:5]
	s_waitcnt vmcnt(0) lgkmcnt(0)
	v_fmac_f64_e32 v[36:37], v[42:43], v[44:45]
	s_andn2_b64 exec, exec, s[4:5]
	s_cbranch_execnz .LBB80_153
; %bb.154:
	s_or_b64 exec, exec, s[4:5]
.LBB80_155:
	s_or_b64 exec, exec, s[10:11]
	v_mov_b32_e32 v40, 0
	ds_read_b64 v[40:41], v40
	s_waitcnt lgkmcnt(0)
	v_mul_f64 v[36:37], v[36:37], v[40:41]
	buffer_store_dword v37, off, s[0:3], 0 offset:4
	buffer_store_dword v36, off, s[0:3], 0
.LBB80_156:
	s_or_b64 exec, exec, s[6:7]
	s_mov_b64 s[4:5], 0
.LBB80_157:
	s_and_b64 vcc, exec, s[4:5]
	s_cbranch_vccz .LBB80_311
; %bb.158:
	buffer_load_dword v36, off, s[0:3], 0 offset:8
	buffer_load_dword v37, off, s[0:3], 0 offset:12
	v_cmp_eq_u32_e64 s[6:7], 0, v0
	s_waitcnt vmcnt(0)
	ds_write_b64 v38, v[36:37]
	s_waitcnt lgkmcnt(0)
	; wave barrier
	s_waitcnt lgkmcnt(0)
	s_and_saveexec_b64 s[4:5], s[6:7]
	s_cbranch_execz .LBB80_164
; %bb.159:
	s_and_b64 vcc, exec, s[8:9]
	s_cbranch_vccz .LBB80_161
; %bb.160:
	buffer_load_dword v36, v39, s[0:3], 0 offen
	buffer_load_dword v37, v39, s[0:3], 0 offen offset:4
	ds_read_b64 v[40:41], v38
	s_waitcnt vmcnt(0) lgkmcnt(0)
	v_mul_f64 v[36:37], v[36:37], v[40:41]
	s_cbranch_execz .LBB80_162
	s_branch .LBB80_163
.LBB80_161:
                                        ; implicit-def: $vgpr36_vgpr37
.LBB80_162:
	ds_read_b64 v[36:37], v38
.LBB80_163:
	v_mov_b32_e32 v40, 0
	ds_read_b64 v[40:41], v40 offset:8
	s_waitcnt lgkmcnt(0)
	v_mul_f64 v[36:37], v[36:37], v[40:41]
	buffer_store_dword v37, off, s[0:3], 0 offset:12
	buffer_store_dword v36, off, s[0:3], 0 offset:8
.LBB80_164:
	s_or_b64 exec, exec, s[4:5]
	buffer_load_dword v36, off, s[0:3], 0 offset:16
	buffer_load_dword v37, off, s[0:3], 0 offset:20
	v_cndmask_b32_e64 v40, 0, 1, s[8:9]
	v_cmp_gt_u32_e32 vcc, 2, v0
	v_cmp_ne_u32_e64 s[4:5], 1, v40
	s_waitcnt vmcnt(0)
	ds_write_b64 v38, v[36:37]
	s_waitcnt lgkmcnt(0)
	; wave barrier
	s_waitcnt lgkmcnt(0)
	s_and_saveexec_b64 s[8:9], vcc
	s_cbranch_execz .LBB80_172
; %bb.165:
	s_and_b64 vcc, exec, s[4:5]
	s_cbranch_vccnz .LBB80_167
; %bb.166:
	buffer_load_dword v36, v39, s[0:3], 0 offen
	buffer_load_dword v37, v39, s[0:3], 0 offen offset:4
	ds_read_b64 v[40:41], v38
	s_waitcnt vmcnt(0) lgkmcnt(0)
	v_mul_f64 v[36:37], v[36:37], v[40:41]
	s_cbranch_execz .LBB80_168
	s_branch .LBB80_169
.LBB80_167:
                                        ; implicit-def: $vgpr36_vgpr37
.LBB80_168:
	ds_read_b64 v[36:37], v38
.LBB80_169:
	s_and_saveexec_b64 s[10:11], s[6:7]
	s_cbranch_execz .LBB80_171
; %bb.170:
	buffer_load_dword v40, v39, s[0:3], 0 offen offset:8
	buffer_load_dword v41, v39, s[0:3], 0 offen offset:12
	ds_read_b64 v[42:43], v38 offset:8
	s_waitcnt vmcnt(0) lgkmcnt(0)
	v_fmac_f64_e32 v[36:37], v[40:41], v[42:43]
.LBB80_171:
	s_or_b64 exec, exec, s[10:11]
	v_mov_b32_e32 v40, 0
	ds_read_b64 v[40:41], v40 offset:16
	s_waitcnt lgkmcnt(0)
	v_mul_f64 v[36:37], v[36:37], v[40:41]
	buffer_store_dword v37, off, s[0:3], 0 offset:20
	buffer_store_dword v36, off, s[0:3], 0 offset:16
.LBB80_172:
	s_or_b64 exec, exec, s[8:9]
	buffer_load_dword v36, off, s[0:3], 0 offset:24
	buffer_load_dword v37, off, s[0:3], 0 offset:28
	v_cmp_gt_u32_e32 vcc, 3, v0
	s_waitcnt vmcnt(0)
	ds_write_b64 v38, v[36:37]
	s_waitcnt lgkmcnt(0)
	; wave barrier
	s_waitcnt lgkmcnt(0)
	s_and_saveexec_b64 s[8:9], vcc
	s_cbranch_execz .LBB80_180
; %bb.173:
	s_and_b64 vcc, exec, s[4:5]
	s_cbranch_vccnz .LBB80_175
; %bb.174:
	buffer_load_dword v36, v39, s[0:3], 0 offen
	buffer_load_dword v37, v39, s[0:3], 0 offen offset:4
	ds_read_b64 v[40:41], v38
	s_waitcnt vmcnt(0) lgkmcnt(0)
	v_mul_f64 v[36:37], v[36:37], v[40:41]
	s_cbranch_execz .LBB80_176
	s_branch .LBB80_177
.LBB80_175:
                                        ; implicit-def: $vgpr36_vgpr37
.LBB80_176:
	ds_read_b64 v[36:37], v38
.LBB80_177:
	v_cmp_ne_u32_e32 vcc, 2, v0
	s_and_saveexec_b64 s[10:11], vcc
	s_cbranch_execz .LBB80_179
; %bb.178:
	buffer_load_dword v41, v39, s[0:3], 0 offen offset:12
	buffer_load_dword v42, off, s[0:3], 0 offset:16
	buffer_load_dword v40, v39, s[0:3], 0 offen offset:8
	buffer_load_dword v43, off, s[0:3], 0 offset:20
	v_mov_b32_e32 v46, 0
	ds_read_b64 v[44:45], v38 offset:8
	ds_read_b64 v[46:47], v46 offset:160
	s_waitcnt vmcnt(1) lgkmcnt(1)
	v_fmac_f64_e32 v[36:37], v[40:41], v[44:45]
	s_waitcnt vmcnt(0) lgkmcnt(0)
	v_fma_f64 v[40:41], v[42:43], v[46:47], v[36:37]
	v_cndmask_b32_e64 v37, v37, v41, s[6:7]
	v_cndmask_b32_e64 v36, v36, v40, s[6:7]
.LBB80_179:
	s_or_b64 exec, exec, s[10:11]
	v_mov_b32_e32 v40, 0
	ds_read_b64 v[40:41], v40 offset:24
	s_waitcnt lgkmcnt(0)
	v_mul_f64 v[36:37], v[36:37], v[40:41]
	buffer_store_dword v37, off, s[0:3], 0 offset:28
	buffer_store_dword v36, off, s[0:3], 0 offset:24
.LBB80_180:
	s_or_b64 exec, exec, s[8:9]
	buffer_load_dword v36, off, s[0:3], 0 offset:32
	buffer_load_dword v37, off, s[0:3], 0 offset:36
	v_cmp_gt_u32_e32 vcc, 4, v0
	s_waitcnt vmcnt(0)
	ds_write_b64 v38, v[36:37]
	s_waitcnt lgkmcnt(0)
	; wave barrier
	s_waitcnt lgkmcnt(0)
	s_and_saveexec_b64 s[6:7], vcc
	s_cbranch_execz .LBB80_190
; %bb.181:
	s_and_b64 vcc, exec, s[4:5]
	s_cbranch_vccnz .LBB80_183
; %bb.182:
	buffer_load_dword v36, v39, s[0:3], 0 offen
	buffer_load_dword v37, v39, s[0:3], 0 offen offset:4
	ds_read_b64 v[40:41], v38
	s_waitcnt vmcnt(0) lgkmcnt(0)
	v_mul_f64 v[36:37], v[36:37], v[40:41]
	s_cbranch_execz .LBB80_184
	s_branch .LBB80_185
.LBB80_183:
                                        ; implicit-def: $vgpr36_vgpr37
.LBB80_184:
	ds_read_b64 v[36:37], v38
.LBB80_185:
	v_cmp_ne_u32_e32 vcc, 3, v0
	s_and_saveexec_b64 s[8:9], vcc
	s_cbranch_execz .LBB80_189
; %bb.186:
	v_mov_b32_e32 v41, 0
	v_add_u32_e32 v40, 0x98, v1
	v_add3_u32 v41, v1, v41, 8
	s_mov_b64 s[10:11], 0
	v_mov_b32_e32 v42, v0
.LBB80_187:                             ; =>This Inner Loop Header: Depth=1
	buffer_load_dword v44, v41, s[0:3], 0 offen
	buffer_load_dword v45, v41, s[0:3], 0 offen offset:4
	ds_read_b64 v[46:47], v40
	v_add_u32_e32 v42, 1, v42
	v_cmp_lt_u32_e32 vcc, 2, v42
	v_add_u32_e32 v40, 8, v40
	v_add_u32_e32 v41, 8, v41
	s_or_b64 s[10:11], vcc, s[10:11]
	s_waitcnt vmcnt(0) lgkmcnt(0)
	v_fmac_f64_e32 v[36:37], v[44:45], v[46:47]
	s_andn2_b64 exec, exec, s[10:11]
	s_cbranch_execnz .LBB80_187
; %bb.188:
	s_or_b64 exec, exec, s[10:11]
.LBB80_189:
	s_or_b64 exec, exec, s[8:9]
	v_mov_b32_e32 v40, 0
	ds_read_b64 v[40:41], v40 offset:32
	s_waitcnt lgkmcnt(0)
	v_mul_f64 v[36:37], v[36:37], v[40:41]
	buffer_store_dword v37, off, s[0:3], 0 offset:36
	buffer_store_dword v36, off, s[0:3], 0 offset:32
.LBB80_190:
	s_or_b64 exec, exec, s[6:7]
	buffer_load_dword v36, off, s[0:3], 0 offset:40
	buffer_load_dword v37, off, s[0:3], 0 offset:44
	v_cmp_gt_u32_e32 vcc, 5, v0
	s_waitcnt vmcnt(0)
	ds_write_b64 v38, v[36:37]
	s_waitcnt lgkmcnt(0)
	; wave barrier
	s_waitcnt lgkmcnt(0)
	s_and_saveexec_b64 s[6:7], vcc
	s_cbranch_execz .LBB80_200
; %bb.191:
	s_and_b64 vcc, exec, s[4:5]
	s_cbranch_vccnz .LBB80_193
; %bb.192:
	buffer_load_dword v36, v39, s[0:3], 0 offen
	buffer_load_dword v37, v39, s[0:3], 0 offen offset:4
	ds_read_b64 v[40:41], v38
	s_waitcnt vmcnt(0) lgkmcnt(0)
	v_mul_f64 v[36:37], v[36:37], v[40:41]
	s_cbranch_execz .LBB80_194
	s_branch .LBB80_195
.LBB80_193:
                                        ; implicit-def: $vgpr36_vgpr37
.LBB80_194:
	ds_read_b64 v[36:37], v38
.LBB80_195:
	v_cmp_ne_u32_e32 vcc, 4, v0
	s_and_saveexec_b64 s[8:9], vcc
	s_cbranch_execz .LBB80_199
; %bb.196:
	v_mov_b32_e32 v41, 0
	v_add_u32_e32 v40, 0x98, v1
	v_add3_u32 v41, v1, v41, 8
	s_mov_b64 s[10:11], 0
	v_mov_b32_e32 v42, v0
.LBB80_197:                             ; =>This Inner Loop Header: Depth=1
	buffer_load_dword v44, v41, s[0:3], 0 offen
	buffer_load_dword v45, v41, s[0:3], 0 offen offset:4
	ds_read_b64 v[46:47], v40
	v_add_u32_e32 v42, 1, v42
	v_cmp_lt_u32_e32 vcc, 3, v42
	v_add_u32_e32 v40, 8, v40
	v_add_u32_e32 v41, 8, v41
	s_or_b64 s[10:11], vcc, s[10:11]
	s_waitcnt vmcnt(0) lgkmcnt(0)
	v_fmac_f64_e32 v[36:37], v[44:45], v[46:47]
	s_andn2_b64 exec, exec, s[10:11]
	s_cbranch_execnz .LBB80_197
; %bb.198:
	s_or_b64 exec, exec, s[10:11]
.LBB80_199:
	s_or_b64 exec, exec, s[8:9]
	v_mov_b32_e32 v40, 0
	ds_read_b64 v[40:41], v40 offset:40
	s_waitcnt lgkmcnt(0)
	v_mul_f64 v[36:37], v[36:37], v[40:41]
	buffer_store_dword v37, off, s[0:3], 0 offset:44
	buffer_store_dword v36, off, s[0:3], 0 offset:40
.LBB80_200:
	;; [unrolled: 60-line block ×11, first 2 shown]
	s_or_b64 exec, exec, s[6:7]
	buffer_load_dword v36, off, s[0:3], 0 offset:120
	buffer_load_dword v37, off, s[0:3], 0 offset:124
	v_cmp_gt_u32_e64 s[6:7], 15, v0
	s_waitcnt vmcnt(0)
	ds_write_b64 v38, v[36:37]
	s_waitcnt lgkmcnt(0)
	; wave barrier
	s_waitcnt lgkmcnt(0)
	s_and_saveexec_b64 s[8:9], s[6:7]
	s_cbranch_execz .LBB80_300
; %bb.291:
	s_and_b64 vcc, exec, s[4:5]
	s_cbranch_vccnz .LBB80_293
; %bb.292:
	buffer_load_dword v36, v39, s[0:3], 0 offen
	buffer_load_dword v37, v39, s[0:3], 0 offen offset:4
	ds_read_b64 v[40:41], v38
	s_waitcnt vmcnt(0) lgkmcnt(0)
	v_mul_f64 v[36:37], v[36:37], v[40:41]
	s_cbranch_execz .LBB80_294
	s_branch .LBB80_295
.LBB80_293:
                                        ; implicit-def: $vgpr36_vgpr37
.LBB80_294:
	ds_read_b64 v[36:37], v38
.LBB80_295:
	v_cmp_ne_u32_e32 vcc, 14, v0
	s_and_saveexec_b64 s[10:11], vcc
	s_cbranch_execz .LBB80_299
; %bb.296:
	v_mov_b32_e32 v41, 0
	v_add_u32_e32 v40, 0x98, v1
	v_add3_u32 v41, v1, v41, 8
	s_mov_b64 s[12:13], 0
	v_mov_b32_e32 v42, v0
.LBB80_297:                             ; =>This Inner Loop Header: Depth=1
	buffer_load_dword v44, v41, s[0:3], 0 offen
	buffer_load_dword v45, v41, s[0:3], 0 offen offset:4
	ds_read_b64 v[46:47], v40
	v_add_u32_e32 v42, 1, v42
	v_cmp_lt_u32_e32 vcc, 13, v42
	v_add_u32_e32 v40, 8, v40
	v_add_u32_e32 v41, 8, v41
	s_or_b64 s[12:13], vcc, s[12:13]
	s_waitcnt vmcnt(0) lgkmcnt(0)
	v_fmac_f64_e32 v[36:37], v[44:45], v[46:47]
	s_andn2_b64 exec, exec, s[12:13]
	s_cbranch_execnz .LBB80_297
; %bb.298:
	s_or_b64 exec, exec, s[12:13]
.LBB80_299:
	s_or_b64 exec, exec, s[10:11]
	v_mov_b32_e32 v40, 0
	ds_read_b64 v[40:41], v40 offset:120
	s_waitcnt lgkmcnt(0)
	v_mul_f64 v[36:37], v[36:37], v[40:41]
	buffer_store_dword v37, off, s[0:3], 0 offset:124
	buffer_store_dword v36, off, s[0:3], 0 offset:120
.LBB80_300:
	s_or_b64 exec, exec, s[8:9]
	buffer_load_dword v36, off, s[0:3], 0 offset:128
	buffer_load_dword v37, off, s[0:3], 0 offset:132
	v_cmp_ne_u32_e32 vcc, 16, v0
	s_waitcnt vmcnt(0)
	ds_write_b64 v38, v[36:37]
	s_waitcnt lgkmcnt(0)
	; wave barrier
	s_waitcnt lgkmcnt(0)
	s_and_saveexec_b64 s[8:9], vcc
	s_cbranch_execz .LBB80_310
; %bb.301:
	s_and_b64 vcc, exec, s[4:5]
	s_cbranch_vccnz .LBB80_303
; %bb.302:
	buffer_load_dword v36, v39, s[0:3], 0 offen
	buffer_load_dword v37, v39, s[0:3], 0 offen offset:4
	ds_read_b64 v[40:41], v38
	s_waitcnt vmcnt(0) lgkmcnt(0)
	v_mul_f64 v[36:37], v[36:37], v[40:41]
	s_cbranch_execz .LBB80_304
	s_branch .LBB80_305
.LBB80_303:
                                        ; implicit-def: $vgpr36_vgpr37
.LBB80_304:
	ds_read_b64 v[36:37], v38
.LBB80_305:
	s_and_saveexec_b64 s[4:5], s[6:7]
	s_cbranch_execz .LBB80_309
; %bb.306:
	v_mov_b32_e32 v39, 0
	v_add_u32_e32 v38, 0x98, v1
	v_add3_u32 v1, v1, v39, 8
	s_mov_b64 s[6:7], 0
.LBB80_307:                             ; =>This Inner Loop Header: Depth=1
	buffer_load_dword v40, v1, s[0:3], 0 offen
	buffer_load_dword v41, v1, s[0:3], 0 offen offset:4
	ds_read_b64 v[42:43], v38
	v_add_u32_e32 v0, 1, v0
	v_cmp_lt_u32_e32 vcc, 14, v0
	v_add_u32_e32 v38, 8, v38
	v_add_u32_e32 v1, 8, v1
	s_or_b64 s[6:7], vcc, s[6:7]
	s_waitcnt vmcnt(0) lgkmcnt(0)
	v_fmac_f64_e32 v[36:37], v[40:41], v[42:43]
	s_andn2_b64 exec, exec, s[6:7]
	s_cbranch_execnz .LBB80_307
; %bb.308:
	s_or_b64 exec, exec, s[6:7]
.LBB80_309:
	s_or_b64 exec, exec, s[4:5]
	v_mov_b32_e32 v0, 0
	ds_read_b64 v[0:1], v0 offset:128
	s_waitcnt lgkmcnt(0)
	v_mul_f64 v[0:1], v[36:37], v[0:1]
	buffer_store_dword v1, off, s[0:3], 0 offset:132
	buffer_store_dword v0, off, s[0:3], 0 offset:128
.LBB80_310:
	s_or_b64 exec, exec, s[8:9]
.LBB80_311:
	buffer_load_dword v0, off, s[0:3], 0
	buffer_load_dword v1, off, s[0:3], 0 offset:4
	buffer_load_dword v36, off, s[0:3], 0 offset:8
	;; [unrolled: 1-line block ×33, first 2 shown]
	s_waitcnt vmcnt(32)
	global_store_dwordx2 v[2:3], v[0:1], off
	s_waitcnt vmcnt(31)
	global_store_dwordx2 v[4:5], v[36:37], off
	;; [unrolled: 2-line block ×9, first 2 shown]
	global_store_dwordx2 v[20:21], v[50:51], off
	global_store_dwordx2 v[22:23], v[52:53], off
	;; [unrolled: 1-line block ×3, first 2 shown]
	s_waitcnt vmcnt(20)
	global_store_dwordx2 v[26:27], v[58:59], off
	s_waitcnt vmcnt(19)
	global_store_dwordx2 v[28:29], v[60:61], off
	;; [unrolled: 2-line block ×5, first 2 shown]
.LBB80_312:
	s_endpgm
	.section	.rodata,"a",@progbits
	.p2align	6, 0x0
	.amdhsa_kernel _ZN9rocsolver6v33100L18trti2_kernel_smallILi17EdPKPdEEv13rocblas_fill_17rocblas_diagonal_T1_iil
		.amdhsa_group_segment_fixed_size 280
		.amdhsa_private_segment_fixed_size 144
		.amdhsa_kernarg_size 32
		.amdhsa_user_sgpr_count 8
		.amdhsa_user_sgpr_private_segment_buffer 1
		.amdhsa_user_sgpr_dispatch_ptr 0
		.amdhsa_user_sgpr_queue_ptr 0
		.amdhsa_user_sgpr_kernarg_segment_ptr 1
		.amdhsa_user_sgpr_dispatch_id 0
		.amdhsa_user_sgpr_flat_scratch_init 1
		.amdhsa_user_sgpr_kernarg_preload_length 0
		.amdhsa_user_sgpr_kernarg_preload_offset 0
		.amdhsa_user_sgpr_private_segment_size 0
		.amdhsa_uses_dynamic_stack 0
		.amdhsa_system_sgpr_private_segment_wavefront_offset 1
		.amdhsa_system_sgpr_workgroup_id_x 1
		.amdhsa_system_sgpr_workgroup_id_y 0
		.amdhsa_system_sgpr_workgroup_id_z 0
		.amdhsa_system_sgpr_workgroup_info 0
		.amdhsa_system_vgpr_workitem_id 0
		.amdhsa_next_free_vgpr 70
		.amdhsa_next_free_sgpr 16
		.amdhsa_accum_offset 72
		.amdhsa_reserve_vcc 1
		.amdhsa_reserve_flat_scratch 0
		.amdhsa_float_round_mode_32 0
		.amdhsa_float_round_mode_16_64 0
		.amdhsa_float_denorm_mode_32 3
		.amdhsa_float_denorm_mode_16_64 3
		.amdhsa_dx10_clamp 1
		.amdhsa_ieee_mode 1
		.amdhsa_fp16_overflow 0
		.amdhsa_tg_split 0
		.amdhsa_exception_fp_ieee_invalid_op 0
		.amdhsa_exception_fp_denorm_src 0
		.amdhsa_exception_fp_ieee_div_zero 0
		.amdhsa_exception_fp_ieee_overflow 0
		.amdhsa_exception_fp_ieee_underflow 0
		.amdhsa_exception_fp_ieee_inexact 0
		.amdhsa_exception_int_div_zero 0
	.end_amdhsa_kernel
	.section	.text._ZN9rocsolver6v33100L18trti2_kernel_smallILi17EdPKPdEEv13rocblas_fill_17rocblas_diagonal_T1_iil,"axG",@progbits,_ZN9rocsolver6v33100L18trti2_kernel_smallILi17EdPKPdEEv13rocblas_fill_17rocblas_diagonal_T1_iil,comdat
.Lfunc_end80:
	.size	_ZN9rocsolver6v33100L18trti2_kernel_smallILi17EdPKPdEEv13rocblas_fill_17rocblas_diagonal_T1_iil, .Lfunc_end80-_ZN9rocsolver6v33100L18trti2_kernel_smallILi17EdPKPdEEv13rocblas_fill_17rocblas_diagonal_T1_iil
                                        ; -- End function
	.section	.AMDGPU.csdata,"",@progbits
; Kernel info:
; codeLenInByte = 9600
; NumSgprs: 20
; NumVgprs: 70
; NumAgprs: 0
; TotalNumVgprs: 70
; ScratchSize: 144
; MemoryBound: 0
; FloatMode: 240
; IeeeMode: 1
; LDSByteSize: 280 bytes/workgroup (compile time only)
; SGPRBlocks: 2
; VGPRBlocks: 8
; NumSGPRsForWavesPerEU: 20
; NumVGPRsForWavesPerEU: 70
; AccumOffset: 72
; Occupancy: 7
; WaveLimiterHint : 1
; COMPUTE_PGM_RSRC2:SCRATCH_EN: 1
; COMPUTE_PGM_RSRC2:USER_SGPR: 8
; COMPUTE_PGM_RSRC2:TRAP_HANDLER: 0
; COMPUTE_PGM_RSRC2:TGID_X_EN: 1
; COMPUTE_PGM_RSRC2:TGID_Y_EN: 0
; COMPUTE_PGM_RSRC2:TGID_Z_EN: 0
; COMPUTE_PGM_RSRC2:TIDIG_COMP_CNT: 0
; COMPUTE_PGM_RSRC3_GFX90A:ACCUM_OFFSET: 17
; COMPUTE_PGM_RSRC3_GFX90A:TG_SPLIT: 0
	.section	.text._ZN9rocsolver6v33100L18trti2_kernel_smallILi18EdPKPdEEv13rocblas_fill_17rocblas_diagonal_T1_iil,"axG",@progbits,_ZN9rocsolver6v33100L18trti2_kernel_smallILi18EdPKPdEEv13rocblas_fill_17rocblas_diagonal_T1_iil,comdat
	.globl	_ZN9rocsolver6v33100L18trti2_kernel_smallILi18EdPKPdEEv13rocblas_fill_17rocblas_diagonal_T1_iil ; -- Begin function _ZN9rocsolver6v33100L18trti2_kernel_smallILi18EdPKPdEEv13rocblas_fill_17rocblas_diagonal_T1_iil
	.p2align	8
	.type	_ZN9rocsolver6v33100L18trti2_kernel_smallILi18EdPKPdEEv13rocblas_fill_17rocblas_diagonal_T1_iil,@function
_ZN9rocsolver6v33100L18trti2_kernel_smallILi18EdPKPdEEv13rocblas_fill_17rocblas_diagonal_T1_iil: ; @_ZN9rocsolver6v33100L18trti2_kernel_smallILi18EdPKPdEEv13rocblas_fill_17rocblas_diagonal_T1_iil
; %bb.0:
	s_add_u32 s0, s0, s9
	s_addc_u32 s1, s1, 0
	v_cmp_gt_u32_e32 vcc, 18, v0
	s_and_saveexec_b64 s[6:7], vcc
	s_cbranch_execz .LBB81_332
; %bb.1:
	s_load_dwordx2 s[6:7], s[4:5], 0x10
	s_load_dwordx4 s[12:15], s[4:5], 0x0
	s_ashr_i32 s9, s8, 31
	s_lshl_b64 s[4:5], s[8:9], 3
	v_lshlrev_b32_e32 v1, 3, v0
	s_waitcnt lgkmcnt(0)
	s_ashr_i32 s9, s6, 31
	s_add_u32 s4, s14, s4
	s_addc_u32 s5, s15, s5
	s_load_dwordx2 s[4:5], s[4:5], 0x0
	s_mov_b32 s8, s6
	s_lshl_b64 s[8:9], s[8:9], 3
	v_mov_b32_e32 v56, 0
	s_waitcnt lgkmcnt(0)
	s_add_u32 s4, s4, s8
	s_addc_u32 s5, s5, s9
	v_mov_b32_e32 v3, s5
	v_add_co_u32_e32 v2, vcc, s4, v1
	s_ashr_i32 s9, s7, 31
	s_mov_b32 s8, s7
	v_addc_co_u32_e32 v3, vcc, 0, v3, vcc
	s_lshl_b64 s[8:9], s[8:9], 3
	global_load_dwordx2 v[18:19], v1, s[4:5]
	v_mov_b32_e32 v5, s9
	v_add_co_u32_e32 v4, vcc, s8, v2
	v_addc_co_u32_e32 v5, vcc, v3, v5, vcc
	global_load_dwordx2 v[20:21], v[4:5], off
	s_add_i32 s6, s7, s7
	v_add_u32_e32 v6, s6, v0
	v_ashrrev_i32_e32 v7, 31, v6
	v_add_u32_e32 v8, s7, v6
	v_lshlrev_b64 v[6:7], 3, v[6:7]
	v_mov_b32_e32 v11, s5
	v_ashrrev_i32_e32 v9, 31, v8
	v_add_co_u32_e32 v6, vcc, s4, v6
	v_add_u32_e32 v10, s7, v8
	v_addc_co_u32_e32 v7, vcc, v11, v7, vcc
	v_lshlrev_b64 v[8:9], 3, v[8:9]
	v_mov_b32_e32 v13, s5
	v_ashrrev_i32_e32 v11, 31, v10
	v_add_co_u32_e32 v8, vcc, s4, v8
	v_add_u32_e32 v12, s7, v10
	v_addc_co_u32_e32 v9, vcc, v13, v9, vcc
	v_lshlrev_b64 v[10:11], 3, v[10:11]
	v_mov_b32_e32 v15, s5
	v_add_co_u32_e32 v10, vcc, s4, v10
	v_addc_co_u32_e32 v11, vcc, v15, v11, vcc
	global_load_dwordx2 v[38:39], v[6:7], off
	global_load_dwordx2 v[40:41], v[8:9], off
	;; [unrolled: 1-line block ×3, first 2 shown]
	v_add_u32_e32 v14, s7, v12
	v_add_u32_e32 v16, s7, v14
	;; [unrolled: 1-line block ×7, first 2 shown]
	v_ashrrev_i32_e32 v13, 31, v12
	v_add_u32_e32 v34, s7, v32
	v_lshlrev_b64 v[12:13], 3, v[12:13]
	v_add_u32_e32 v36, s7, v34
	v_mov_b32_e32 v17, s5
	v_add_co_u32_e32 v12, vcc, s4, v12
	v_add_u32_e32 v44, s7, v36
	v_ashrrev_i32_e32 v15, 31, v14
	v_addc_co_u32_e32 v13, vcc, v17, v13, vcc
	v_ashrrev_i32_e32 v17, 31, v16
	v_add_u32_e32 v46, s7, v44
	v_lshlrev_b64 v[14:15], 3, v[14:15]
	v_lshlrev_b64 v[26:27], 3, v[16:17]
	v_add_u32_e32 v16, s7, v46
	v_mov_b32_e32 v23, s5
	v_add_co_u32_e32 v14, vcc, s4, v14
	v_ashrrev_i32_e32 v17, 31, v16
	v_addc_co_u32_e32 v15, vcc, v23, v15, vcc
	v_lshlrev_b64 v[16:17], 3, v[16:17]
	v_mov_b32_e32 v25, s5
	v_add_co_u32_e32 v16, vcc, s4, v16
	v_addc_co_u32_e32 v17, vcc, v25, v17, vcc
	v_mov_b32_e32 v29, s5
	global_load_dwordx2 v[48:49], v[16:17], off
	v_ashrrev_i32_e32 v23, 31, v22
	v_ashrrev_i32_e32 v25, 31, v24
	;; [unrolled: 1-line block ×3, first 2 shown]
	s_waitcnt vmcnt(5)
	buffer_store_dword v19, off, s[0:3], 0 offset:4
	buffer_store_dword v18, off, s[0:3], 0
	s_waitcnt vmcnt(6)
	buffer_store_dword v21, off, s[0:3], 0 offset:12
	buffer_store_dword v20, off, s[0:3], 0 offset:8
	v_add_co_u32_e32 v18, vcc, s4, v26
	v_addc_co_u32_e32 v19, vcc, v29, v27, vcc
	v_lshlrev_b64 v[20:21], 3, v[22:23]
	v_mov_b32_e32 v22, s5
	v_add_co_u32_e32 v20, vcc, s4, v20
	v_addc_co_u32_e32 v21, vcc, v22, v21, vcc
	v_lshlrev_b64 v[22:23], 3, v[24:25]
	v_mov_b32_e32 v24, s5
	v_add_co_u32_e32 v22, vcc, s4, v22
	v_ashrrev_i32_e32 v29, 31, v28
	v_addc_co_u32_e32 v23, vcc, v24, v23, vcc
	v_lshlrev_b64 v[24:25], 3, v[28:29]
	v_mov_b32_e32 v26, s5
	v_add_co_u32_e32 v24, vcc, s4, v24
	v_addc_co_u32_e32 v25, vcc, v26, v25, vcc
	v_lshlrev_b64 v[26:27], 3, v[30:31]
	v_mov_b32_e32 v28, s5
	v_add_co_u32_e32 v26, vcc, s4, v26
	v_ashrrev_i32_e32 v33, 31, v32
	v_addc_co_u32_e32 v27, vcc, v28, v27, vcc
	v_lshlrev_b64 v[28:29], 3, v[32:33]
	v_mov_b32_e32 v30, s5
	v_add_co_u32_e32 v28, vcc, s4, v28
	global_load_dwordx2 v[50:51], v[12:13], off
	global_load_dwordx2 v[52:53], v[14:15], off
	;; [unrolled: 1-line block ×4, first 2 shown]
	v_addc_co_u32_e32 v29, vcc, v30, v29, vcc
	global_load_dwordx2 v[60:61], v[22:23], off
	global_load_dwordx2 v[62:63], v[24:25], off
	;; [unrolled: 1-line block ×4, first 2 shown]
	v_ashrrev_i32_e32 v35, 31, v34
	v_lshlrev_b64 v[30:31], 3, v[34:35]
	v_mov_b32_e32 v32, s5
	v_add_co_u32_e32 v30, vcc, s4, v30
	v_ashrrev_i32_e32 v37, 31, v36
	v_addc_co_u32_e32 v31, vcc, v32, v31, vcc
	v_lshlrev_b64 v[32:33], 3, v[36:37]
	v_mov_b32_e32 v34, s5
	v_add_co_u32_e32 v32, vcc, s4, v32
	v_ashrrev_i32_e32 v45, 31, v44
	v_addc_co_u32_e32 v33, vcc, v34, v33, vcc
	v_lshlrev_b64 v[34:35], 3, v[44:45]
	v_mov_b32_e32 v36, s5
	v_add_co_u32_e32 v34, vcc, s4, v34
	v_ashrrev_i32_e32 v47, 31, v46
	global_load_dwordx2 v[68:69], v[30:31], off
	v_addc_co_u32_e32 v35, vcc, v36, v35, vcc
	v_lshlrev_b64 v[36:37], 3, v[46:47]
	v_mov_b32_e32 v44, s5
	v_add_co_u32_e32 v36, vcc, s4, v36
	v_addc_co_u32_e32 v37, vcc, v44, v37, vcc
	global_load_dwordx2 v[44:45], v[32:33], off
	global_load_dwordx2 v[46:47], v[34:35], off
	s_cmpk_lg_i32 s13, 0x84
	s_waitcnt vmcnt(18)
	buffer_store_dword v39, off, s[0:3], 0 offset:20
	buffer_store_dword v38, off, s[0:3], 0 offset:16
	global_load_dwordx2 v[38:39], v[36:37], off
	s_waitcnt vmcnt(20)
	buffer_store_dword v41, off, s[0:3], 0 offset:28
	buffer_store_dword v40, off, s[0:3], 0 offset:24
	s_waitcnt vmcnt(21)
	buffer_store_dword v43, off, s[0:3], 0 offset:36
	buffer_store_dword v42, off, s[0:3], 0 offset:32
	;; [unrolled: 3-line block ×14, first 2 shown]
	buffer_store_dword v48, off, s[0:3], 0 offset:136
	buffer_store_dword v49, off, s[0:3], 0 offset:140
	v_mov_b32_e32 v38, 0
	s_cselect_b64 s[8:9], -1, 0
	s_cmpk_eq_i32 s13, 0x84
	v_mov_b32_e32 v39, 0xbff00000
	s_cbranch_scc1 .LBB81_3
; %bb.2:
	v_lshl_add_u32 v48, v0, 3, v56
	buffer_load_dword v38, v48, s[0:3], 0 offen
	buffer_load_dword v39, v48, s[0:3], 0 offen offset:4
	s_waitcnt vmcnt(0)
	v_div_scale_f64 v[40:41], s[4:5], v[38:39], v[38:39], 1.0
	v_rcp_f64_e32 v[42:43], v[40:41]
	v_div_scale_f64 v[44:45], vcc, 1.0, v[38:39], 1.0
	v_fma_f64 v[46:47], -v[40:41], v[42:43], 1.0
	v_fmac_f64_e32 v[42:43], v[42:43], v[46:47]
	v_fma_f64 v[46:47], -v[40:41], v[42:43], 1.0
	v_fmac_f64_e32 v[42:43], v[42:43], v[46:47]
	v_mul_f64 v[46:47], v[44:45], v[42:43]
	v_fma_f64 v[40:41], -v[40:41], v[46:47], v[44:45]
	v_div_fmas_f64 v[40:41], v[40:41], v[42:43], v[46:47]
	v_div_fixup_f64 v[38:39], v[40:41], v[38:39], 1.0
	buffer_store_dword v38, v48, s[0:3], 0 offen
	buffer_store_dword v39, v48, s[0:3], 0 offen offset:4
	v_xor_b32_e32 v39, 0x80000000, v39
.LBB81_3:
	s_cmpk_eq_i32 s12, 0x79
	v_add_u32_e32 v40, 0x90, v1
	v_add_u32_e32 v41, 0, v1
	s_mov_b64 s[4:5], -1
	ds_write_b64 v1, v[38:39]
	s_cbranch_scc1 .LBB81_167
; %bb.4:
	buffer_load_dword v38, off, s[0:3], 0 offset:128
	buffer_load_dword v39, off, s[0:3], 0 offset:132
	v_cmp_eq_u32_e64 s[4:5], 17, v0
	s_waitcnt vmcnt(0)
	ds_write_b64 v40, v[38:39]
	s_waitcnt lgkmcnt(0)
	; wave barrier
	s_waitcnt lgkmcnt(0)
	s_and_saveexec_b64 s[6:7], s[4:5]
	s_cbranch_execz .LBB81_10
; %bb.5:
	s_and_b64 vcc, exec, s[8:9]
	s_cbranch_vccz .LBB81_7
; %bb.6:
	buffer_load_dword v38, v41, s[0:3], 0 offen
	buffer_load_dword v39, v41, s[0:3], 0 offen offset:4
	ds_read_b64 v[42:43], v40
	s_waitcnt vmcnt(0) lgkmcnt(0)
	v_mul_f64 v[38:39], v[38:39], v[42:43]
	s_cbranch_execz .LBB81_8
	s_branch .LBB81_9
.LBB81_7:
                                        ; implicit-def: $vgpr38_vgpr39
.LBB81_8:
	ds_read_b64 v[38:39], v40
.LBB81_9:
	v_mov_b32_e32 v42, 0
	ds_read_b64 v[42:43], v42 offset:128
	s_waitcnt lgkmcnt(0)
	v_mul_f64 v[38:39], v[38:39], v[42:43]
	buffer_store_dword v39, off, s[0:3], 0 offset:132
	buffer_store_dword v38, off, s[0:3], 0 offset:128
.LBB81_10:
	s_or_b64 exec, exec, s[6:7]
	buffer_load_dword v38, off, s[0:3], 0 offset:120
	buffer_load_dword v39, off, s[0:3], 0 offset:124
	v_or_b32_e32 v42, 8, v56
	v_add_u32_e32 v43, 16, v56
	v_add_u32_e32 v44, 24, v56
	;; [unrolled: 1-line block ×14, first 2 shown]
	v_cmp_lt_u32_e64 s[6:7], 15, v0
	s_waitcnt vmcnt(0)
	ds_write_b64 v40, v[38:39]
	s_waitcnt lgkmcnt(0)
	; wave barrier
	s_waitcnt lgkmcnt(0)
	s_and_saveexec_b64 s[10:11], s[6:7]
	s_cbranch_execz .LBB81_16
; %bb.11:
	s_andn2_b64 vcc, exec, s[8:9]
	s_cbranch_vccnz .LBB81_13
; %bb.12:
	buffer_load_dword v38, v41, s[0:3], 0 offen
	buffer_load_dword v39, v41, s[0:3], 0 offen offset:4
	ds_read_b64 v[58:59], v40
	s_waitcnt vmcnt(0) lgkmcnt(0)
	v_mul_f64 v[38:39], v[38:39], v[58:59]
	s_cbranch_execz .LBB81_14
	s_branch .LBB81_15
.LBB81_13:
                                        ; implicit-def: $vgpr38_vgpr39
.LBB81_14:
	ds_read_b64 v[38:39], v40
.LBB81_15:
	buffer_load_dword v62, off, s[0:3], 0 offset:128
	buffer_load_dword v63, off, s[0:3], 0 offset:132
	v_mov_b32_e32 v57, 0
	ds_read2_b64 v[58:61], v57 offset0:15 offset1:34
	s_waitcnt vmcnt(0) lgkmcnt(0)
	v_fma_f64 v[60:61], v[62:63], v[60:61], v[38:39]
	v_cndmask_b32_e64 v39, v39, v61, s[4:5]
	v_cndmask_b32_e64 v38, v38, v60, s[4:5]
	v_mul_f64 v[38:39], v[38:39], v[58:59]
	buffer_store_dword v39, off, s[0:3], 0 offset:124
	buffer_store_dword v38, off, s[0:3], 0 offset:120
.LBB81_16:
	s_or_b64 exec, exec, s[10:11]
	buffer_load_dword v38, off, s[0:3], 0 offset:112
	buffer_load_dword v39, off, s[0:3], 0 offset:116
	v_cmp_lt_u32_e64 s[4:5], 14, v0
	s_waitcnt vmcnt(0)
	ds_write_b64 v40, v[38:39]
	s_waitcnt lgkmcnt(0)
	; wave barrier
	s_waitcnt lgkmcnt(0)
	s_and_saveexec_b64 s[10:11], s[4:5]
	s_cbranch_execz .LBB81_26
; %bb.17:
	s_andn2_b64 vcc, exec, s[8:9]
	s_cbranch_vccnz .LBB81_19
; %bb.18:
	buffer_load_dword v38, v41, s[0:3], 0 offen
	buffer_load_dword v39, v41, s[0:3], 0 offen offset:4
	ds_read_b64 v[58:59], v40
	s_waitcnt vmcnt(0) lgkmcnt(0)
	v_mul_f64 v[38:39], v[38:39], v[58:59]
	s_cbranch_execz .LBB81_20
	s_branch .LBB81_21
.LBB81_19:
                                        ; implicit-def: $vgpr38_vgpr39
.LBB81_20:
	ds_read_b64 v[38:39], v40
.LBB81_21:
	s_and_saveexec_b64 s[12:13], s[6:7]
	s_cbranch_execz .LBB81_25
; %bb.22:
	v_add_u32_e32 v57, -15, v0
	s_movk_i32 s14, 0x108
	s_mov_b64 s[6:7], 0
.LBB81_23:                              ; =>This Inner Loop Header: Depth=1
	buffer_load_dword v58, v56, s[0:3], 0 offen
	buffer_load_dword v59, v56, s[0:3], 0 offen offset:4
	v_mov_b32_e32 v60, s14
	ds_read_b64 v[60:61], v60
	v_add_u32_e32 v57, -1, v57
	s_add_i32 s14, s14, 8
	v_cmp_eq_u32_e32 vcc, 0, v57
	v_add_u32_e32 v56, 8, v56
	s_or_b64 s[6:7], vcc, s[6:7]
	s_waitcnt vmcnt(0) lgkmcnt(0)
	v_fmac_f64_e32 v[38:39], v[58:59], v[60:61]
	s_andn2_b64 exec, exec, s[6:7]
	s_cbranch_execnz .LBB81_23
; %bb.24:
	s_or_b64 exec, exec, s[6:7]
.LBB81_25:
	s_or_b64 exec, exec, s[12:13]
	v_mov_b32_e32 v56, 0
	ds_read_b64 v[56:57], v56 offset:112
	s_waitcnt lgkmcnt(0)
	v_mul_f64 v[38:39], v[38:39], v[56:57]
	buffer_store_dword v39, off, s[0:3], 0 offset:116
	buffer_store_dword v38, off, s[0:3], 0 offset:112
.LBB81_26:
	s_or_b64 exec, exec, s[10:11]
	buffer_load_dword v38, off, s[0:3], 0 offset:104
	buffer_load_dword v39, off, s[0:3], 0 offset:108
	v_cmp_lt_u32_e64 s[6:7], 13, v0
	s_waitcnt vmcnt(0)
	ds_write_b64 v40, v[38:39]
	s_waitcnt lgkmcnt(0)
	; wave barrier
	s_waitcnt lgkmcnt(0)
	s_and_saveexec_b64 s[10:11], s[6:7]
	s_cbranch_execz .LBB81_36
; %bb.27:
	s_andn2_b64 vcc, exec, s[8:9]
	s_cbranch_vccnz .LBB81_29
; %bb.28:
	buffer_load_dword v38, v41, s[0:3], 0 offen
	buffer_load_dword v39, v41, s[0:3], 0 offen offset:4
	ds_read_b64 v[56:57], v40
	s_waitcnt vmcnt(0) lgkmcnt(0)
	v_mul_f64 v[38:39], v[38:39], v[56:57]
	s_cbranch_execz .LBB81_30
	s_branch .LBB81_31
.LBB81_29:
                                        ; implicit-def: $vgpr38_vgpr39
.LBB81_30:
	ds_read_b64 v[38:39], v40
.LBB81_31:
	s_and_saveexec_b64 s[12:13], s[4:5]
	s_cbranch_execz .LBB81_35
; %bb.32:
	v_add_u32_e32 v56, -14, v0
	s_movk_i32 s14, 0x100
	s_mov_b64 s[4:5], 0
.LBB81_33:                              ; =>This Inner Loop Header: Depth=1
	buffer_load_dword v58, v55, s[0:3], 0 offen
	buffer_load_dword v59, v55, s[0:3], 0 offen offset:4
	v_mov_b32_e32 v57, s14
	ds_read_b64 v[60:61], v57
	v_add_u32_e32 v56, -1, v56
	s_add_i32 s14, s14, 8
	v_cmp_eq_u32_e32 vcc, 0, v56
	v_add_u32_e32 v55, 8, v55
	s_or_b64 s[4:5], vcc, s[4:5]
	s_waitcnt vmcnt(0) lgkmcnt(0)
	v_fmac_f64_e32 v[38:39], v[58:59], v[60:61]
	s_andn2_b64 exec, exec, s[4:5]
	s_cbranch_execnz .LBB81_33
; %bb.34:
	s_or_b64 exec, exec, s[4:5]
.LBB81_35:
	s_or_b64 exec, exec, s[12:13]
	v_mov_b32_e32 v55, 0
	ds_read_b64 v[56:57], v55 offset:104
	s_waitcnt lgkmcnt(0)
	v_mul_f64 v[38:39], v[38:39], v[56:57]
	buffer_store_dword v39, off, s[0:3], 0 offset:108
	buffer_store_dword v38, off, s[0:3], 0 offset:104
.LBB81_36:
	;; [unrolled: 58-line block ×8, first 2 shown]
	s_or_b64 exec, exec, s[10:11]
	buffer_load_dword v38, off, s[0:3], 0 offset:48
	buffer_load_dword v39, off, s[0:3], 0 offset:52
	v_cmp_lt_u32_e64 s[4:5], 6, v0
	s_waitcnt vmcnt(0)
	ds_write_b64 v40, v[38:39]
	s_waitcnt lgkmcnt(0)
	; wave barrier
	s_waitcnt lgkmcnt(0)
	s_and_saveexec_b64 s[10:11], s[4:5]
	s_cbranch_execz .LBB81_106
; %bb.97:
	s_andn2_b64 vcc, exec, s[8:9]
	s_cbranch_vccnz .LBB81_99
; %bb.98:
	buffer_load_dword v38, v41, s[0:3], 0 offen
	buffer_load_dword v39, v41, s[0:3], 0 offen offset:4
	ds_read_b64 v[50:51], v40
	s_waitcnt vmcnt(0) lgkmcnt(0)
	v_mul_f64 v[38:39], v[38:39], v[50:51]
	s_cbranch_execz .LBB81_100
	s_branch .LBB81_101
.LBB81_99:
                                        ; implicit-def: $vgpr38_vgpr39
.LBB81_100:
	ds_read_b64 v[38:39], v40
.LBB81_101:
	s_and_saveexec_b64 s[12:13], s[6:7]
	s_cbranch_execz .LBB81_105
; %bb.102:
	v_add_u32_e32 v49, -7, v0
	s_movk_i32 s14, 0xc8
	s_mov_b64 s[6:7], 0
.LBB81_103:                             ; =>This Inner Loop Header: Depth=1
	buffer_load_dword v50, v48, s[0:3], 0 offen
	buffer_load_dword v51, v48, s[0:3], 0 offen offset:4
	v_mov_b32_e32 v52, s14
	ds_read_b64 v[52:53], v52
	v_add_u32_e32 v49, -1, v49
	s_add_i32 s14, s14, 8
	v_cmp_eq_u32_e32 vcc, 0, v49
	v_add_u32_e32 v48, 8, v48
	s_or_b64 s[6:7], vcc, s[6:7]
	s_waitcnt vmcnt(0) lgkmcnt(0)
	v_fmac_f64_e32 v[38:39], v[50:51], v[52:53]
	s_andn2_b64 exec, exec, s[6:7]
	s_cbranch_execnz .LBB81_103
; %bb.104:
	s_or_b64 exec, exec, s[6:7]
.LBB81_105:
	s_or_b64 exec, exec, s[12:13]
	v_mov_b32_e32 v48, 0
	ds_read_b64 v[48:49], v48 offset:48
	s_waitcnt lgkmcnt(0)
	v_mul_f64 v[38:39], v[38:39], v[48:49]
	buffer_store_dword v39, off, s[0:3], 0 offset:52
	buffer_store_dword v38, off, s[0:3], 0 offset:48
.LBB81_106:
	s_or_b64 exec, exec, s[10:11]
	buffer_load_dword v38, off, s[0:3], 0 offset:40
	buffer_load_dword v39, off, s[0:3], 0 offset:44
	v_cmp_lt_u32_e64 s[6:7], 5, v0
	s_waitcnt vmcnt(0)
	ds_write_b64 v40, v[38:39]
	s_waitcnt lgkmcnt(0)
	; wave barrier
	s_waitcnt lgkmcnt(0)
	s_and_saveexec_b64 s[10:11], s[6:7]
	s_cbranch_execz .LBB81_116
; %bb.107:
	s_andn2_b64 vcc, exec, s[8:9]
	s_cbranch_vccnz .LBB81_109
; %bb.108:
	buffer_load_dword v38, v41, s[0:3], 0 offen
	buffer_load_dword v39, v41, s[0:3], 0 offen offset:4
	ds_read_b64 v[48:49], v40
	s_waitcnt vmcnt(0) lgkmcnt(0)
	v_mul_f64 v[38:39], v[38:39], v[48:49]
	s_cbranch_execz .LBB81_110
	s_branch .LBB81_111
.LBB81_109:
                                        ; implicit-def: $vgpr38_vgpr39
.LBB81_110:
	ds_read_b64 v[38:39], v40
.LBB81_111:
	s_and_saveexec_b64 s[12:13], s[4:5]
	s_cbranch_execz .LBB81_115
; %bb.112:
	v_add_u32_e32 v48, -6, v0
	s_movk_i32 s14, 0xc0
	s_mov_b64 s[4:5], 0
.LBB81_113:                             ; =>This Inner Loop Header: Depth=1
	buffer_load_dword v50, v47, s[0:3], 0 offen
	buffer_load_dword v51, v47, s[0:3], 0 offen offset:4
	v_mov_b32_e32 v49, s14
	ds_read_b64 v[52:53], v49
	v_add_u32_e32 v48, -1, v48
	s_add_i32 s14, s14, 8
	v_cmp_eq_u32_e32 vcc, 0, v48
	v_add_u32_e32 v47, 8, v47
	s_or_b64 s[4:5], vcc, s[4:5]
	s_waitcnt vmcnt(0) lgkmcnt(0)
	v_fmac_f64_e32 v[38:39], v[50:51], v[52:53]
	s_andn2_b64 exec, exec, s[4:5]
	s_cbranch_execnz .LBB81_113
; %bb.114:
	s_or_b64 exec, exec, s[4:5]
.LBB81_115:
	s_or_b64 exec, exec, s[12:13]
	v_mov_b32_e32 v47, 0
	ds_read_b64 v[48:49], v47 offset:40
	s_waitcnt lgkmcnt(0)
	v_mul_f64 v[38:39], v[38:39], v[48:49]
	buffer_store_dword v39, off, s[0:3], 0 offset:44
	buffer_store_dword v38, off, s[0:3], 0 offset:40
.LBB81_116:
	;; [unrolled: 58-line block ×6, first 2 shown]
	s_or_b64 exec, exec, s[10:11]
	buffer_load_dword v38, off, s[0:3], 0
	buffer_load_dword v39, off, s[0:3], 0 offset:4
	v_cmp_ne_u32_e32 vcc, 0, v0
	s_waitcnt vmcnt(0)
	ds_write_b64 v40, v[38:39]
	s_waitcnt lgkmcnt(0)
	; wave barrier
	s_waitcnt lgkmcnt(0)
	s_and_saveexec_b64 s[4:5], vcc
	s_cbranch_execz .LBB81_166
; %bb.157:
	s_andn2_b64 vcc, exec, s[8:9]
	s_cbranch_vccnz .LBB81_159
; %bb.158:
	buffer_load_dword v38, v41, s[0:3], 0 offen
	buffer_load_dword v39, v41, s[0:3], 0 offen offset:4
	ds_read_b64 v[44:45], v40
	s_waitcnt vmcnt(0) lgkmcnt(0)
	v_mul_f64 v[38:39], v[38:39], v[44:45]
	s_cbranch_execz .LBB81_160
	s_branch .LBB81_161
.LBB81_159:
                                        ; implicit-def: $vgpr38_vgpr39
.LBB81_160:
	ds_read_b64 v[38:39], v40
.LBB81_161:
	s_and_saveexec_b64 s[10:11], s[6:7]
	s_cbranch_execz .LBB81_165
; %bb.162:
	v_add_u32_e32 v43, -1, v0
	s_movk_i32 s12, 0x98
	s_mov_b64 s[6:7], 0
.LBB81_163:                             ; =>This Inner Loop Header: Depth=1
	buffer_load_dword v44, v42, s[0:3], 0 offen
	buffer_load_dword v45, v42, s[0:3], 0 offen offset:4
	v_mov_b32_e32 v46, s12
	ds_read_b64 v[46:47], v46
	v_add_u32_e32 v43, -1, v43
	s_add_i32 s12, s12, 8
	v_cmp_eq_u32_e32 vcc, 0, v43
	v_add_u32_e32 v42, 8, v42
	s_or_b64 s[6:7], vcc, s[6:7]
	s_waitcnt vmcnt(0) lgkmcnt(0)
	v_fmac_f64_e32 v[38:39], v[44:45], v[46:47]
	s_andn2_b64 exec, exec, s[6:7]
	s_cbranch_execnz .LBB81_163
; %bb.164:
	s_or_b64 exec, exec, s[6:7]
.LBB81_165:
	s_or_b64 exec, exec, s[10:11]
	v_mov_b32_e32 v42, 0
	ds_read_b64 v[42:43], v42
	s_waitcnt lgkmcnt(0)
	v_mul_f64 v[38:39], v[38:39], v[42:43]
	buffer_store_dword v39, off, s[0:3], 0 offset:4
	buffer_store_dword v38, off, s[0:3], 0
.LBB81_166:
	s_or_b64 exec, exec, s[4:5]
	s_mov_b64 s[4:5], 0
.LBB81_167:
	s_and_b64 vcc, exec, s[4:5]
	s_cbranch_vccz .LBB81_331
; %bb.168:
	buffer_load_dword v38, off, s[0:3], 0 offset:8
	buffer_load_dword v39, off, s[0:3], 0 offset:12
	v_cmp_eq_u32_e64 s[6:7], 0, v0
	s_waitcnt vmcnt(0)
	ds_write_b64 v40, v[38:39]
	s_waitcnt lgkmcnt(0)
	; wave barrier
	s_waitcnt lgkmcnt(0)
	s_and_saveexec_b64 s[4:5], s[6:7]
	s_cbranch_execz .LBB81_174
; %bb.169:
	s_and_b64 vcc, exec, s[8:9]
	s_cbranch_vccz .LBB81_171
; %bb.170:
	buffer_load_dword v38, v41, s[0:3], 0 offen
	buffer_load_dword v39, v41, s[0:3], 0 offen offset:4
	ds_read_b64 v[42:43], v40
	s_waitcnt vmcnt(0) lgkmcnt(0)
	v_mul_f64 v[38:39], v[38:39], v[42:43]
	s_cbranch_execz .LBB81_172
	s_branch .LBB81_173
.LBB81_171:
                                        ; implicit-def: $vgpr38_vgpr39
.LBB81_172:
	ds_read_b64 v[38:39], v40
.LBB81_173:
	v_mov_b32_e32 v42, 0
	ds_read_b64 v[42:43], v42 offset:8
	s_waitcnt lgkmcnt(0)
	v_mul_f64 v[38:39], v[38:39], v[42:43]
	buffer_store_dword v39, off, s[0:3], 0 offset:12
	buffer_store_dword v38, off, s[0:3], 0 offset:8
.LBB81_174:
	s_or_b64 exec, exec, s[4:5]
	buffer_load_dword v38, off, s[0:3], 0 offset:16
	buffer_load_dword v39, off, s[0:3], 0 offset:20
	v_cndmask_b32_e64 v42, 0, 1, s[8:9]
	v_cmp_gt_u32_e32 vcc, 2, v0
	v_cmp_ne_u32_e64 s[4:5], 1, v42
	s_waitcnt vmcnt(0)
	ds_write_b64 v40, v[38:39]
	s_waitcnt lgkmcnt(0)
	; wave barrier
	s_waitcnt lgkmcnt(0)
	s_and_saveexec_b64 s[8:9], vcc
	s_cbranch_execz .LBB81_182
; %bb.175:
	s_and_b64 vcc, exec, s[4:5]
	s_cbranch_vccnz .LBB81_177
; %bb.176:
	buffer_load_dword v38, v41, s[0:3], 0 offen
	buffer_load_dword v39, v41, s[0:3], 0 offen offset:4
	ds_read_b64 v[42:43], v40
	s_waitcnt vmcnt(0) lgkmcnt(0)
	v_mul_f64 v[38:39], v[38:39], v[42:43]
	s_cbranch_execz .LBB81_178
	s_branch .LBB81_179
.LBB81_177:
                                        ; implicit-def: $vgpr38_vgpr39
.LBB81_178:
	ds_read_b64 v[38:39], v40
.LBB81_179:
	s_and_saveexec_b64 s[10:11], s[6:7]
	s_cbranch_execz .LBB81_181
; %bb.180:
	buffer_load_dword v42, v41, s[0:3], 0 offen offset:8
	buffer_load_dword v43, v41, s[0:3], 0 offen offset:12
	ds_read_b64 v[44:45], v40 offset:8
	s_waitcnt vmcnt(0) lgkmcnt(0)
	v_fmac_f64_e32 v[38:39], v[42:43], v[44:45]
.LBB81_181:
	s_or_b64 exec, exec, s[10:11]
	v_mov_b32_e32 v42, 0
	ds_read_b64 v[42:43], v42 offset:16
	s_waitcnt lgkmcnt(0)
	v_mul_f64 v[38:39], v[38:39], v[42:43]
	buffer_store_dword v39, off, s[0:3], 0 offset:20
	buffer_store_dword v38, off, s[0:3], 0 offset:16
.LBB81_182:
	s_or_b64 exec, exec, s[8:9]
	buffer_load_dword v38, off, s[0:3], 0 offset:24
	buffer_load_dword v39, off, s[0:3], 0 offset:28
	v_cmp_gt_u32_e32 vcc, 3, v0
	s_waitcnt vmcnt(0)
	ds_write_b64 v40, v[38:39]
	s_waitcnt lgkmcnt(0)
	; wave barrier
	s_waitcnt lgkmcnt(0)
	s_and_saveexec_b64 s[8:9], vcc
	s_cbranch_execz .LBB81_190
; %bb.183:
	s_and_b64 vcc, exec, s[4:5]
	s_cbranch_vccnz .LBB81_185
; %bb.184:
	buffer_load_dword v38, v41, s[0:3], 0 offen
	buffer_load_dword v39, v41, s[0:3], 0 offen offset:4
	ds_read_b64 v[42:43], v40
	s_waitcnt vmcnt(0) lgkmcnt(0)
	v_mul_f64 v[38:39], v[38:39], v[42:43]
	s_cbranch_execz .LBB81_186
	s_branch .LBB81_187
.LBB81_185:
                                        ; implicit-def: $vgpr38_vgpr39
.LBB81_186:
	ds_read_b64 v[38:39], v40
.LBB81_187:
	v_cmp_ne_u32_e32 vcc, 2, v0
	s_and_saveexec_b64 s[10:11], vcc
	s_cbranch_execz .LBB81_189
; %bb.188:
	buffer_load_dword v43, v41, s[0:3], 0 offen offset:12
	buffer_load_dword v44, off, s[0:3], 0 offset:16
	buffer_load_dword v42, v41, s[0:3], 0 offen offset:8
	buffer_load_dword v45, off, s[0:3], 0 offset:20
	v_mov_b32_e32 v48, 0
	ds_read_b64 v[46:47], v40 offset:8
	ds_read_b64 v[48:49], v48 offset:160
	s_waitcnt vmcnt(1) lgkmcnt(1)
	v_fmac_f64_e32 v[38:39], v[42:43], v[46:47]
	s_waitcnt vmcnt(0) lgkmcnt(0)
	v_fma_f64 v[42:43], v[44:45], v[48:49], v[38:39]
	v_cndmask_b32_e64 v39, v39, v43, s[6:7]
	v_cndmask_b32_e64 v38, v38, v42, s[6:7]
.LBB81_189:
	s_or_b64 exec, exec, s[10:11]
	v_mov_b32_e32 v42, 0
	ds_read_b64 v[42:43], v42 offset:24
	s_waitcnt lgkmcnt(0)
	v_mul_f64 v[38:39], v[38:39], v[42:43]
	buffer_store_dword v39, off, s[0:3], 0 offset:28
	buffer_store_dword v38, off, s[0:3], 0 offset:24
.LBB81_190:
	s_or_b64 exec, exec, s[8:9]
	buffer_load_dword v38, off, s[0:3], 0 offset:32
	buffer_load_dword v39, off, s[0:3], 0 offset:36
	v_cmp_gt_u32_e32 vcc, 4, v0
	s_waitcnt vmcnt(0)
	ds_write_b64 v40, v[38:39]
	s_waitcnt lgkmcnt(0)
	; wave barrier
	s_waitcnt lgkmcnt(0)
	s_and_saveexec_b64 s[6:7], vcc
	s_cbranch_execz .LBB81_200
; %bb.191:
	s_and_b64 vcc, exec, s[4:5]
	s_cbranch_vccnz .LBB81_193
; %bb.192:
	buffer_load_dword v38, v41, s[0:3], 0 offen
	buffer_load_dword v39, v41, s[0:3], 0 offen offset:4
	ds_read_b64 v[42:43], v40
	s_waitcnt vmcnt(0) lgkmcnt(0)
	v_mul_f64 v[38:39], v[38:39], v[42:43]
	s_cbranch_execz .LBB81_194
	s_branch .LBB81_195
.LBB81_193:
                                        ; implicit-def: $vgpr38_vgpr39
.LBB81_194:
	ds_read_b64 v[38:39], v40
.LBB81_195:
	v_cmp_ne_u32_e32 vcc, 3, v0
	s_and_saveexec_b64 s[8:9], vcc
	s_cbranch_execz .LBB81_199
; %bb.196:
	v_mov_b32_e32 v43, 0
	v_add_u32_e32 v42, 0x98, v1
	v_add3_u32 v43, v1, v43, 8
	s_mov_b64 s[10:11], 0
	v_mov_b32_e32 v44, v0
.LBB81_197:                             ; =>This Inner Loop Header: Depth=1
	buffer_load_dword v46, v43, s[0:3], 0 offen
	buffer_load_dword v47, v43, s[0:3], 0 offen offset:4
	ds_read_b64 v[48:49], v42
	v_add_u32_e32 v44, 1, v44
	v_cmp_lt_u32_e32 vcc, 2, v44
	v_add_u32_e32 v42, 8, v42
	v_add_u32_e32 v43, 8, v43
	s_or_b64 s[10:11], vcc, s[10:11]
	s_waitcnt vmcnt(0) lgkmcnt(0)
	v_fmac_f64_e32 v[38:39], v[46:47], v[48:49]
	s_andn2_b64 exec, exec, s[10:11]
	s_cbranch_execnz .LBB81_197
; %bb.198:
	s_or_b64 exec, exec, s[10:11]
.LBB81_199:
	s_or_b64 exec, exec, s[8:9]
	v_mov_b32_e32 v42, 0
	ds_read_b64 v[42:43], v42 offset:32
	s_waitcnt lgkmcnt(0)
	v_mul_f64 v[38:39], v[38:39], v[42:43]
	buffer_store_dword v39, off, s[0:3], 0 offset:36
	buffer_store_dword v38, off, s[0:3], 0 offset:32
.LBB81_200:
	s_or_b64 exec, exec, s[6:7]
	buffer_load_dword v38, off, s[0:3], 0 offset:40
	buffer_load_dword v39, off, s[0:3], 0 offset:44
	v_cmp_gt_u32_e32 vcc, 5, v0
	s_waitcnt vmcnt(0)
	ds_write_b64 v40, v[38:39]
	s_waitcnt lgkmcnt(0)
	; wave barrier
	s_waitcnt lgkmcnt(0)
	s_and_saveexec_b64 s[6:7], vcc
	s_cbranch_execz .LBB81_210
; %bb.201:
	s_and_b64 vcc, exec, s[4:5]
	s_cbranch_vccnz .LBB81_203
; %bb.202:
	buffer_load_dword v38, v41, s[0:3], 0 offen
	buffer_load_dword v39, v41, s[0:3], 0 offen offset:4
	ds_read_b64 v[42:43], v40
	s_waitcnt vmcnt(0) lgkmcnt(0)
	v_mul_f64 v[38:39], v[38:39], v[42:43]
	s_cbranch_execz .LBB81_204
	s_branch .LBB81_205
.LBB81_203:
                                        ; implicit-def: $vgpr38_vgpr39
.LBB81_204:
	ds_read_b64 v[38:39], v40
.LBB81_205:
	v_cmp_ne_u32_e32 vcc, 4, v0
	s_and_saveexec_b64 s[8:9], vcc
	s_cbranch_execz .LBB81_209
; %bb.206:
	v_mov_b32_e32 v43, 0
	v_add_u32_e32 v42, 0x98, v1
	v_add3_u32 v43, v1, v43, 8
	s_mov_b64 s[10:11], 0
	v_mov_b32_e32 v44, v0
.LBB81_207:                             ; =>This Inner Loop Header: Depth=1
	buffer_load_dword v46, v43, s[0:3], 0 offen
	buffer_load_dword v47, v43, s[0:3], 0 offen offset:4
	ds_read_b64 v[48:49], v42
	v_add_u32_e32 v44, 1, v44
	v_cmp_lt_u32_e32 vcc, 3, v44
	v_add_u32_e32 v42, 8, v42
	v_add_u32_e32 v43, 8, v43
	s_or_b64 s[10:11], vcc, s[10:11]
	s_waitcnt vmcnt(0) lgkmcnt(0)
	v_fmac_f64_e32 v[38:39], v[46:47], v[48:49]
	s_andn2_b64 exec, exec, s[10:11]
	s_cbranch_execnz .LBB81_207
; %bb.208:
	s_or_b64 exec, exec, s[10:11]
.LBB81_209:
	s_or_b64 exec, exec, s[8:9]
	v_mov_b32_e32 v42, 0
	ds_read_b64 v[42:43], v42 offset:40
	s_waitcnt lgkmcnt(0)
	v_mul_f64 v[38:39], v[38:39], v[42:43]
	buffer_store_dword v39, off, s[0:3], 0 offset:44
	buffer_store_dword v38, off, s[0:3], 0 offset:40
.LBB81_210:
	;; [unrolled: 60-line block ×12, first 2 shown]
	s_or_b64 exec, exec, s[6:7]
	buffer_load_dword v38, off, s[0:3], 0 offset:128
	buffer_load_dword v39, off, s[0:3], 0 offset:132
	v_cmp_gt_u32_e64 s[6:7], 16, v0
	s_waitcnt vmcnt(0)
	ds_write_b64 v40, v[38:39]
	s_waitcnt lgkmcnt(0)
	; wave barrier
	s_waitcnt lgkmcnt(0)
	s_and_saveexec_b64 s[8:9], s[6:7]
	s_cbranch_execz .LBB81_320
; %bb.311:
	s_and_b64 vcc, exec, s[4:5]
	s_cbranch_vccnz .LBB81_313
; %bb.312:
	buffer_load_dword v38, v41, s[0:3], 0 offen
	buffer_load_dword v39, v41, s[0:3], 0 offen offset:4
	ds_read_b64 v[42:43], v40
	s_waitcnt vmcnt(0) lgkmcnt(0)
	v_mul_f64 v[38:39], v[38:39], v[42:43]
	s_cbranch_execz .LBB81_314
	s_branch .LBB81_315
.LBB81_313:
                                        ; implicit-def: $vgpr38_vgpr39
.LBB81_314:
	ds_read_b64 v[38:39], v40
.LBB81_315:
	v_cmp_ne_u32_e32 vcc, 15, v0
	s_and_saveexec_b64 s[10:11], vcc
	s_cbranch_execz .LBB81_319
; %bb.316:
	v_mov_b32_e32 v43, 0
	v_add_u32_e32 v42, 0x98, v1
	v_add3_u32 v43, v1, v43, 8
	s_mov_b64 s[12:13], 0
	v_mov_b32_e32 v44, v0
.LBB81_317:                             ; =>This Inner Loop Header: Depth=1
	buffer_load_dword v46, v43, s[0:3], 0 offen
	buffer_load_dword v47, v43, s[0:3], 0 offen offset:4
	ds_read_b64 v[48:49], v42
	v_add_u32_e32 v44, 1, v44
	v_cmp_lt_u32_e32 vcc, 14, v44
	v_add_u32_e32 v42, 8, v42
	v_add_u32_e32 v43, 8, v43
	s_or_b64 s[12:13], vcc, s[12:13]
	s_waitcnt vmcnt(0) lgkmcnt(0)
	v_fmac_f64_e32 v[38:39], v[46:47], v[48:49]
	s_andn2_b64 exec, exec, s[12:13]
	s_cbranch_execnz .LBB81_317
; %bb.318:
	s_or_b64 exec, exec, s[12:13]
.LBB81_319:
	s_or_b64 exec, exec, s[10:11]
	v_mov_b32_e32 v42, 0
	ds_read_b64 v[42:43], v42 offset:128
	s_waitcnt lgkmcnt(0)
	v_mul_f64 v[38:39], v[38:39], v[42:43]
	buffer_store_dword v39, off, s[0:3], 0 offset:132
	buffer_store_dword v38, off, s[0:3], 0 offset:128
.LBB81_320:
	s_or_b64 exec, exec, s[8:9]
	buffer_load_dword v38, off, s[0:3], 0 offset:136
	buffer_load_dword v39, off, s[0:3], 0 offset:140
	v_cmp_ne_u32_e32 vcc, 17, v0
	s_waitcnt vmcnt(0)
	ds_write_b64 v40, v[38:39]
	s_waitcnt lgkmcnt(0)
	; wave barrier
	s_waitcnt lgkmcnt(0)
	s_and_saveexec_b64 s[8:9], vcc
	s_cbranch_execz .LBB81_330
; %bb.321:
	s_and_b64 vcc, exec, s[4:5]
	s_cbranch_vccnz .LBB81_323
; %bb.322:
	buffer_load_dword v38, v41, s[0:3], 0 offen
	buffer_load_dword v39, v41, s[0:3], 0 offen offset:4
	ds_read_b64 v[42:43], v40
	s_waitcnt vmcnt(0) lgkmcnt(0)
	v_mul_f64 v[38:39], v[38:39], v[42:43]
	s_cbranch_execz .LBB81_324
	s_branch .LBB81_325
.LBB81_323:
                                        ; implicit-def: $vgpr38_vgpr39
.LBB81_324:
	ds_read_b64 v[38:39], v40
.LBB81_325:
	s_and_saveexec_b64 s[4:5], s[6:7]
	s_cbranch_execz .LBB81_329
; %bb.326:
	v_mov_b32_e32 v41, 0
	v_add_u32_e32 v40, 0x98, v1
	v_add3_u32 v1, v1, v41, 8
	s_mov_b64 s[6:7], 0
.LBB81_327:                             ; =>This Inner Loop Header: Depth=1
	buffer_load_dword v42, v1, s[0:3], 0 offen
	buffer_load_dword v43, v1, s[0:3], 0 offen offset:4
	ds_read_b64 v[44:45], v40
	v_add_u32_e32 v0, 1, v0
	v_cmp_lt_u32_e32 vcc, 15, v0
	v_add_u32_e32 v40, 8, v40
	v_add_u32_e32 v1, 8, v1
	s_or_b64 s[6:7], vcc, s[6:7]
	s_waitcnt vmcnt(0) lgkmcnt(0)
	v_fmac_f64_e32 v[38:39], v[42:43], v[44:45]
	s_andn2_b64 exec, exec, s[6:7]
	s_cbranch_execnz .LBB81_327
; %bb.328:
	s_or_b64 exec, exec, s[6:7]
.LBB81_329:
	s_or_b64 exec, exec, s[4:5]
	v_mov_b32_e32 v0, 0
	ds_read_b64 v[0:1], v0 offset:136
	s_waitcnt lgkmcnt(0)
	v_mul_f64 v[0:1], v[38:39], v[0:1]
	buffer_store_dword v1, off, s[0:3], 0 offset:140
	buffer_store_dword v0, off, s[0:3], 0 offset:136
.LBB81_330:
	s_or_b64 exec, exec, s[8:9]
.LBB81_331:
	buffer_load_dword v0, off, s[0:3], 0
	buffer_load_dword v1, off, s[0:3], 0 offset:4
	buffer_load_dword v38, off, s[0:3], 0 offset:8
	;; [unrolled: 1-line block ×35, first 2 shown]
	s_waitcnt vmcnt(34)
	global_store_dwordx2 v[2:3], v[0:1], off
	s_waitcnt vmcnt(33)
	global_store_dwordx2 v[4:5], v[38:39], off
	;; [unrolled: 2-line block ×9, first 2 shown]
	global_store_dwordx2 v[22:23], v[52:53], off
	global_store_dwordx2 v[24:25], v[54:55], off
	;; [unrolled: 1-line block ×3, first 2 shown]
	s_waitcnt vmcnt(22)
	global_store_dwordx2 v[28:29], v[60:61], off
	s_waitcnt vmcnt(21)
	global_store_dwordx2 v[30:31], v[62:63], off
	;; [unrolled: 2-line block ×6, first 2 shown]
.LBB81_332:
	s_endpgm
	.section	.rodata,"a",@progbits
	.p2align	6, 0x0
	.amdhsa_kernel _ZN9rocsolver6v33100L18trti2_kernel_smallILi18EdPKPdEEv13rocblas_fill_17rocblas_diagonal_T1_iil
		.amdhsa_group_segment_fixed_size 288
		.amdhsa_private_segment_fixed_size 160
		.amdhsa_kernarg_size 32
		.amdhsa_user_sgpr_count 8
		.amdhsa_user_sgpr_private_segment_buffer 1
		.amdhsa_user_sgpr_dispatch_ptr 0
		.amdhsa_user_sgpr_queue_ptr 0
		.amdhsa_user_sgpr_kernarg_segment_ptr 1
		.amdhsa_user_sgpr_dispatch_id 0
		.amdhsa_user_sgpr_flat_scratch_init 1
		.amdhsa_user_sgpr_kernarg_preload_length 0
		.amdhsa_user_sgpr_kernarg_preload_offset 0
		.amdhsa_user_sgpr_private_segment_size 0
		.amdhsa_uses_dynamic_stack 0
		.amdhsa_system_sgpr_private_segment_wavefront_offset 1
		.amdhsa_system_sgpr_workgroup_id_x 1
		.amdhsa_system_sgpr_workgroup_id_y 0
		.amdhsa_system_sgpr_workgroup_id_z 0
		.amdhsa_system_sgpr_workgroup_info 0
		.amdhsa_system_vgpr_workitem_id 0
		.amdhsa_next_free_vgpr 72
		.amdhsa_next_free_sgpr 16
		.amdhsa_accum_offset 72
		.amdhsa_reserve_vcc 1
		.amdhsa_reserve_flat_scratch 0
		.amdhsa_float_round_mode_32 0
		.amdhsa_float_round_mode_16_64 0
		.amdhsa_float_denorm_mode_32 3
		.amdhsa_float_denorm_mode_16_64 3
		.amdhsa_dx10_clamp 1
		.amdhsa_ieee_mode 1
		.amdhsa_fp16_overflow 0
		.amdhsa_tg_split 0
		.amdhsa_exception_fp_ieee_invalid_op 0
		.amdhsa_exception_fp_denorm_src 0
		.amdhsa_exception_fp_ieee_div_zero 0
		.amdhsa_exception_fp_ieee_overflow 0
		.amdhsa_exception_fp_ieee_underflow 0
		.amdhsa_exception_fp_ieee_inexact 0
		.amdhsa_exception_int_div_zero 0
	.end_amdhsa_kernel
	.section	.text._ZN9rocsolver6v33100L18trti2_kernel_smallILi18EdPKPdEEv13rocblas_fill_17rocblas_diagonal_T1_iil,"axG",@progbits,_ZN9rocsolver6v33100L18trti2_kernel_smallILi18EdPKPdEEv13rocblas_fill_17rocblas_diagonal_T1_iil,comdat
.Lfunc_end81:
	.size	_ZN9rocsolver6v33100L18trti2_kernel_smallILi18EdPKPdEEv13rocblas_fill_17rocblas_diagonal_T1_iil, .Lfunc_end81-_ZN9rocsolver6v33100L18trti2_kernel_smallILi18EdPKPdEEv13rocblas_fill_17rocblas_diagonal_T1_iil
                                        ; -- End function
	.section	.AMDGPU.csdata,"",@progbits
; Kernel info:
; codeLenInByte = 10196
; NumSgprs: 20
; NumVgprs: 72
; NumAgprs: 0
; TotalNumVgprs: 72
; ScratchSize: 160
; MemoryBound: 0
; FloatMode: 240
; IeeeMode: 1
; LDSByteSize: 288 bytes/workgroup (compile time only)
; SGPRBlocks: 2
; VGPRBlocks: 8
; NumSGPRsForWavesPerEU: 20
; NumVGPRsForWavesPerEU: 72
; AccumOffset: 72
; Occupancy: 7
; WaveLimiterHint : 1
; COMPUTE_PGM_RSRC2:SCRATCH_EN: 1
; COMPUTE_PGM_RSRC2:USER_SGPR: 8
; COMPUTE_PGM_RSRC2:TRAP_HANDLER: 0
; COMPUTE_PGM_RSRC2:TGID_X_EN: 1
; COMPUTE_PGM_RSRC2:TGID_Y_EN: 0
; COMPUTE_PGM_RSRC2:TGID_Z_EN: 0
; COMPUTE_PGM_RSRC2:TIDIG_COMP_CNT: 0
; COMPUTE_PGM_RSRC3_GFX90A:ACCUM_OFFSET: 17
; COMPUTE_PGM_RSRC3_GFX90A:TG_SPLIT: 0
	.section	.text._ZN9rocsolver6v33100L18trti2_kernel_smallILi19EdPKPdEEv13rocblas_fill_17rocblas_diagonal_T1_iil,"axG",@progbits,_ZN9rocsolver6v33100L18trti2_kernel_smallILi19EdPKPdEEv13rocblas_fill_17rocblas_diagonal_T1_iil,comdat
	.globl	_ZN9rocsolver6v33100L18trti2_kernel_smallILi19EdPKPdEEv13rocblas_fill_17rocblas_diagonal_T1_iil ; -- Begin function _ZN9rocsolver6v33100L18trti2_kernel_smallILi19EdPKPdEEv13rocblas_fill_17rocblas_diagonal_T1_iil
	.p2align	8
	.type	_ZN9rocsolver6v33100L18trti2_kernel_smallILi19EdPKPdEEv13rocblas_fill_17rocblas_diagonal_T1_iil,@function
_ZN9rocsolver6v33100L18trti2_kernel_smallILi19EdPKPdEEv13rocblas_fill_17rocblas_diagonal_T1_iil: ; @_ZN9rocsolver6v33100L18trti2_kernel_smallILi19EdPKPdEEv13rocblas_fill_17rocblas_diagonal_T1_iil
; %bb.0:
	s_add_u32 s0, s0, s9
	s_addc_u32 s1, s1, 0
	v_cmp_gt_u32_e32 vcc, 19, v0
	s_and_saveexec_b64 s[6:7], vcc
	s_cbranch_execz .LBB82_352
; %bb.1:
	s_load_dwordx2 s[6:7], s[4:5], 0x10
	s_load_dwordx4 s[12:15], s[4:5], 0x0
	s_ashr_i32 s9, s8, 31
	s_lshl_b64 s[4:5], s[8:9], 3
	v_lshlrev_b32_e32 v1, 3, v0
	s_waitcnt lgkmcnt(0)
	s_ashr_i32 s9, s6, 31
	s_add_u32 s4, s14, s4
	s_addc_u32 s5, s15, s5
	s_load_dwordx2 s[4:5], s[4:5], 0x0
	s_mov_b32 s8, s6
	s_lshl_b64 s[8:9], s[8:9], 3
	s_waitcnt lgkmcnt(0)
	s_add_u32 s4, s4, s8
	s_addc_u32 s5, s5, s9
	s_add_i32 s6, s7, s7
	v_add_u32_e32 v8, s6, v0
	v_add_u32_e32 v10, s7, v8
	v_mov_b32_e32 v3, s5
	v_add_co_u32_e32 v2, vcc, s4, v1
	s_ashr_i32 s9, s7, 31
	s_mov_b32 s8, s7
	v_add_u32_e32 v12, s7, v10
	v_addc_co_u32_e32 v3, vcc, 0, v3, vcc
	s_lshl_b64 s[8:9], s[8:9], 3
	v_add_u32_e32 v14, s7, v12
	v_mov_b32_e32 v5, s9
	v_add_co_u32_e32 v4, vcc, s8, v2
	v_ashrrev_i32_e32 v9, 31, v8
	v_add_u32_e32 v16, s7, v14
	v_addc_co_u32_e32 v5, vcc, v3, v5, vcc
	v_lshlrev_b64 v[6:7], 3, v[8:9]
	v_add_u32_e32 v18, s7, v16
	v_mov_b32_e32 v9, s5
	v_add_co_u32_e32 v6, vcc, s4, v6
	v_ashrrev_i32_e32 v11, 31, v10
	v_add_u32_e32 v20, s7, v18
	v_addc_co_u32_e32 v7, vcc, v9, v7, vcc
	v_lshlrev_b64 v[8:9], 3, v[10:11]
	;; [unrolled: 7-line block ×6, first 2 shown]
	v_add_u32_e32 v38, s7, v36
	v_mov_b32_e32 v19, s5
	v_add_co_u32_e32 v16, vcc, s4, v16
	v_add_u32_e32 v18, s7, v38
	v_addc_co_u32_e32 v17, vcc, v19, v17, vcc
	v_ashrrev_i32_e32 v19, 31, v18
	v_lshlrev_b64 v[18:19], 3, v[18:19]
	v_mov_b32_e32 v21, s5
	v_add_co_u32_e32 v18, vcc, s4, v18
	global_load_dwordx2 v[46:47], v[4:5], off
	global_load_dwordx2 v[42:43], v[6:7], off
	;; [unrolled: 1-line block ×4, first 2 shown]
	v_addc_co_u32_e32 v19, vcc, v21, v19, vcc
	global_load_dwordx2 v[48:49], v1, s[4:5]
	global_load_dwordx2 v[50:51], v[18:19], off
	v_ashrrev_i32_e32 v21, 31, v20
	v_lshlrev_b64 v[20:21], 3, v[20:21]
	v_mov_b32_e32 v23, s5
	v_add_co_u32_e32 v20, vcc, s4, v20
	v_addc_co_u32_e32 v21, vcc, v23, v21, vcc
	v_ashrrev_i32_e32 v23, 31, v22
	v_lshlrev_b64 v[22:23], 3, v[22:23]
	v_mov_b32_e32 v25, s5
	v_add_co_u32_e32 v22, vcc, s4, v22
	v_addc_co_u32_e32 v23, vcc, v25, v23, vcc
	;; [unrolled: 5-line block ×6, first 2 shown]
	v_ashrrev_i32_e32 v33, 31, v32
	global_load_dwordx2 v[52:53], v[12:13], off
	global_load_dwordx2 v[54:55], v[14:15], off
	;; [unrolled: 1-line block ×4, first 2 shown]
	v_lshlrev_b64 v[32:33], 3, v[32:33]
	v_mov_b32_e32 v35, s5
	v_add_co_u32_e32 v32, vcc, s4, v32
	global_load_dwordx2 v[60:61], v[22:23], off
	global_load_dwordx2 v[62:63], v[24:25], off
	global_load_dwordx2 v[64:65], v[26:27], off
	global_load_dwordx2 v[66:67], v[28:29], off
	v_addc_co_u32_e32 v33, vcc, v35, v33, vcc
	global_load_dwordx2 v[68:69], v[30:31], off
	global_load_dwordx2 v[70:71], v[32:33], off
	v_ashrrev_i32_e32 v35, 31, v34
	v_lshlrev_b64 v[34:35], 3, v[34:35]
	v_mov_b32_e32 v37, s5
	v_add_co_u32_e32 v34, vcc, s4, v34
	v_addc_co_u32_e32 v35, vcc, v37, v35, vcc
	v_ashrrev_i32_e32 v37, 31, v36
	v_lshlrev_b64 v[36:37], 3, v[36:37]
	v_mov_b32_e32 v39, s5
	v_add_co_u32_e32 v36, vcc, s4, v36
	v_addc_co_u32_e32 v37, vcc, v39, v37, vcc
	;; [unrolled: 5-line block ×3, first 2 shown]
	global_load_dwordx2 v[72:73], v[34:35], off
	global_load_dwordx2 v[74:75], v[36:37], off
	s_cmpk_lg_i32 s13, 0x84
	s_cselect_b64 s[8:9], -1, 0
	s_cmpk_eq_i32 s13, 0x84
	s_waitcnt vmcnt(13)
	buffer_store_dword v49, off, s[0:3], 0 offset:4
	buffer_store_dword v48, off, s[0:3], 0
	global_load_dwordx2 v[48:49], v[38:39], off
	s_nop 0
	buffer_store_dword v47, off, s[0:3], 0 offset:12
	buffer_store_dword v46, off, s[0:3], 0 offset:8
	;; [unrolled: 1-line block ×8, first 2 shown]
	s_waitcnt vmcnt(22)
	buffer_store_dword v53, off, s[0:3], 0 offset:44
	buffer_store_dword v52, off, s[0:3], 0 offset:40
	s_waitcnt vmcnt(23)
	buffer_store_dword v55, off, s[0:3], 0 offset:52
	buffer_store_dword v54, off, s[0:3], 0 offset:48
	;; [unrolled: 3-line block ×5, first 2 shown]
	v_mov_b32_e32 v40, 0
	v_mov_b32_e32 v59, 0
	;; [unrolled: 1-line block ×3, first 2 shown]
	s_waitcnt vmcnt(27)
	buffer_store_dword v62, off, s[0:3], 0 offset:80
	buffer_store_dword v63, off, s[0:3], 0 offset:84
	s_waitcnt vmcnt(28)
	buffer_store_dword v64, off, s[0:3], 0 offset:88
	buffer_store_dword v65, off, s[0:3], 0 offset:92
	;; [unrolled: 3-line block ×8, first 2 shown]
	buffer_store_dword v50, off, s[0:3], 0 offset:144
	buffer_store_dword v51, off, s[0:3], 0 offset:148
	s_cbranch_scc1 .LBB82_3
; %bb.2:
	v_lshl_add_u32 v50, v0, 3, v59
	buffer_load_dword v40, v50, s[0:3], 0 offen
	buffer_load_dword v41, v50, s[0:3], 0 offen offset:4
	s_waitcnt vmcnt(0)
	v_div_scale_f64 v[42:43], s[4:5], v[40:41], v[40:41], 1.0
	v_rcp_f64_e32 v[44:45], v[42:43]
	v_div_scale_f64 v[46:47], vcc, 1.0, v[40:41], 1.0
	v_fma_f64 v[48:49], -v[42:43], v[44:45], 1.0
	v_fmac_f64_e32 v[44:45], v[44:45], v[48:49]
	v_fma_f64 v[48:49], -v[42:43], v[44:45], 1.0
	v_fmac_f64_e32 v[44:45], v[44:45], v[48:49]
	v_mul_f64 v[48:49], v[46:47], v[44:45]
	v_fma_f64 v[42:43], -v[42:43], v[48:49], v[46:47]
	v_div_fmas_f64 v[42:43], v[42:43], v[44:45], v[48:49]
	v_div_fixup_f64 v[40:41], v[42:43], v[40:41], 1.0
	buffer_store_dword v40, v50, s[0:3], 0 offen
	buffer_store_dword v41, v50, s[0:3], 0 offen offset:4
	v_xor_b32_e32 v41, 0x80000000, v41
.LBB82_3:
	s_cmpk_eq_i32 s12, 0x79
	v_add_u32_e32 v42, 0xa0, v1
	v_add_u32_e32 v43, 0, v1
	s_mov_b64 s[4:5], -1
	ds_write_b64 v1, v[40:41]
	s_cbranch_scc1 .LBB82_177
; %bb.4:
	buffer_load_dword v40, off, s[0:3], 0 offset:136
	buffer_load_dword v41, off, s[0:3], 0 offset:140
	v_cmp_eq_u32_e64 s[4:5], 18, v0
	s_waitcnt vmcnt(0)
	ds_write_b64 v42, v[40:41]
	s_waitcnt lgkmcnt(0)
	; wave barrier
	s_waitcnt lgkmcnt(0)
	s_and_saveexec_b64 s[6:7], s[4:5]
	s_cbranch_execz .LBB82_10
; %bb.5:
	s_and_b64 vcc, exec, s[8:9]
	s_cbranch_vccz .LBB82_7
; %bb.6:
	buffer_load_dword v40, v43, s[0:3], 0 offen
	buffer_load_dword v41, v43, s[0:3], 0 offen offset:4
	ds_read_b64 v[44:45], v42
	s_waitcnt vmcnt(0) lgkmcnt(0)
	v_mul_f64 v[40:41], v[40:41], v[44:45]
	s_cbranch_execz .LBB82_8
	s_branch .LBB82_9
.LBB82_7:
                                        ; implicit-def: $vgpr40_vgpr41
.LBB82_8:
	ds_read_b64 v[40:41], v42
.LBB82_9:
	v_mov_b32_e32 v44, 0
	ds_read_b64 v[44:45], v44 offset:136
	s_waitcnt lgkmcnt(0)
	v_mul_f64 v[40:41], v[40:41], v[44:45]
	buffer_store_dword v41, off, s[0:3], 0 offset:140
	buffer_store_dword v40, off, s[0:3], 0 offset:136
.LBB82_10:
	s_or_b64 exec, exec, s[6:7]
	buffer_load_dword v40, off, s[0:3], 0 offset:128
	buffer_load_dword v41, off, s[0:3], 0 offset:132
	v_or_b32_e32 v44, 8, v59
	v_add_u32_e32 v45, 16, v59
	v_add_u32_e32 v46, 24, v59
	;; [unrolled: 1-line block ×15, first 2 shown]
	v_cmp_lt_u32_e64 s[6:7], 16, v0
	s_waitcnt vmcnt(0)
	ds_write_b64 v42, v[40:41]
	s_waitcnt lgkmcnt(0)
	; wave barrier
	s_waitcnt lgkmcnt(0)
	s_and_saveexec_b64 s[10:11], s[6:7]
	s_cbranch_execz .LBB82_16
; %bb.11:
	s_andn2_b64 vcc, exec, s[8:9]
	s_cbranch_vccnz .LBB82_13
; %bb.12:
	buffer_load_dword v40, v43, s[0:3], 0 offen
	buffer_load_dword v41, v43, s[0:3], 0 offen offset:4
	ds_read_b64 v[60:61], v42
	s_waitcnt vmcnt(0) lgkmcnt(0)
	v_mul_f64 v[40:41], v[40:41], v[60:61]
	s_cbranch_execz .LBB82_14
	s_branch .LBB82_15
.LBB82_13:
                                        ; implicit-def: $vgpr40_vgpr41
.LBB82_14:
	ds_read_b64 v[40:41], v42
.LBB82_15:
	buffer_load_dword v64, off, s[0:3], 0 offset:136
	buffer_load_dword v65, off, s[0:3], 0 offset:140
	v_mov_b32_e32 v60, 0
	ds_read2_b64 v[60:63], v60 offset0:16 offset1:37
	s_waitcnt vmcnt(0) lgkmcnt(0)
	v_fma_f64 v[62:63], v[64:65], v[62:63], v[40:41]
	v_cndmask_b32_e64 v41, v41, v63, s[4:5]
	v_cndmask_b32_e64 v40, v40, v62, s[4:5]
	v_mul_f64 v[40:41], v[40:41], v[60:61]
	buffer_store_dword v41, off, s[0:3], 0 offset:132
	buffer_store_dword v40, off, s[0:3], 0 offset:128
.LBB82_16:
	s_or_b64 exec, exec, s[10:11]
	buffer_load_dword v40, off, s[0:3], 0 offset:120
	buffer_load_dword v41, off, s[0:3], 0 offset:124
	v_cmp_lt_u32_e64 s[4:5], 15, v0
	s_waitcnt vmcnt(0)
	ds_write_b64 v42, v[40:41]
	s_waitcnt lgkmcnt(0)
	; wave barrier
	s_waitcnt lgkmcnt(0)
	s_and_saveexec_b64 s[10:11], s[4:5]
	s_cbranch_execz .LBB82_26
; %bb.17:
	s_andn2_b64 vcc, exec, s[8:9]
	s_cbranch_vccnz .LBB82_19
; %bb.18:
	buffer_load_dword v40, v43, s[0:3], 0 offen
	buffer_load_dword v41, v43, s[0:3], 0 offen offset:4
	ds_read_b64 v[60:61], v42
	s_waitcnt vmcnt(0) lgkmcnt(0)
	v_mul_f64 v[40:41], v[40:41], v[60:61]
	s_cbranch_execz .LBB82_20
	s_branch .LBB82_21
.LBB82_19:
                                        ; implicit-def: $vgpr40_vgpr41
.LBB82_20:
	ds_read_b64 v[40:41], v42
.LBB82_21:
	s_and_saveexec_b64 s[12:13], s[6:7]
	s_cbranch_execz .LBB82_25
; %bb.22:
	v_add_u32_e32 v60, -16, v0
	s_movk_i32 s14, 0x120
	s_mov_b64 s[6:7], 0
.LBB82_23:                              ; =>This Inner Loop Header: Depth=1
	buffer_load_dword v62, v59, s[0:3], 0 offen
	buffer_load_dword v63, v59, s[0:3], 0 offen offset:4
	v_mov_b32_e32 v61, s14
	ds_read_b64 v[64:65], v61
	v_add_u32_e32 v60, -1, v60
	s_add_i32 s14, s14, 8
	v_cmp_eq_u32_e32 vcc, 0, v60
	v_add_u32_e32 v59, 8, v59
	s_or_b64 s[6:7], vcc, s[6:7]
	s_waitcnt vmcnt(0) lgkmcnt(0)
	v_fmac_f64_e32 v[40:41], v[62:63], v[64:65]
	s_andn2_b64 exec, exec, s[6:7]
	s_cbranch_execnz .LBB82_23
; %bb.24:
	s_or_b64 exec, exec, s[6:7]
.LBB82_25:
	s_or_b64 exec, exec, s[12:13]
	v_mov_b32_e32 v59, 0
	ds_read_b64 v[60:61], v59 offset:120
	s_waitcnt lgkmcnt(0)
	v_mul_f64 v[40:41], v[40:41], v[60:61]
	buffer_store_dword v41, off, s[0:3], 0 offset:124
	buffer_store_dword v40, off, s[0:3], 0 offset:120
.LBB82_26:
	s_or_b64 exec, exec, s[10:11]
	buffer_load_dword v40, off, s[0:3], 0 offset:112
	buffer_load_dword v41, off, s[0:3], 0 offset:116
	v_cmp_lt_u32_e64 s[6:7], 14, v0
	s_waitcnt vmcnt(0)
	ds_write_b64 v42, v[40:41]
	s_waitcnt lgkmcnt(0)
	; wave barrier
	s_waitcnt lgkmcnt(0)
	s_and_saveexec_b64 s[10:11], s[6:7]
	s_cbranch_execz .LBB82_36
; %bb.27:
	s_andn2_b64 vcc, exec, s[8:9]
	s_cbranch_vccnz .LBB82_29
; %bb.28:
	buffer_load_dword v40, v43, s[0:3], 0 offen
	buffer_load_dword v41, v43, s[0:3], 0 offen offset:4
	ds_read_b64 v[60:61], v42
	s_waitcnt vmcnt(0) lgkmcnt(0)
	v_mul_f64 v[40:41], v[40:41], v[60:61]
	s_cbranch_execz .LBB82_30
	s_branch .LBB82_31
.LBB82_29:
                                        ; implicit-def: $vgpr40_vgpr41
.LBB82_30:
	ds_read_b64 v[40:41], v42
.LBB82_31:
	s_and_saveexec_b64 s[12:13], s[4:5]
	s_cbranch_execz .LBB82_35
; %bb.32:
	v_add_u32_e32 v59, -15, v0
	s_movk_i32 s14, 0x118
	s_mov_b64 s[4:5], 0
.LBB82_33:                              ; =>This Inner Loop Header: Depth=1
	buffer_load_dword v60, v58, s[0:3], 0 offen
	buffer_load_dword v61, v58, s[0:3], 0 offen offset:4
	v_mov_b32_e32 v62, s14
	ds_read_b64 v[62:63], v62
	v_add_u32_e32 v59, -1, v59
	s_add_i32 s14, s14, 8
	v_cmp_eq_u32_e32 vcc, 0, v59
	v_add_u32_e32 v58, 8, v58
	s_or_b64 s[4:5], vcc, s[4:5]
	s_waitcnt vmcnt(0) lgkmcnt(0)
	v_fmac_f64_e32 v[40:41], v[60:61], v[62:63]
	s_andn2_b64 exec, exec, s[4:5]
	s_cbranch_execnz .LBB82_33
; %bb.34:
	s_or_b64 exec, exec, s[4:5]
.LBB82_35:
	s_or_b64 exec, exec, s[12:13]
	v_mov_b32_e32 v58, 0
	ds_read_b64 v[58:59], v58 offset:112
	s_waitcnt lgkmcnt(0)
	v_mul_f64 v[40:41], v[40:41], v[58:59]
	buffer_store_dword v41, off, s[0:3], 0 offset:116
	buffer_store_dword v40, off, s[0:3], 0 offset:112
.LBB82_36:
	;; [unrolled: 58-line block ×8, first 2 shown]
	s_or_b64 exec, exec, s[10:11]
	buffer_load_dword v40, off, s[0:3], 0 offset:56
	buffer_load_dword v41, off, s[0:3], 0 offset:60
	v_cmp_lt_u32_e64 s[4:5], 7, v0
	s_waitcnt vmcnt(0)
	ds_write_b64 v42, v[40:41]
	s_waitcnt lgkmcnt(0)
	; wave barrier
	s_waitcnt lgkmcnt(0)
	s_and_saveexec_b64 s[10:11], s[4:5]
	s_cbranch_execz .LBB82_106
; %bb.97:
	s_andn2_b64 vcc, exec, s[8:9]
	s_cbranch_vccnz .LBB82_99
; %bb.98:
	buffer_load_dword v40, v43, s[0:3], 0 offen
	buffer_load_dword v41, v43, s[0:3], 0 offen offset:4
	ds_read_b64 v[52:53], v42
	s_waitcnt vmcnt(0) lgkmcnt(0)
	v_mul_f64 v[40:41], v[40:41], v[52:53]
	s_cbranch_execz .LBB82_100
	s_branch .LBB82_101
.LBB82_99:
                                        ; implicit-def: $vgpr40_vgpr41
.LBB82_100:
	ds_read_b64 v[40:41], v42
.LBB82_101:
	s_and_saveexec_b64 s[12:13], s[6:7]
	s_cbranch_execz .LBB82_105
; %bb.102:
	v_add_u32_e32 v52, -8, v0
	s_movk_i32 s14, 0xe0
	s_mov_b64 s[6:7], 0
.LBB82_103:                             ; =>This Inner Loop Header: Depth=1
	buffer_load_dword v54, v51, s[0:3], 0 offen
	buffer_load_dword v55, v51, s[0:3], 0 offen offset:4
	v_mov_b32_e32 v53, s14
	ds_read_b64 v[56:57], v53
	v_add_u32_e32 v52, -1, v52
	s_add_i32 s14, s14, 8
	v_cmp_eq_u32_e32 vcc, 0, v52
	v_add_u32_e32 v51, 8, v51
	s_or_b64 s[6:7], vcc, s[6:7]
	s_waitcnt vmcnt(0) lgkmcnt(0)
	v_fmac_f64_e32 v[40:41], v[54:55], v[56:57]
	s_andn2_b64 exec, exec, s[6:7]
	s_cbranch_execnz .LBB82_103
; %bb.104:
	s_or_b64 exec, exec, s[6:7]
.LBB82_105:
	s_or_b64 exec, exec, s[12:13]
	v_mov_b32_e32 v51, 0
	ds_read_b64 v[52:53], v51 offset:56
	s_waitcnt lgkmcnt(0)
	v_mul_f64 v[40:41], v[40:41], v[52:53]
	buffer_store_dword v41, off, s[0:3], 0 offset:60
	buffer_store_dword v40, off, s[0:3], 0 offset:56
.LBB82_106:
	s_or_b64 exec, exec, s[10:11]
	buffer_load_dword v40, off, s[0:3], 0 offset:48
	buffer_load_dword v41, off, s[0:3], 0 offset:52
	v_cmp_lt_u32_e64 s[6:7], 6, v0
	s_waitcnt vmcnt(0)
	ds_write_b64 v42, v[40:41]
	s_waitcnt lgkmcnt(0)
	; wave barrier
	s_waitcnt lgkmcnt(0)
	s_and_saveexec_b64 s[10:11], s[6:7]
	s_cbranch_execz .LBB82_116
; %bb.107:
	s_andn2_b64 vcc, exec, s[8:9]
	s_cbranch_vccnz .LBB82_109
; %bb.108:
	buffer_load_dword v40, v43, s[0:3], 0 offen
	buffer_load_dword v41, v43, s[0:3], 0 offen offset:4
	ds_read_b64 v[52:53], v42
	s_waitcnt vmcnt(0) lgkmcnt(0)
	v_mul_f64 v[40:41], v[40:41], v[52:53]
	s_cbranch_execz .LBB82_110
	s_branch .LBB82_111
.LBB82_109:
                                        ; implicit-def: $vgpr40_vgpr41
.LBB82_110:
	ds_read_b64 v[40:41], v42
.LBB82_111:
	s_and_saveexec_b64 s[12:13], s[4:5]
	s_cbranch_execz .LBB82_115
; %bb.112:
	v_add_u32_e32 v51, -7, v0
	s_movk_i32 s14, 0xd8
	s_mov_b64 s[4:5], 0
.LBB82_113:                             ; =>This Inner Loop Header: Depth=1
	buffer_load_dword v52, v50, s[0:3], 0 offen
	buffer_load_dword v53, v50, s[0:3], 0 offen offset:4
	v_mov_b32_e32 v54, s14
	ds_read_b64 v[54:55], v54
	v_add_u32_e32 v51, -1, v51
	s_add_i32 s14, s14, 8
	v_cmp_eq_u32_e32 vcc, 0, v51
	v_add_u32_e32 v50, 8, v50
	s_or_b64 s[4:5], vcc, s[4:5]
	s_waitcnt vmcnt(0) lgkmcnt(0)
	v_fmac_f64_e32 v[40:41], v[52:53], v[54:55]
	s_andn2_b64 exec, exec, s[4:5]
	s_cbranch_execnz .LBB82_113
; %bb.114:
	s_or_b64 exec, exec, s[4:5]
.LBB82_115:
	s_or_b64 exec, exec, s[12:13]
	v_mov_b32_e32 v50, 0
	ds_read_b64 v[50:51], v50 offset:48
	s_waitcnt lgkmcnt(0)
	v_mul_f64 v[40:41], v[40:41], v[50:51]
	buffer_store_dword v41, off, s[0:3], 0 offset:52
	buffer_store_dword v40, off, s[0:3], 0 offset:48
.LBB82_116:
	;; [unrolled: 58-line block ×7, first 2 shown]
	s_or_b64 exec, exec, s[10:11]
	buffer_load_dword v40, off, s[0:3], 0
	buffer_load_dword v41, off, s[0:3], 0 offset:4
	v_cmp_ne_u32_e32 vcc, 0, v0
	s_waitcnt vmcnt(0)
	ds_write_b64 v42, v[40:41]
	s_waitcnt lgkmcnt(0)
	; wave barrier
	s_waitcnt lgkmcnt(0)
	s_and_saveexec_b64 s[6:7], vcc
	s_cbranch_execz .LBB82_176
; %bb.167:
	s_andn2_b64 vcc, exec, s[8:9]
	s_cbranch_vccnz .LBB82_169
; %bb.168:
	buffer_load_dword v40, v43, s[0:3], 0 offen
	buffer_load_dword v41, v43, s[0:3], 0 offen offset:4
	ds_read_b64 v[46:47], v42
	s_waitcnt vmcnt(0) lgkmcnt(0)
	v_mul_f64 v[40:41], v[40:41], v[46:47]
	s_cbranch_execz .LBB82_170
	s_branch .LBB82_171
.LBB82_169:
                                        ; implicit-def: $vgpr40_vgpr41
.LBB82_170:
	ds_read_b64 v[40:41], v42
.LBB82_171:
	s_and_saveexec_b64 s[10:11], s[4:5]
	s_cbranch_execz .LBB82_175
; %bb.172:
	v_add_u32_e32 v45, -1, v0
	s_movk_i32 s12, 0xa8
	s_mov_b64 s[4:5], 0
.LBB82_173:                             ; =>This Inner Loop Header: Depth=1
	buffer_load_dword v46, v44, s[0:3], 0 offen
	buffer_load_dword v47, v44, s[0:3], 0 offen offset:4
	v_mov_b32_e32 v48, s12
	ds_read_b64 v[48:49], v48
	v_add_u32_e32 v45, -1, v45
	s_add_i32 s12, s12, 8
	v_cmp_eq_u32_e32 vcc, 0, v45
	v_add_u32_e32 v44, 8, v44
	s_or_b64 s[4:5], vcc, s[4:5]
	s_waitcnt vmcnt(0) lgkmcnt(0)
	v_fmac_f64_e32 v[40:41], v[46:47], v[48:49]
	s_andn2_b64 exec, exec, s[4:5]
	s_cbranch_execnz .LBB82_173
; %bb.174:
	s_or_b64 exec, exec, s[4:5]
.LBB82_175:
	s_or_b64 exec, exec, s[10:11]
	v_mov_b32_e32 v44, 0
	ds_read_b64 v[44:45], v44
	s_waitcnt lgkmcnt(0)
	v_mul_f64 v[40:41], v[40:41], v[44:45]
	buffer_store_dword v41, off, s[0:3], 0 offset:4
	buffer_store_dword v40, off, s[0:3], 0
.LBB82_176:
	s_or_b64 exec, exec, s[6:7]
	s_mov_b64 s[4:5], 0
.LBB82_177:
	s_and_b64 vcc, exec, s[4:5]
	s_cbranch_vccz .LBB82_351
; %bb.178:
	buffer_load_dword v40, off, s[0:3], 0 offset:8
	buffer_load_dword v41, off, s[0:3], 0 offset:12
	v_cmp_eq_u32_e64 s[6:7], 0, v0
	s_waitcnt vmcnt(0)
	ds_write_b64 v42, v[40:41]
	s_waitcnt lgkmcnt(0)
	; wave barrier
	s_waitcnt lgkmcnt(0)
	s_and_saveexec_b64 s[4:5], s[6:7]
	s_cbranch_execz .LBB82_184
; %bb.179:
	s_and_b64 vcc, exec, s[8:9]
	s_cbranch_vccz .LBB82_181
; %bb.180:
	buffer_load_dword v40, v43, s[0:3], 0 offen
	buffer_load_dword v41, v43, s[0:3], 0 offen offset:4
	ds_read_b64 v[44:45], v42
	s_waitcnt vmcnt(0) lgkmcnt(0)
	v_mul_f64 v[40:41], v[40:41], v[44:45]
	s_cbranch_execz .LBB82_182
	s_branch .LBB82_183
.LBB82_181:
                                        ; implicit-def: $vgpr40_vgpr41
.LBB82_182:
	ds_read_b64 v[40:41], v42
.LBB82_183:
	v_mov_b32_e32 v44, 0
	ds_read_b64 v[44:45], v44 offset:8
	s_waitcnt lgkmcnt(0)
	v_mul_f64 v[40:41], v[40:41], v[44:45]
	buffer_store_dword v41, off, s[0:3], 0 offset:12
	buffer_store_dword v40, off, s[0:3], 0 offset:8
.LBB82_184:
	s_or_b64 exec, exec, s[4:5]
	buffer_load_dword v40, off, s[0:3], 0 offset:16
	buffer_load_dword v41, off, s[0:3], 0 offset:20
	v_cndmask_b32_e64 v44, 0, 1, s[8:9]
	v_cmp_gt_u32_e32 vcc, 2, v0
	v_cmp_ne_u32_e64 s[4:5], 1, v44
	s_waitcnt vmcnt(0)
	ds_write_b64 v42, v[40:41]
	s_waitcnt lgkmcnt(0)
	; wave barrier
	s_waitcnt lgkmcnt(0)
	s_and_saveexec_b64 s[8:9], vcc
	s_cbranch_execz .LBB82_192
; %bb.185:
	s_and_b64 vcc, exec, s[4:5]
	s_cbranch_vccnz .LBB82_187
; %bb.186:
	buffer_load_dword v40, v43, s[0:3], 0 offen
	buffer_load_dword v41, v43, s[0:3], 0 offen offset:4
	ds_read_b64 v[44:45], v42
	s_waitcnt vmcnt(0) lgkmcnt(0)
	v_mul_f64 v[40:41], v[40:41], v[44:45]
	s_cbranch_execz .LBB82_188
	s_branch .LBB82_189
.LBB82_187:
                                        ; implicit-def: $vgpr40_vgpr41
.LBB82_188:
	ds_read_b64 v[40:41], v42
.LBB82_189:
	s_and_saveexec_b64 s[10:11], s[6:7]
	s_cbranch_execz .LBB82_191
; %bb.190:
	buffer_load_dword v44, v43, s[0:3], 0 offen offset:8
	buffer_load_dword v45, v43, s[0:3], 0 offen offset:12
	ds_read_b64 v[46:47], v42 offset:8
	s_waitcnt vmcnt(0) lgkmcnt(0)
	v_fmac_f64_e32 v[40:41], v[44:45], v[46:47]
.LBB82_191:
	s_or_b64 exec, exec, s[10:11]
	v_mov_b32_e32 v44, 0
	ds_read_b64 v[44:45], v44 offset:16
	s_waitcnt lgkmcnt(0)
	v_mul_f64 v[40:41], v[40:41], v[44:45]
	buffer_store_dword v41, off, s[0:3], 0 offset:20
	buffer_store_dword v40, off, s[0:3], 0 offset:16
.LBB82_192:
	s_or_b64 exec, exec, s[8:9]
	buffer_load_dword v40, off, s[0:3], 0 offset:24
	buffer_load_dword v41, off, s[0:3], 0 offset:28
	v_cmp_gt_u32_e32 vcc, 3, v0
	s_waitcnt vmcnt(0)
	ds_write_b64 v42, v[40:41]
	s_waitcnt lgkmcnt(0)
	; wave barrier
	s_waitcnt lgkmcnt(0)
	s_and_saveexec_b64 s[8:9], vcc
	s_cbranch_execz .LBB82_200
; %bb.193:
	s_and_b64 vcc, exec, s[4:5]
	s_cbranch_vccnz .LBB82_195
; %bb.194:
	buffer_load_dword v40, v43, s[0:3], 0 offen
	buffer_load_dword v41, v43, s[0:3], 0 offen offset:4
	ds_read_b64 v[44:45], v42
	s_waitcnt vmcnt(0) lgkmcnt(0)
	v_mul_f64 v[40:41], v[40:41], v[44:45]
	s_cbranch_execz .LBB82_196
	s_branch .LBB82_197
.LBB82_195:
                                        ; implicit-def: $vgpr40_vgpr41
.LBB82_196:
	ds_read_b64 v[40:41], v42
.LBB82_197:
	v_cmp_ne_u32_e32 vcc, 2, v0
	s_and_saveexec_b64 s[10:11], vcc
	s_cbranch_execz .LBB82_199
; %bb.198:
	buffer_load_dword v45, v43, s[0:3], 0 offen offset:12
	buffer_load_dword v46, off, s[0:3], 0 offset:16
	buffer_load_dword v44, v43, s[0:3], 0 offen offset:8
	buffer_load_dword v47, off, s[0:3], 0 offset:20
	v_mov_b32_e32 v50, 0
	ds_read_b64 v[48:49], v42 offset:8
	ds_read_b64 v[50:51], v50 offset:176
	s_waitcnt vmcnt(1) lgkmcnt(1)
	v_fmac_f64_e32 v[40:41], v[44:45], v[48:49]
	s_waitcnt vmcnt(0) lgkmcnt(0)
	v_fma_f64 v[44:45], v[46:47], v[50:51], v[40:41]
	v_cndmask_b32_e64 v41, v41, v45, s[6:7]
	v_cndmask_b32_e64 v40, v40, v44, s[6:7]
.LBB82_199:
	s_or_b64 exec, exec, s[10:11]
	v_mov_b32_e32 v44, 0
	ds_read_b64 v[44:45], v44 offset:24
	s_waitcnt lgkmcnt(0)
	v_mul_f64 v[40:41], v[40:41], v[44:45]
	buffer_store_dword v41, off, s[0:3], 0 offset:28
	buffer_store_dword v40, off, s[0:3], 0 offset:24
.LBB82_200:
	s_or_b64 exec, exec, s[8:9]
	buffer_load_dword v40, off, s[0:3], 0 offset:32
	buffer_load_dword v41, off, s[0:3], 0 offset:36
	v_cmp_gt_u32_e32 vcc, 4, v0
	s_waitcnt vmcnt(0)
	ds_write_b64 v42, v[40:41]
	s_waitcnt lgkmcnt(0)
	; wave barrier
	s_waitcnt lgkmcnt(0)
	s_and_saveexec_b64 s[6:7], vcc
	s_cbranch_execz .LBB82_210
; %bb.201:
	s_and_b64 vcc, exec, s[4:5]
	s_cbranch_vccnz .LBB82_203
; %bb.202:
	buffer_load_dword v40, v43, s[0:3], 0 offen
	buffer_load_dword v41, v43, s[0:3], 0 offen offset:4
	ds_read_b64 v[44:45], v42
	s_waitcnt vmcnt(0) lgkmcnt(0)
	v_mul_f64 v[40:41], v[40:41], v[44:45]
	s_cbranch_execz .LBB82_204
	s_branch .LBB82_205
.LBB82_203:
                                        ; implicit-def: $vgpr40_vgpr41
.LBB82_204:
	ds_read_b64 v[40:41], v42
.LBB82_205:
	v_cmp_ne_u32_e32 vcc, 3, v0
	s_and_saveexec_b64 s[8:9], vcc
	s_cbranch_execz .LBB82_209
; %bb.206:
	v_mov_b32_e32 v45, 0
	v_add_u32_e32 v44, 0xa8, v1
	v_add3_u32 v45, v1, v45, 8
	s_mov_b64 s[10:11], 0
	v_mov_b32_e32 v46, v0
.LBB82_207:                             ; =>This Inner Loop Header: Depth=1
	buffer_load_dword v48, v45, s[0:3], 0 offen
	buffer_load_dword v49, v45, s[0:3], 0 offen offset:4
	ds_read_b64 v[50:51], v44
	v_add_u32_e32 v46, 1, v46
	v_cmp_lt_u32_e32 vcc, 2, v46
	v_add_u32_e32 v44, 8, v44
	v_add_u32_e32 v45, 8, v45
	s_or_b64 s[10:11], vcc, s[10:11]
	s_waitcnt vmcnt(0) lgkmcnt(0)
	v_fmac_f64_e32 v[40:41], v[48:49], v[50:51]
	s_andn2_b64 exec, exec, s[10:11]
	s_cbranch_execnz .LBB82_207
; %bb.208:
	s_or_b64 exec, exec, s[10:11]
.LBB82_209:
	s_or_b64 exec, exec, s[8:9]
	v_mov_b32_e32 v44, 0
	ds_read_b64 v[44:45], v44 offset:32
	s_waitcnt lgkmcnt(0)
	v_mul_f64 v[40:41], v[40:41], v[44:45]
	buffer_store_dword v41, off, s[0:3], 0 offset:36
	buffer_store_dword v40, off, s[0:3], 0 offset:32
.LBB82_210:
	s_or_b64 exec, exec, s[6:7]
	buffer_load_dword v40, off, s[0:3], 0 offset:40
	buffer_load_dword v41, off, s[0:3], 0 offset:44
	v_cmp_gt_u32_e32 vcc, 5, v0
	s_waitcnt vmcnt(0)
	ds_write_b64 v42, v[40:41]
	s_waitcnt lgkmcnt(0)
	; wave barrier
	s_waitcnt lgkmcnt(0)
	s_and_saveexec_b64 s[6:7], vcc
	s_cbranch_execz .LBB82_220
; %bb.211:
	s_and_b64 vcc, exec, s[4:5]
	s_cbranch_vccnz .LBB82_213
; %bb.212:
	buffer_load_dword v40, v43, s[0:3], 0 offen
	buffer_load_dword v41, v43, s[0:3], 0 offen offset:4
	ds_read_b64 v[44:45], v42
	s_waitcnt vmcnt(0) lgkmcnt(0)
	v_mul_f64 v[40:41], v[40:41], v[44:45]
	s_cbranch_execz .LBB82_214
	s_branch .LBB82_215
.LBB82_213:
                                        ; implicit-def: $vgpr40_vgpr41
.LBB82_214:
	ds_read_b64 v[40:41], v42
.LBB82_215:
	v_cmp_ne_u32_e32 vcc, 4, v0
	s_and_saveexec_b64 s[8:9], vcc
	s_cbranch_execz .LBB82_219
; %bb.216:
	v_mov_b32_e32 v45, 0
	v_add_u32_e32 v44, 0xa8, v1
	v_add3_u32 v45, v1, v45, 8
	s_mov_b64 s[10:11], 0
	v_mov_b32_e32 v46, v0
.LBB82_217:                             ; =>This Inner Loop Header: Depth=1
	buffer_load_dword v48, v45, s[0:3], 0 offen
	buffer_load_dword v49, v45, s[0:3], 0 offen offset:4
	ds_read_b64 v[50:51], v44
	v_add_u32_e32 v46, 1, v46
	v_cmp_lt_u32_e32 vcc, 3, v46
	v_add_u32_e32 v44, 8, v44
	v_add_u32_e32 v45, 8, v45
	s_or_b64 s[10:11], vcc, s[10:11]
	s_waitcnt vmcnt(0) lgkmcnt(0)
	v_fmac_f64_e32 v[40:41], v[48:49], v[50:51]
	s_andn2_b64 exec, exec, s[10:11]
	s_cbranch_execnz .LBB82_217
; %bb.218:
	s_or_b64 exec, exec, s[10:11]
.LBB82_219:
	s_or_b64 exec, exec, s[8:9]
	v_mov_b32_e32 v44, 0
	ds_read_b64 v[44:45], v44 offset:40
	s_waitcnt lgkmcnt(0)
	v_mul_f64 v[40:41], v[40:41], v[44:45]
	buffer_store_dword v41, off, s[0:3], 0 offset:44
	buffer_store_dword v40, off, s[0:3], 0 offset:40
.LBB82_220:
	;; [unrolled: 60-line block ×13, first 2 shown]
	s_or_b64 exec, exec, s[6:7]
	buffer_load_dword v40, off, s[0:3], 0 offset:136
	buffer_load_dword v41, off, s[0:3], 0 offset:140
	v_cmp_gt_u32_e64 s[6:7], 17, v0
	s_waitcnt vmcnt(0)
	ds_write_b64 v42, v[40:41]
	s_waitcnt lgkmcnt(0)
	; wave barrier
	s_waitcnt lgkmcnt(0)
	s_and_saveexec_b64 s[8:9], s[6:7]
	s_cbranch_execz .LBB82_340
; %bb.331:
	s_and_b64 vcc, exec, s[4:5]
	s_cbranch_vccnz .LBB82_333
; %bb.332:
	buffer_load_dword v40, v43, s[0:3], 0 offen
	buffer_load_dword v41, v43, s[0:3], 0 offen offset:4
	ds_read_b64 v[44:45], v42
	s_waitcnt vmcnt(0) lgkmcnt(0)
	v_mul_f64 v[40:41], v[40:41], v[44:45]
	s_cbranch_execz .LBB82_334
	s_branch .LBB82_335
.LBB82_333:
                                        ; implicit-def: $vgpr40_vgpr41
.LBB82_334:
	ds_read_b64 v[40:41], v42
.LBB82_335:
	v_cmp_ne_u32_e32 vcc, 16, v0
	s_and_saveexec_b64 s[10:11], vcc
	s_cbranch_execz .LBB82_339
; %bb.336:
	v_mov_b32_e32 v45, 0
	v_add_u32_e32 v44, 0xa8, v1
	v_add3_u32 v45, v1, v45, 8
	s_mov_b64 s[12:13], 0
	v_mov_b32_e32 v46, v0
.LBB82_337:                             ; =>This Inner Loop Header: Depth=1
	buffer_load_dword v48, v45, s[0:3], 0 offen
	buffer_load_dword v49, v45, s[0:3], 0 offen offset:4
	ds_read_b64 v[50:51], v44
	v_add_u32_e32 v46, 1, v46
	v_cmp_lt_u32_e32 vcc, 15, v46
	v_add_u32_e32 v44, 8, v44
	v_add_u32_e32 v45, 8, v45
	s_or_b64 s[12:13], vcc, s[12:13]
	s_waitcnt vmcnt(0) lgkmcnt(0)
	v_fmac_f64_e32 v[40:41], v[48:49], v[50:51]
	s_andn2_b64 exec, exec, s[12:13]
	s_cbranch_execnz .LBB82_337
; %bb.338:
	s_or_b64 exec, exec, s[12:13]
.LBB82_339:
	s_or_b64 exec, exec, s[10:11]
	v_mov_b32_e32 v44, 0
	ds_read_b64 v[44:45], v44 offset:136
	s_waitcnt lgkmcnt(0)
	v_mul_f64 v[40:41], v[40:41], v[44:45]
	buffer_store_dword v41, off, s[0:3], 0 offset:140
	buffer_store_dword v40, off, s[0:3], 0 offset:136
.LBB82_340:
	s_or_b64 exec, exec, s[8:9]
	buffer_load_dword v40, off, s[0:3], 0 offset:144
	buffer_load_dword v41, off, s[0:3], 0 offset:148
	v_cmp_ne_u32_e32 vcc, 18, v0
	s_waitcnt vmcnt(0)
	ds_write_b64 v42, v[40:41]
	s_waitcnt lgkmcnt(0)
	; wave barrier
	s_waitcnt lgkmcnt(0)
	s_and_saveexec_b64 s[8:9], vcc
	s_cbranch_execz .LBB82_350
; %bb.341:
	s_and_b64 vcc, exec, s[4:5]
	s_cbranch_vccnz .LBB82_343
; %bb.342:
	buffer_load_dword v40, v43, s[0:3], 0 offen
	buffer_load_dword v41, v43, s[0:3], 0 offen offset:4
	ds_read_b64 v[44:45], v42
	s_waitcnt vmcnt(0) lgkmcnt(0)
	v_mul_f64 v[40:41], v[40:41], v[44:45]
	s_cbranch_execz .LBB82_344
	s_branch .LBB82_345
.LBB82_343:
                                        ; implicit-def: $vgpr40_vgpr41
.LBB82_344:
	ds_read_b64 v[40:41], v42
.LBB82_345:
	s_and_saveexec_b64 s[4:5], s[6:7]
	s_cbranch_execz .LBB82_349
; %bb.346:
	v_mov_b32_e32 v43, 0
	v_add_u32_e32 v42, 0xa8, v1
	v_add3_u32 v1, v1, v43, 8
	s_mov_b64 s[6:7], 0
.LBB82_347:                             ; =>This Inner Loop Header: Depth=1
	buffer_load_dword v44, v1, s[0:3], 0 offen
	buffer_load_dword v45, v1, s[0:3], 0 offen offset:4
	ds_read_b64 v[46:47], v42
	v_add_u32_e32 v0, 1, v0
	v_cmp_lt_u32_e32 vcc, 16, v0
	v_add_u32_e32 v42, 8, v42
	v_add_u32_e32 v1, 8, v1
	s_or_b64 s[6:7], vcc, s[6:7]
	s_waitcnt vmcnt(0) lgkmcnt(0)
	v_fmac_f64_e32 v[40:41], v[44:45], v[46:47]
	s_andn2_b64 exec, exec, s[6:7]
	s_cbranch_execnz .LBB82_347
; %bb.348:
	s_or_b64 exec, exec, s[6:7]
.LBB82_349:
	s_or_b64 exec, exec, s[4:5]
	v_mov_b32_e32 v0, 0
	ds_read_b64 v[0:1], v0 offset:144
	s_waitcnt lgkmcnt(0)
	v_mul_f64 v[0:1], v[40:41], v[0:1]
	buffer_store_dword v1, off, s[0:3], 0 offset:148
	buffer_store_dword v0, off, s[0:3], 0 offset:144
.LBB82_350:
	s_or_b64 exec, exec, s[8:9]
.LBB82_351:
	buffer_load_dword v0, off, s[0:3], 0
	buffer_load_dword v1, off, s[0:3], 0 offset:4
	buffer_load_dword v40, off, s[0:3], 0 offset:8
	buffer_load_dword v41, off, s[0:3], 0 offset:12
	buffer_load_dword v42, off, s[0:3], 0 offset:16
	buffer_load_dword v43, off, s[0:3], 0 offset:20
	buffer_load_dword v44, off, s[0:3], 0 offset:24
	buffer_load_dword v45, off, s[0:3], 0 offset:28
	buffer_load_dword v46, off, s[0:3], 0 offset:32
	buffer_load_dword v47, off, s[0:3], 0 offset:36
	buffer_load_dword v48, off, s[0:3], 0 offset:40
	buffer_load_dword v49, off, s[0:3], 0 offset:44
	buffer_load_dword v50, off, s[0:3], 0 offset:48
	buffer_load_dword v51, off, s[0:3], 0 offset:52
	buffer_load_dword v52, off, s[0:3], 0 offset:56
	buffer_load_dword v53, off, s[0:3], 0 offset:60
	buffer_load_dword v54, off, s[0:3], 0 offset:72
	buffer_load_dword v55, off, s[0:3], 0 offset:76
	buffer_load_dword v56, off, s[0:3], 0 offset:80
	buffer_load_dword v57, off, s[0:3], 0 offset:84
	buffer_load_dword v58, off, s[0:3], 0 offset:88
	buffer_load_dword v59, off, s[0:3], 0 offset:92
	buffer_load_dword v61, off, s[0:3], 0 offset:68
	buffer_load_dword v60, off, s[0:3], 0 offset:64
	buffer_load_dword v62, off, s[0:3], 0 offset:96
	buffer_load_dword v63, off, s[0:3], 0 offset:100
	buffer_load_dword v64, off, s[0:3], 0 offset:104
	buffer_load_dword v65, off, s[0:3], 0 offset:108
	buffer_load_dword v66, off, s[0:3], 0 offset:112
	buffer_load_dword v67, off, s[0:3], 0 offset:116
	buffer_load_dword v68, off, s[0:3], 0 offset:120
	buffer_load_dword v69, off, s[0:3], 0 offset:124
	buffer_load_dword v70, off, s[0:3], 0 offset:128
	buffer_load_dword v71, off, s[0:3], 0 offset:132
	buffer_load_dword v72, off, s[0:3], 0 offset:136
	buffer_load_dword v73, off, s[0:3], 0 offset:140
	buffer_load_dword v74, off, s[0:3], 0 offset:144
	buffer_load_dword v75, off, s[0:3], 0 offset:148
	s_waitcnt vmcnt(36)
	global_store_dwordx2 v[2:3], v[0:1], off
	s_waitcnt vmcnt(35)
	global_store_dwordx2 v[4:5], v[40:41], off
	s_waitcnt vmcnt(34)
	global_store_dwordx2 v[6:7], v[42:43], off
	s_waitcnt vmcnt(33)
	global_store_dwordx2 v[8:9], v[44:45], off
	s_waitcnt vmcnt(32)
	global_store_dwordx2 v[10:11], v[46:47], off
	s_waitcnt vmcnt(31)
	global_store_dwordx2 v[12:13], v[48:49], off
	s_waitcnt vmcnt(30)
	global_store_dwordx2 v[14:15], v[50:51], off
	s_waitcnt vmcnt(29)
	global_store_dwordx2 v[16:17], v[52:53], off
	s_waitcnt vmcnt(22)
	global_store_dwordx2 v[20:21], v[60:61], off
	global_store_dwordx2 v[22:23], v[54:55], off
	global_store_dwordx2 v[24:25], v[56:57], off
	;; [unrolled: 1-line block ×3, first 2 shown]
	s_waitcnt vmcnt(24)
	global_store_dwordx2 v[28:29], v[62:63], off
	s_waitcnt vmcnt(23)
	global_store_dwordx2 v[30:31], v[64:65], off
	;; [unrolled: 2-line block ×7, first 2 shown]
.LBB82_352:
	s_endpgm
	.section	.rodata,"a",@progbits
	.p2align	6, 0x0
	.amdhsa_kernel _ZN9rocsolver6v33100L18trti2_kernel_smallILi19EdPKPdEEv13rocblas_fill_17rocblas_diagonal_T1_iil
		.amdhsa_group_segment_fixed_size 312
		.amdhsa_private_segment_fixed_size 160
		.amdhsa_kernarg_size 32
		.amdhsa_user_sgpr_count 8
		.amdhsa_user_sgpr_private_segment_buffer 1
		.amdhsa_user_sgpr_dispatch_ptr 0
		.amdhsa_user_sgpr_queue_ptr 0
		.amdhsa_user_sgpr_kernarg_segment_ptr 1
		.amdhsa_user_sgpr_dispatch_id 0
		.amdhsa_user_sgpr_flat_scratch_init 1
		.amdhsa_user_sgpr_kernarg_preload_length 0
		.amdhsa_user_sgpr_kernarg_preload_offset 0
		.amdhsa_user_sgpr_private_segment_size 0
		.amdhsa_uses_dynamic_stack 0
		.amdhsa_system_sgpr_private_segment_wavefront_offset 1
		.amdhsa_system_sgpr_workgroup_id_x 1
		.amdhsa_system_sgpr_workgroup_id_y 0
		.amdhsa_system_sgpr_workgroup_id_z 0
		.amdhsa_system_sgpr_workgroup_info 0
		.amdhsa_system_vgpr_workitem_id 0
		.amdhsa_next_free_vgpr 76
		.amdhsa_next_free_sgpr 16
		.amdhsa_accum_offset 76
		.amdhsa_reserve_vcc 1
		.amdhsa_reserve_flat_scratch 0
		.amdhsa_float_round_mode_32 0
		.amdhsa_float_round_mode_16_64 0
		.amdhsa_float_denorm_mode_32 3
		.amdhsa_float_denorm_mode_16_64 3
		.amdhsa_dx10_clamp 1
		.amdhsa_ieee_mode 1
		.amdhsa_fp16_overflow 0
		.amdhsa_tg_split 0
		.amdhsa_exception_fp_ieee_invalid_op 0
		.amdhsa_exception_fp_denorm_src 0
		.amdhsa_exception_fp_ieee_div_zero 0
		.amdhsa_exception_fp_ieee_overflow 0
		.amdhsa_exception_fp_ieee_underflow 0
		.amdhsa_exception_fp_ieee_inexact 0
		.amdhsa_exception_int_div_zero 0
	.end_amdhsa_kernel
	.section	.text._ZN9rocsolver6v33100L18trti2_kernel_smallILi19EdPKPdEEv13rocblas_fill_17rocblas_diagonal_T1_iil,"axG",@progbits,_ZN9rocsolver6v33100L18trti2_kernel_smallILi19EdPKPdEEv13rocblas_fill_17rocblas_diagonal_T1_iil,comdat
.Lfunc_end82:
	.size	_ZN9rocsolver6v33100L18trti2_kernel_smallILi19EdPKPdEEv13rocblas_fill_17rocblas_diagonal_T1_iil, .Lfunc_end82-_ZN9rocsolver6v33100L18trti2_kernel_smallILi19EdPKPdEEv13rocblas_fill_17rocblas_diagonal_T1_iil
                                        ; -- End function
	.section	.AMDGPU.csdata,"",@progbits
; Kernel info:
; codeLenInByte = 10784
; NumSgprs: 20
; NumVgprs: 76
; NumAgprs: 0
; TotalNumVgprs: 76
; ScratchSize: 160
; MemoryBound: 0
; FloatMode: 240
; IeeeMode: 1
; LDSByteSize: 312 bytes/workgroup (compile time only)
; SGPRBlocks: 2
; VGPRBlocks: 9
; NumSGPRsForWavesPerEU: 20
; NumVGPRsForWavesPerEU: 76
; AccumOffset: 76
; Occupancy: 6
; WaveLimiterHint : 1
; COMPUTE_PGM_RSRC2:SCRATCH_EN: 1
; COMPUTE_PGM_RSRC2:USER_SGPR: 8
; COMPUTE_PGM_RSRC2:TRAP_HANDLER: 0
; COMPUTE_PGM_RSRC2:TGID_X_EN: 1
; COMPUTE_PGM_RSRC2:TGID_Y_EN: 0
; COMPUTE_PGM_RSRC2:TGID_Z_EN: 0
; COMPUTE_PGM_RSRC2:TIDIG_COMP_CNT: 0
; COMPUTE_PGM_RSRC3_GFX90A:ACCUM_OFFSET: 18
; COMPUTE_PGM_RSRC3_GFX90A:TG_SPLIT: 0
	.section	.text._ZN9rocsolver6v33100L18trti2_kernel_smallILi20EdPKPdEEv13rocblas_fill_17rocblas_diagonal_T1_iil,"axG",@progbits,_ZN9rocsolver6v33100L18trti2_kernel_smallILi20EdPKPdEEv13rocblas_fill_17rocblas_diagonal_T1_iil,comdat
	.globl	_ZN9rocsolver6v33100L18trti2_kernel_smallILi20EdPKPdEEv13rocblas_fill_17rocblas_diagonal_T1_iil ; -- Begin function _ZN9rocsolver6v33100L18trti2_kernel_smallILi20EdPKPdEEv13rocblas_fill_17rocblas_diagonal_T1_iil
	.p2align	8
	.type	_ZN9rocsolver6v33100L18trti2_kernel_smallILi20EdPKPdEEv13rocblas_fill_17rocblas_diagonal_T1_iil,@function
_ZN9rocsolver6v33100L18trti2_kernel_smallILi20EdPKPdEEv13rocblas_fill_17rocblas_diagonal_T1_iil: ; @_ZN9rocsolver6v33100L18trti2_kernel_smallILi20EdPKPdEEv13rocblas_fill_17rocblas_diagonal_T1_iil
; %bb.0:
	s_add_u32 s0, s0, s9
	s_addc_u32 s1, s1, 0
	v_cmp_gt_u32_e32 vcc, 20, v0
	s_and_saveexec_b64 s[6:7], vcc
	s_cbranch_execz .LBB83_372
; %bb.1:
	s_load_dwordx2 s[6:7], s[4:5], 0x10
	s_load_dwordx4 s[12:15], s[4:5], 0x0
	s_ashr_i32 s9, s8, 31
	s_lshl_b64 s[4:5], s[8:9], 3
	v_lshlrev_b32_e32 v1, 3, v0
	s_waitcnt lgkmcnt(0)
	s_ashr_i32 s9, s6, 31
	s_add_u32 s4, s14, s4
	s_addc_u32 s5, s15, s5
	s_load_dwordx2 s[4:5], s[4:5], 0x0
	s_mov_b32 s8, s6
	s_lshl_b64 s[8:9], s[8:9], 3
	s_waitcnt lgkmcnt(0)
	s_add_u32 s4, s4, s8
	s_addc_u32 s5, s5, s9
	v_mov_b32_e32 v3, s5
	v_add_co_u32_e32 v2, vcc, s4, v1
	s_ashr_i32 s9, s7, 31
	s_mov_b32 s8, s7
	v_addc_co_u32_e32 v3, vcc, 0, v3, vcc
	s_lshl_b64 s[8:9], s[8:9], 3
	v_mov_b32_e32 v5, s9
	v_add_co_u32_e32 v4, vcc, s8, v2
	global_load_dwordx2 v[26:27], v1, s[4:5]
	v_addc_co_u32_e32 v5, vcc, v3, v5, vcc
	global_load_dwordx2 v[28:29], v[4:5], off
	s_add_i32 s6, s7, s7
	v_add_u32_e32 v8, s6, v0
	v_ashrrev_i32_e32 v9, 31, v8
	v_lshlrev_b64 v[6:7], 3, v[8:9]
	v_add_u32_e32 v10, s7, v8
	v_mov_b32_e32 v9, s5
	v_add_co_u32_e32 v6, vcc, s4, v6
	v_ashrrev_i32_e32 v11, 31, v10
	v_addc_co_u32_e32 v7, vcc, v9, v7, vcc
	v_lshlrev_b64 v[8:9], 3, v[10:11]
	v_add_u32_e32 v12, s7, v10
	v_mov_b32_e32 v11, s5
	v_add_co_u32_e32 v8, vcc, s4, v8
	v_ashrrev_i32_e32 v13, 31, v12
	v_addc_co_u32_e32 v9, vcc, v11, v9, vcc
	v_lshlrev_b64 v[10:11], 3, v[12:13]
	v_mov_b32_e32 v13, s5
	v_add_co_u32_e32 v10, vcc, s4, v10
	v_addc_co_u32_e32 v11, vcc, v13, v11, vcc
	global_load_dwordx2 v[46:47], v[6:7], off
	global_load_dwordx2 v[42:43], v[8:9], off
	;; [unrolled: 1-line block ×3, first 2 shown]
	v_add_u32_e32 v14, s7, v12
	v_add_u32_e32 v16, s7, v14
	v_ashrrev_i32_e32 v15, 31, v14
	v_add_u32_e32 v18, s7, v16
	v_lshlrev_b64 v[12:13], 3, v[14:15]
	v_add_u32_e32 v20, s7, v18
	v_mov_b32_e32 v15, s5
	v_add_co_u32_e32 v12, vcc, s4, v12
	v_ashrrev_i32_e32 v17, 31, v16
	v_add_u32_e32 v22, s7, v20
	v_addc_co_u32_e32 v13, vcc, v15, v13, vcc
	v_lshlrev_b64 v[14:15], 3, v[16:17]
	v_add_u32_e32 v24, s7, v22
	v_mov_b32_e32 v17, s5
	v_add_co_u32_e32 v14, vcc, s4, v14
	v_ashrrev_i32_e32 v19, 31, v18
	v_add_u32_e32 v30, s7, v24
	v_addc_co_u32_e32 v15, vcc, v17, v15, vcc
	;; [unrolled: 7-line block ×5, first 2 shown]
	v_lshlrev_b64 v[22:23], 3, v[24:25]
	v_add_u32_e32 v50, s7, v48
	v_mov_b32_e32 v25, s5
	v_add_co_u32_e32 v22, vcc, s4, v22
	v_add_u32_e32 v24, s7, v50
	v_addc_co_u32_e32 v23, vcc, v25, v23, vcc
	v_ashrrev_i32_e32 v25, 31, v24
	v_lshlrev_b64 v[24:25], 3, v[24:25]
	v_mov_b32_e32 v31, s5
	v_add_co_u32_e32 v24, vcc, s4, v24
	v_addc_co_u32_e32 v25, vcc, v31, v25, vcc
	v_ashrrev_i32_e32 v31, 31, v30
	global_load_dwordx2 v[52:53], v[24:25], off
	s_waitcnt vmcnt(5)
	buffer_store_dword v27, off, s[0:3], 0 offset:4
	buffer_store_dword v26, off, s[0:3], 0
	v_lshlrev_b64 v[26:27], 3, v[30:31]
	global_load_dwordx2 v[54:55], v[12:13], off
	global_load_dwordx2 v[56:57], v[14:15], off
	;; [unrolled: 1-line block ×4, first 2 shown]
	s_waitcnt vmcnt(10)
	buffer_store_dword v29, off, s[0:3], 0 offset:12
	buffer_store_dword v28, off, s[0:3], 0 offset:8
	v_mov_b32_e32 v28, s5
	v_add_co_u32_e32 v26, vcc, s4, v26
	v_ashrrev_i32_e32 v33, 31, v32
	v_addc_co_u32_e32 v27, vcc, v28, v27, vcc
	v_lshlrev_b64 v[28:29], 3, v[32:33]
	v_mov_b32_e32 v30, s5
	v_add_co_u32_e32 v28, vcc, s4, v28
	v_ashrrev_i32_e32 v35, 31, v34
	v_addc_co_u32_e32 v29, vcc, v30, v29, vcc
	v_lshlrev_b64 v[30:31], 3, v[34:35]
	;; [unrolled: 5-line block ×4, first 2 shown]
	global_load_dwordx2 v[62:63], v[20:21], off
	global_load_dwordx2 v[64:65], v[22:23], off
	;; [unrolled: 1-line block ×4, first 2 shown]
	v_mov_b32_e32 v36, s5
	v_add_co_u32_e32 v34, vcc, s4, v34
	v_addc_co_u32_e32 v35, vcc, v36, v35, vcc
	global_load_dwordx2 v[70:71], v[30:31], off
	global_load_dwordx2 v[72:73], v[32:33], off
	global_load_dwordx2 v[74:75], v[34:35], off
	v_ashrrev_i32_e32 v41, 31, v40
	v_lshlrev_b64 v[36:37], 3, v[40:41]
	v_mov_b32_e32 v38, s5
	v_add_co_u32_e32 v36, vcc, s4, v36
	v_ashrrev_i32_e32 v49, 31, v48
	v_addc_co_u32_e32 v37, vcc, v38, v37, vcc
	v_lshlrev_b64 v[38:39], 3, v[48:49]
	v_mov_b32_e32 v40, s5
	v_add_co_u32_e32 v38, vcc, s4, v38
	v_ashrrev_i32_e32 v51, 31, v50
	v_addc_co_u32_e32 v39, vcc, v40, v39, vcc
	v_lshlrev_b64 v[40:41], 3, v[50:51]
	v_mov_b32_e32 v48, s5
	v_add_co_u32_e32 v40, vcc, s4, v40
	v_addc_co_u32_e32 v41, vcc, v48, v41, vcc
	global_load_dwordx2 v[48:49], v[36:37], off
	global_load_dwordx2 v[50:51], v[38:39], off
	s_cmpk_lg_i32 s13, 0x84
	s_waitcnt vmcnt(20)
	buffer_store_dword v47, off, s[0:3], 0 offset:20
	buffer_store_dword v46, off, s[0:3], 0 offset:16
	global_load_dwordx2 v[46:47], v[40:41], off
	s_waitcnt vmcnt(22)
	buffer_store_dword v43, off, s[0:3], 0 offset:28
	buffer_store_dword v42, off, s[0:3], 0 offset:24
	s_waitcnt vmcnt(23)
	buffer_store_dword v45, off, s[0:3], 0 offset:36
	buffer_store_dword v44, off, s[0:3], 0 offset:32
	;; [unrolled: 3-line block ×9, first 2 shown]
	v_mov_b32_e32 v42, 0
	v_mov_b32_e32 v62, 0
	s_cselect_b64 s[8:9], -1, 0
	s_cmpk_eq_i32 s13, 0x84
	v_mov_b32_e32 v43, 0xbff00000
	s_waitcnt vmcnt(26)
	buffer_store_dword v68, off, s[0:3], 0 offset:96
	buffer_store_dword v69, off, s[0:3], 0 offset:100
	s_waitcnt vmcnt(27)
	buffer_store_dword v70, off, s[0:3], 0 offset:104
	buffer_store_dword v71, off, s[0:3], 0 offset:108
	;; [unrolled: 3-line block ×7, first 2 shown]
	buffer_store_dword v53, off, s[0:3], 0 offset:156
	buffer_store_dword v52, off, s[0:3], 0 offset:152
	s_cbranch_scc1 .LBB83_3
; %bb.2:
	v_lshl_add_u32 v52, v0, 3, v62
	buffer_load_dword v42, v52, s[0:3], 0 offen
	buffer_load_dword v43, v52, s[0:3], 0 offen offset:4
	s_waitcnt vmcnt(0)
	v_div_scale_f64 v[44:45], s[4:5], v[42:43], v[42:43], 1.0
	v_rcp_f64_e32 v[46:47], v[44:45]
	v_div_scale_f64 v[48:49], vcc, 1.0, v[42:43], 1.0
	v_fma_f64 v[50:51], -v[44:45], v[46:47], 1.0
	v_fmac_f64_e32 v[46:47], v[46:47], v[50:51]
	v_fma_f64 v[50:51], -v[44:45], v[46:47], 1.0
	v_fmac_f64_e32 v[46:47], v[46:47], v[50:51]
	v_mul_f64 v[50:51], v[48:49], v[46:47]
	v_fma_f64 v[44:45], -v[44:45], v[50:51], v[48:49]
	v_div_fmas_f64 v[44:45], v[44:45], v[46:47], v[50:51]
	v_div_fixup_f64 v[42:43], v[44:45], v[42:43], 1.0
	buffer_store_dword v42, v52, s[0:3], 0 offen
	buffer_store_dword v43, v52, s[0:3], 0 offen offset:4
	v_xor_b32_e32 v43, 0x80000000, v43
.LBB83_3:
	s_cmpk_eq_i32 s12, 0x79
	v_add_u32_e32 v44, 0xa0, v1
	v_add_u32_e32 v45, 0, v1
	s_mov_b64 s[4:5], -1
	ds_write_b64 v1, v[42:43]
	s_cbranch_scc1 .LBB83_187
; %bb.4:
	buffer_load_dword v42, off, s[0:3], 0 offset:144
	buffer_load_dword v43, off, s[0:3], 0 offset:148
	v_cmp_eq_u32_e64 s[4:5], 19, v0
	s_waitcnt vmcnt(0)
	ds_write_b64 v44, v[42:43]
	s_waitcnt lgkmcnt(0)
	; wave barrier
	s_waitcnt lgkmcnt(0)
	s_and_saveexec_b64 s[6:7], s[4:5]
	s_cbranch_execz .LBB83_10
; %bb.5:
	s_and_b64 vcc, exec, s[8:9]
	s_cbranch_vccz .LBB83_7
; %bb.6:
	buffer_load_dword v42, v45, s[0:3], 0 offen
	buffer_load_dword v43, v45, s[0:3], 0 offen offset:4
	ds_read_b64 v[46:47], v44
	s_waitcnt vmcnt(0) lgkmcnt(0)
	v_mul_f64 v[42:43], v[42:43], v[46:47]
	s_cbranch_execz .LBB83_8
	s_branch .LBB83_9
.LBB83_7:
                                        ; implicit-def: $vgpr42_vgpr43
.LBB83_8:
	ds_read_b64 v[42:43], v44
.LBB83_9:
	v_mov_b32_e32 v46, 0
	ds_read_b64 v[46:47], v46 offset:144
	s_waitcnt lgkmcnt(0)
	v_mul_f64 v[42:43], v[42:43], v[46:47]
	buffer_store_dword v43, off, s[0:3], 0 offset:148
	buffer_store_dword v42, off, s[0:3], 0 offset:144
.LBB83_10:
	s_or_b64 exec, exec, s[6:7]
	buffer_load_dword v42, off, s[0:3], 0 offset:136
	buffer_load_dword v43, off, s[0:3], 0 offset:140
	v_or_b32_e32 v46, 8, v62
	v_add_u32_e32 v47, 16, v62
	v_add_u32_e32 v48, 24, v62
	v_add_u32_e32 v49, 32, v62
	v_add_u32_e32 v50, 40, v62
	v_add_u32_e32 v51, 48, v62
	v_add_u32_e32 v52, 56, v62
	v_add_u32_e32 v53, 64, v62
	v_add_u32_e32 v54, 0x48, v62
	v_add_u32_e32 v55, 0x50, v62
	v_add_u32_e32 v56, 0x58, v62
	v_add_u32_e32 v57, 0x60, v62
	v_add_u32_e32 v58, 0x68, v62
	v_add_u32_e32 v59, 0x70, v62
	v_add_u32_e32 v60, 0x78, v62
	v_add_u32_e32 v61, 0x80, v62
	v_add_u32_e32 v62, 0x88, v62
	v_cmp_lt_u32_e64 s[6:7], 17, v0
	s_waitcnt vmcnt(0)
	ds_write_b64 v44, v[42:43]
	s_waitcnt lgkmcnt(0)
	; wave barrier
	s_waitcnt lgkmcnt(0)
	s_and_saveexec_b64 s[10:11], s[6:7]
	s_cbranch_execz .LBB83_16
; %bb.11:
	s_andn2_b64 vcc, exec, s[8:9]
	s_cbranch_vccnz .LBB83_13
; %bb.12:
	buffer_load_dword v42, v45, s[0:3], 0 offen
	buffer_load_dword v43, v45, s[0:3], 0 offen offset:4
	ds_read_b64 v[64:65], v44
	s_waitcnt vmcnt(0) lgkmcnt(0)
	v_mul_f64 v[42:43], v[42:43], v[64:65]
	s_cbranch_execz .LBB83_14
	s_branch .LBB83_15
.LBB83_13:
                                        ; implicit-def: $vgpr42_vgpr43
.LBB83_14:
	ds_read_b64 v[42:43], v44
.LBB83_15:
	buffer_load_dword v68, off, s[0:3], 0 offset:144
	buffer_load_dword v69, off, s[0:3], 0 offset:148
	v_mov_b32_e32 v63, 0
	ds_read2_b64 v[64:67], v63 offset0:17 offset1:38
	s_waitcnt vmcnt(0) lgkmcnt(0)
	v_fma_f64 v[66:67], v[68:69], v[66:67], v[42:43]
	v_cndmask_b32_e64 v43, v43, v67, s[4:5]
	v_cndmask_b32_e64 v42, v42, v66, s[4:5]
	v_mul_f64 v[42:43], v[42:43], v[64:65]
	buffer_store_dword v43, off, s[0:3], 0 offset:140
	buffer_store_dword v42, off, s[0:3], 0 offset:136
.LBB83_16:
	s_or_b64 exec, exec, s[10:11]
	buffer_load_dword v42, off, s[0:3], 0 offset:128
	buffer_load_dword v43, off, s[0:3], 0 offset:132
	v_cmp_lt_u32_e64 s[4:5], 16, v0
	s_waitcnt vmcnt(0)
	ds_write_b64 v44, v[42:43]
	s_waitcnt lgkmcnt(0)
	; wave barrier
	s_waitcnt lgkmcnt(0)
	s_and_saveexec_b64 s[10:11], s[4:5]
	s_cbranch_execz .LBB83_26
; %bb.17:
	s_andn2_b64 vcc, exec, s[8:9]
	s_cbranch_vccnz .LBB83_19
; %bb.18:
	buffer_load_dword v42, v45, s[0:3], 0 offen
	buffer_load_dword v43, v45, s[0:3], 0 offen offset:4
	ds_read_b64 v[64:65], v44
	s_waitcnt vmcnt(0) lgkmcnt(0)
	v_mul_f64 v[42:43], v[42:43], v[64:65]
	s_cbranch_execz .LBB83_20
	s_branch .LBB83_21
.LBB83_19:
                                        ; implicit-def: $vgpr42_vgpr43
.LBB83_20:
	ds_read_b64 v[42:43], v44
.LBB83_21:
	s_and_saveexec_b64 s[12:13], s[6:7]
	s_cbranch_execz .LBB83_25
; %bb.22:
	v_subrev_u32_e32 v63, 17, v0
	s_movk_i32 s14, 0x128
	s_mov_b64 s[6:7], 0
.LBB83_23:                              ; =>This Inner Loop Header: Depth=1
	buffer_load_dword v64, v62, s[0:3], 0 offen
	buffer_load_dword v65, v62, s[0:3], 0 offen offset:4
	v_mov_b32_e32 v66, s14
	ds_read_b64 v[66:67], v66
	v_add_u32_e32 v63, -1, v63
	s_add_i32 s14, s14, 8
	v_cmp_eq_u32_e32 vcc, 0, v63
	v_add_u32_e32 v62, 8, v62
	s_or_b64 s[6:7], vcc, s[6:7]
	s_waitcnt vmcnt(0) lgkmcnt(0)
	v_fmac_f64_e32 v[42:43], v[64:65], v[66:67]
	s_andn2_b64 exec, exec, s[6:7]
	s_cbranch_execnz .LBB83_23
; %bb.24:
	s_or_b64 exec, exec, s[6:7]
.LBB83_25:
	s_or_b64 exec, exec, s[12:13]
	v_mov_b32_e32 v62, 0
	ds_read_b64 v[62:63], v62 offset:128
	s_waitcnt lgkmcnt(0)
	v_mul_f64 v[42:43], v[42:43], v[62:63]
	buffer_store_dword v43, off, s[0:3], 0 offset:132
	buffer_store_dword v42, off, s[0:3], 0 offset:128
.LBB83_26:
	s_or_b64 exec, exec, s[10:11]
	buffer_load_dword v42, off, s[0:3], 0 offset:120
	buffer_load_dword v43, off, s[0:3], 0 offset:124
	v_cmp_lt_u32_e64 s[6:7], 15, v0
	s_waitcnt vmcnt(0)
	ds_write_b64 v44, v[42:43]
	s_waitcnt lgkmcnt(0)
	; wave barrier
	s_waitcnt lgkmcnt(0)
	s_and_saveexec_b64 s[10:11], s[6:7]
	s_cbranch_execz .LBB83_36
; %bb.27:
	s_andn2_b64 vcc, exec, s[8:9]
	s_cbranch_vccnz .LBB83_29
; %bb.28:
	buffer_load_dword v42, v45, s[0:3], 0 offen
	buffer_load_dword v43, v45, s[0:3], 0 offen offset:4
	ds_read_b64 v[62:63], v44
	s_waitcnt vmcnt(0) lgkmcnt(0)
	v_mul_f64 v[42:43], v[42:43], v[62:63]
	s_cbranch_execz .LBB83_30
	s_branch .LBB83_31
.LBB83_29:
                                        ; implicit-def: $vgpr42_vgpr43
.LBB83_30:
	ds_read_b64 v[42:43], v44
.LBB83_31:
	s_and_saveexec_b64 s[12:13], s[4:5]
	s_cbranch_execz .LBB83_35
; %bb.32:
	v_add_u32_e32 v62, -16, v0
	s_movk_i32 s14, 0x120
	s_mov_b64 s[4:5], 0
.LBB83_33:                              ; =>This Inner Loop Header: Depth=1
	buffer_load_dword v64, v61, s[0:3], 0 offen
	buffer_load_dword v65, v61, s[0:3], 0 offen offset:4
	v_mov_b32_e32 v63, s14
	ds_read_b64 v[66:67], v63
	v_add_u32_e32 v62, -1, v62
	s_add_i32 s14, s14, 8
	v_cmp_eq_u32_e32 vcc, 0, v62
	v_add_u32_e32 v61, 8, v61
	s_or_b64 s[4:5], vcc, s[4:5]
	s_waitcnt vmcnt(0) lgkmcnt(0)
	v_fmac_f64_e32 v[42:43], v[64:65], v[66:67]
	s_andn2_b64 exec, exec, s[4:5]
	s_cbranch_execnz .LBB83_33
; %bb.34:
	s_or_b64 exec, exec, s[4:5]
.LBB83_35:
	s_or_b64 exec, exec, s[12:13]
	v_mov_b32_e32 v61, 0
	ds_read_b64 v[62:63], v61 offset:120
	s_waitcnt lgkmcnt(0)
	v_mul_f64 v[42:43], v[42:43], v[62:63]
	buffer_store_dword v43, off, s[0:3], 0 offset:124
	buffer_store_dword v42, off, s[0:3], 0 offset:120
.LBB83_36:
	s_or_b64 exec, exec, s[10:11]
	buffer_load_dword v42, off, s[0:3], 0 offset:112
	buffer_load_dword v43, off, s[0:3], 0 offset:116
	v_cmp_lt_u32_e64 s[4:5], 14, v0
	s_waitcnt vmcnt(0)
	ds_write_b64 v44, v[42:43]
	s_waitcnt lgkmcnt(0)
	; wave barrier
	s_waitcnt lgkmcnt(0)
	s_and_saveexec_b64 s[10:11], s[4:5]
	s_cbranch_execz .LBB83_46
; %bb.37:
	s_andn2_b64 vcc, exec, s[8:9]
	s_cbranch_vccnz .LBB83_39
; %bb.38:
	buffer_load_dword v42, v45, s[0:3], 0 offen
	buffer_load_dword v43, v45, s[0:3], 0 offen offset:4
	ds_read_b64 v[62:63], v44
	s_waitcnt vmcnt(0) lgkmcnt(0)
	v_mul_f64 v[42:43], v[42:43], v[62:63]
	s_cbranch_execz .LBB83_40
	s_branch .LBB83_41
.LBB83_39:
                                        ; implicit-def: $vgpr42_vgpr43
.LBB83_40:
	ds_read_b64 v[42:43], v44
.LBB83_41:
	s_and_saveexec_b64 s[12:13], s[6:7]
	s_cbranch_execz .LBB83_45
; %bb.42:
	v_add_u32_e32 v61, -15, v0
	s_movk_i32 s14, 0x118
	s_mov_b64 s[6:7], 0
.LBB83_43:                              ; =>This Inner Loop Header: Depth=1
	buffer_load_dword v62, v60, s[0:3], 0 offen
	buffer_load_dword v63, v60, s[0:3], 0 offen offset:4
	v_mov_b32_e32 v64, s14
	ds_read_b64 v[64:65], v64
	v_add_u32_e32 v61, -1, v61
	s_add_i32 s14, s14, 8
	v_cmp_eq_u32_e32 vcc, 0, v61
	v_add_u32_e32 v60, 8, v60
	s_or_b64 s[6:7], vcc, s[6:7]
	s_waitcnt vmcnt(0) lgkmcnt(0)
	v_fmac_f64_e32 v[42:43], v[62:63], v[64:65]
	s_andn2_b64 exec, exec, s[6:7]
	s_cbranch_execnz .LBB83_43
; %bb.44:
	s_or_b64 exec, exec, s[6:7]
.LBB83_45:
	s_or_b64 exec, exec, s[12:13]
	v_mov_b32_e32 v60, 0
	ds_read_b64 v[60:61], v60 offset:112
	s_waitcnt lgkmcnt(0)
	v_mul_f64 v[42:43], v[42:43], v[60:61]
	buffer_store_dword v43, off, s[0:3], 0 offset:116
	buffer_store_dword v42, off, s[0:3], 0 offset:112
.LBB83_46:
	;; [unrolled: 58-line block ×7, first 2 shown]
	s_or_b64 exec, exec, s[10:11]
	buffer_load_dword v42, off, s[0:3], 0 offset:64
	buffer_load_dword v43, off, s[0:3], 0 offset:68
	v_cmp_lt_u32_e64 s[4:5], 8, v0
	s_waitcnt vmcnt(0)
	ds_write_b64 v44, v[42:43]
	s_waitcnt lgkmcnt(0)
	; wave barrier
	s_waitcnt lgkmcnt(0)
	s_and_saveexec_b64 s[10:11], s[4:5]
	s_cbranch_execz .LBB83_106
; %bb.97:
	s_andn2_b64 vcc, exec, s[8:9]
	s_cbranch_vccnz .LBB83_99
; %bb.98:
	buffer_load_dword v42, v45, s[0:3], 0 offen
	buffer_load_dword v43, v45, s[0:3], 0 offen offset:4
	ds_read_b64 v[56:57], v44
	s_waitcnt vmcnt(0) lgkmcnt(0)
	v_mul_f64 v[42:43], v[42:43], v[56:57]
	s_cbranch_execz .LBB83_100
	s_branch .LBB83_101
.LBB83_99:
                                        ; implicit-def: $vgpr42_vgpr43
.LBB83_100:
	ds_read_b64 v[42:43], v44
.LBB83_101:
	s_and_saveexec_b64 s[12:13], s[6:7]
	s_cbranch_execz .LBB83_105
; %bb.102:
	v_add_u32_e32 v55, -9, v0
	s_movk_i32 s14, 0xe8
	s_mov_b64 s[6:7], 0
.LBB83_103:                             ; =>This Inner Loop Header: Depth=1
	buffer_load_dword v56, v54, s[0:3], 0 offen
	buffer_load_dword v57, v54, s[0:3], 0 offen offset:4
	v_mov_b32_e32 v58, s14
	ds_read_b64 v[58:59], v58
	v_add_u32_e32 v55, -1, v55
	s_add_i32 s14, s14, 8
	v_cmp_eq_u32_e32 vcc, 0, v55
	v_add_u32_e32 v54, 8, v54
	s_or_b64 s[6:7], vcc, s[6:7]
	s_waitcnt vmcnt(0) lgkmcnt(0)
	v_fmac_f64_e32 v[42:43], v[56:57], v[58:59]
	s_andn2_b64 exec, exec, s[6:7]
	s_cbranch_execnz .LBB83_103
; %bb.104:
	s_or_b64 exec, exec, s[6:7]
.LBB83_105:
	s_or_b64 exec, exec, s[12:13]
	v_mov_b32_e32 v54, 0
	ds_read_b64 v[54:55], v54 offset:64
	s_waitcnt lgkmcnt(0)
	v_mul_f64 v[42:43], v[42:43], v[54:55]
	buffer_store_dword v43, off, s[0:3], 0 offset:68
	buffer_store_dword v42, off, s[0:3], 0 offset:64
.LBB83_106:
	s_or_b64 exec, exec, s[10:11]
	buffer_load_dword v42, off, s[0:3], 0 offset:56
	buffer_load_dword v43, off, s[0:3], 0 offset:60
	v_cmp_lt_u32_e64 s[6:7], 7, v0
	s_waitcnt vmcnt(0)
	ds_write_b64 v44, v[42:43]
	s_waitcnt lgkmcnt(0)
	; wave barrier
	s_waitcnt lgkmcnt(0)
	s_and_saveexec_b64 s[10:11], s[6:7]
	s_cbranch_execz .LBB83_116
; %bb.107:
	s_andn2_b64 vcc, exec, s[8:9]
	s_cbranch_vccnz .LBB83_109
; %bb.108:
	buffer_load_dword v42, v45, s[0:3], 0 offen
	buffer_load_dword v43, v45, s[0:3], 0 offen offset:4
	ds_read_b64 v[54:55], v44
	s_waitcnt vmcnt(0) lgkmcnt(0)
	v_mul_f64 v[42:43], v[42:43], v[54:55]
	s_cbranch_execz .LBB83_110
	s_branch .LBB83_111
.LBB83_109:
                                        ; implicit-def: $vgpr42_vgpr43
.LBB83_110:
	ds_read_b64 v[42:43], v44
.LBB83_111:
	s_and_saveexec_b64 s[12:13], s[4:5]
	s_cbranch_execz .LBB83_115
; %bb.112:
	v_add_u32_e32 v54, -8, v0
	s_movk_i32 s14, 0xe0
	s_mov_b64 s[4:5], 0
.LBB83_113:                             ; =>This Inner Loop Header: Depth=1
	buffer_load_dword v56, v53, s[0:3], 0 offen
	buffer_load_dword v57, v53, s[0:3], 0 offen offset:4
	v_mov_b32_e32 v55, s14
	ds_read_b64 v[58:59], v55
	v_add_u32_e32 v54, -1, v54
	s_add_i32 s14, s14, 8
	v_cmp_eq_u32_e32 vcc, 0, v54
	v_add_u32_e32 v53, 8, v53
	s_or_b64 s[4:5], vcc, s[4:5]
	s_waitcnt vmcnt(0) lgkmcnt(0)
	v_fmac_f64_e32 v[42:43], v[56:57], v[58:59]
	s_andn2_b64 exec, exec, s[4:5]
	s_cbranch_execnz .LBB83_113
; %bb.114:
	s_or_b64 exec, exec, s[4:5]
.LBB83_115:
	s_or_b64 exec, exec, s[12:13]
	v_mov_b32_e32 v53, 0
	ds_read_b64 v[54:55], v53 offset:56
	s_waitcnt lgkmcnt(0)
	v_mul_f64 v[42:43], v[42:43], v[54:55]
	buffer_store_dword v43, off, s[0:3], 0 offset:60
	buffer_store_dword v42, off, s[0:3], 0 offset:56
.LBB83_116:
	;; [unrolled: 58-line block ×8, first 2 shown]
	s_or_b64 exec, exec, s[10:11]
	buffer_load_dword v42, off, s[0:3], 0
	buffer_load_dword v43, off, s[0:3], 0 offset:4
	v_cmp_ne_u32_e32 vcc, 0, v0
	s_waitcnt vmcnt(0)
	ds_write_b64 v44, v[42:43]
	s_waitcnt lgkmcnt(0)
	; wave barrier
	s_waitcnt lgkmcnt(0)
	s_and_saveexec_b64 s[4:5], vcc
	s_cbranch_execz .LBB83_186
; %bb.177:
	s_andn2_b64 vcc, exec, s[8:9]
	s_cbranch_vccnz .LBB83_179
; %bb.178:
	buffer_load_dword v42, v45, s[0:3], 0 offen
	buffer_load_dword v43, v45, s[0:3], 0 offen offset:4
	ds_read_b64 v[48:49], v44
	s_waitcnt vmcnt(0) lgkmcnt(0)
	v_mul_f64 v[42:43], v[42:43], v[48:49]
	s_cbranch_execz .LBB83_180
	s_branch .LBB83_181
.LBB83_179:
                                        ; implicit-def: $vgpr42_vgpr43
.LBB83_180:
	ds_read_b64 v[42:43], v44
.LBB83_181:
	s_and_saveexec_b64 s[10:11], s[6:7]
	s_cbranch_execz .LBB83_185
; %bb.182:
	v_add_u32_e32 v47, -1, v0
	s_movk_i32 s12, 0xa8
	s_mov_b64 s[6:7], 0
.LBB83_183:                             ; =>This Inner Loop Header: Depth=1
	buffer_load_dword v48, v46, s[0:3], 0 offen
	buffer_load_dword v49, v46, s[0:3], 0 offen offset:4
	v_mov_b32_e32 v50, s12
	ds_read_b64 v[50:51], v50
	v_add_u32_e32 v47, -1, v47
	s_add_i32 s12, s12, 8
	v_cmp_eq_u32_e32 vcc, 0, v47
	v_add_u32_e32 v46, 8, v46
	s_or_b64 s[6:7], vcc, s[6:7]
	s_waitcnt vmcnt(0) lgkmcnt(0)
	v_fmac_f64_e32 v[42:43], v[48:49], v[50:51]
	s_andn2_b64 exec, exec, s[6:7]
	s_cbranch_execnz .LBB83_183
; %bb.184:
	s_or_b64 exec, exec, s[6:7]
.LBB83_185:
	s_or_b64 exec, exec, s[10:11]
	v_mov_b32_e32 v46, 0
	ds_read_b64 v[46:47], v46
	s_waitcnt lgkmcnt(0)
	v_mul_f64 v[42:43], v[42:43], v[46:47]
	buffer_store_dword v43, off, s[0:3], 0 offset:4
	buffer_store_dword v42, off, s[0:3], 0
.LBB83_186:
	s_or_b64 exec, exec, s[4:5]
	s_mov_b64 s[4:5], 0
.LBB83_187:
	s_and_b64 vcc, exec, s[4:5]
	s_cbranch_vccz .LBB83_371
; %bb.188:
	buffer_load_dword v42, off, s[0:3], 0 offset:8
	buffer_load_dword v43, off, s[0:3], 0 offset:12
	v_cmp_eq_u32_e64 s[6:7], 0, v0
	s_waitcnt vmcnt(0)
	ds_write_b64 v44, v[42:43]
	s_waitcnt lgkmcnt(0)
	; wave barrier
	s_waitcnt lgkmcnt(0)
	s_and_saveexec_b64 s[4:5], s[6:7]
	s_cbranch_execz .LBB83_194
; %bb.189:
	s_and_b64 vcc, exec, s[8:9]
	s_cbranch_vccz .LBB83_191
; %bb.190:
	buffer_load_dword v42, v45, s[0:3], 0 offen
	buffer_load_dword v43, v45, s[0:3], 0 offen offset:4
	ds_read_b64 v[46:47], v44
	s_waitcnt vmcnt(0) lgkmcnt(0)
	v_mul_f64 v[42:43], v[42:43], v[46:47]
	s_cbranch_execz .LBB83_192
	s_branch .LBB83_193
.LBB83_191:
                                        ; implicit-def: $vgpr42_vgpr43
.LBB83_192:
	ds_read_b64 v[42:43], v44
.LBB83_193:
	v_mov_b32_e32 v46, 0
	ds_read_b64 v[46:47], v46 offset:8
	s_waitcnt lgkmcnt(0)
	v_mul_f64 v[42:43], v[42:43], v[46:47]
	buffer_store_dword v43, off, s[0:3], 0 offset:12
	buffer_store_dword v42, off, s[0:3], 0 offset:8
.LBB83_194:
	s_or_b64 exec, exec, s[4:5]
	buffer_load_dword v42, off, s[0:3], 0 offset:16
	buffer_load_dword v43, off, s[0:3], 0 offset:20
	v_cndmask_b32_e64 v46, 0, 1, s[8:9]
	v_cmp_gt_u32_e32 vcc, 2, v0
	v_cmp_ne_u32_e64 s[4:5], 1, v46
	s_waitcnt vmcnt(0)
	ds_write_b64 v44, v[42:43]
	s_waitcnt lgkmcnt(0)
	; wave barrier
	s_waitcnt lgkmcnt(0)
	s_and_saveexec_b64 s[8:9], vcc
	s_cbranch_execz .LBB83_202
; %bb.195:
	s_and_b64 vcc, exec, s[4:5]
	s_cbranch_vccnz .LBB83_197
; %bb.196:
	buffer_load_dword v42, v45, s[0:3], 0 offen
	buffer_load_dword v43, v45, s[0:3], 0 offen offset:4
	ds_read_b64 v[46:47], v44
	s_waitcnt vmcnt(0) lgkmcnt(0)
	v_mul_f64 v[42:43], v[42:43], v[46:47]
	s_cbranch_execz .LBB83_198
	s_branch .LBB83_199
.LBB83_197:
                                        ; implicit-def: $vgpr42_vgpr43
.LBB83_198:
	ds_read_b64 v[42:43], v44
.LBB83_199:
	s_and_saveexec_b64 s[10:11], s[6:7]
	s_cbranch_execz .LBB83_201
; %bb.200:
	buffer_load_dword v46, v45, s[0:3], 0 offen offset:8
	buffer_load_dword v47, v45, s[0:3], 0 offen offset:12
	ds_read_b64 v[48:49], v44 offset:8
	s_waitcnt vmcnt(0) lgkmcnt(0)
	v_fmac_f64_e32 v[42:43], v[46:47], v[48:49]
.LBB83_201:
	s_or_b64 exec, exec, s[10:11]
	v_mov_b32_e32 v46, 0
	ds_read_b64 v[46:47], v46 offset:16
	s_waitcnt lgkmcnt(0)
	v_mul_f64 v[42:43], v[42:43], v[46:47]
	buffer_store_dword v43, off, s[0:3], 0 offset:20
	buffer_store_dword v42, off, s[0:3], 0 offset:16
.LBB83_202:
	s_or_b64 exec, exec, s[8:9]
	buffer_load_dword v42, off, s[0:3], 0 offset:24
	buffer_load_dword v43, off, s[0:3], 0 offset:28
	v_cmp_gt_u32_e32 vcc, 3, v0
	s_waitcnt vmcnt(0)
	ds_write_b64 v44, v[42:43]
	s_waitcnt lgkmcnt(0)
	; wave barrier
	s_waitcnt lgkmcnt(0)
	s_and_saveexec_b64 s[8:9], vcc
	s_cbranch_execz .LBB83_210
; %bb.203:
	s_and_b64 vcc, exec, s[4:5]
	s_cbranch_vccnz .LBB83_205
; %bb.204:
	buffer_load_dword v42, v45, s[0:3], 0 offen
	buffer_load_dword v43, v45, s[0:3], 0 offen offset:4
	ds_read_b64 v[46:47], v44
	s_waitcnt vmcnt(0) lgkmcnt(0)
	v_mul_f64 v[42:43], v[42:43], v[46:47]
	s_cbranch_execz .LBB83_206
	s_branch .LBB83_207
.LBB83_205:
                                        ; implicit-def: $vgpr42_vgpr43
.LBB83_206:
	ds_read_b64 v[42:43], v44
.LBB83_207:
	v_cmp_ne_u32_e32 vcc, 2, v0
	s_and_saveexec_b64 s[10:11], vcc
	s_cbranch_execz .LBB83_209
; %bb.208:
	buffer_load_dword v47, v45, s[0:3], 0 offen offset:12
	buffer_load_dword v48, off, s[0:3], 0 offset:16
	buffer_load_dword v46, v45, s[0:3], 0 offen offset:8
	buffer_load_dword v49, off, s[0:3], 0 offset:20
	v_mov_b32_e32 v52, 0
	ds_read_b64 v[50:51], v44 offset:8
	ds_read_b64 v[52:53], v52 offset:176
	s_waitcnt vmcnt(1) lgkmcnt(1)
	v_fmac_f64_e32 v[42:43], v[46:47], v[50:51]
	s_waitcnt vmcnt(0) lgkmcnt(0)
	v_fma_f64 v[46:47], v[48:49], v[52:53], v[42:43]
	v_cndmask_b32_e64 v43, v43, v47, s[6:7]
	v_cndmask_b32_e64 v42, v42, v46, s[6:7]
.LBB83_209:
	s_or_b64 exec, exec, s[10:11]
	v_mov_b32_e32 v46, 0
	ds_read_b64 v[46:47], v46 offset:24
	s_waitcnt lgkmcnt(0)
	v_mul_f64 v[42:43], v[42:43], v[46:47]
	buffer_store_dword v43, off, s[0:3], 0 offset:28
	buffer_store_dword v42, off, s[0:3], 0 offset:24
.LBB83_210:
	s_or_b64 exec, exec, s[8:9]
	buffer_load_dword v42, off, s[0:3], 0 offset:32
	buffer_load_dword v43, off, s[0:3], 0 offset:36
	v_cmp_gt_u32_e32 vcc, 4, v0
	s_waitcnt vmcnt(0)
	ds_write_b64 v44, v[42:43]
	s_waitcnt lgkmcnt(0)
	; wave barrier
	s_waitcnt lgkmcnt(0)
	s_and_saveexec_b64 s[6:7], vcc
	s_cbranch_execz .LBB83_220
; %bb.211:
	s_and_b64 vcc, exec, s[4:5]
	s_cbranch_vccnz .LBB83_213
; %bb.212:
	buffer_load_dword v42, v45, s[0:3], 0 offen
	buffer_load_dword v43, v45, s[0:3], 0 offen offset:4
	ds_read_b64 v[46:47], v44
	s_waitcnt vmcnt(0) lgkmcnt(0)
	v_mul_f64 v[42:43], v[42:43], v[46:47]
	s_cbranch_execz .LBB83_214
	s_branch .LBB83_215
.LBB83_213:
                                        ; implicit-def: $vgpr42_vgpr43
.LBB83_214:
	ds_read_b64 v[42:43], v44
.LBB83_215:
	v_cmp_ne_u32_e32 vcc, 3, v0
	s_and_saveexec_b64 s[8:9], vcc
	s_cbranch_execz .LBB83_219
; %bb.216:
	v_mov_b32_e32 v47, 0
	v_add_u32_e32 v46, 0xa8, v1
	v_add3_u32 v47, v1, v47, 8
	s_mov_b64 s[10:11], 0
	v_mov_b32_e32 v48, v0
.LBB83_217:                             ; =>This Inner Loop Header: Depth=1
	buffer_load_dword v50, v47, s[0:3], 0 offen
	buffer_load_dword v51, v47, s[0:3], 0 offen offset:4
	ds_read_b64 v[52:53], v46
	v_add_u32_e32 v48, 1, v48
	v_cmp_lt_u32_e32 vcc, 2, v48
	v_add_u32_e32 v46, 8, v46
	v_add_u32_e32 v47, 8, v47
	s_or_b64 s[10:11], vcc, s[10:11]
	s_waitcnt vmcnt(0) lgkmcnt(0)
	v_fmac_f64_e32 v[42:43], v[50:51], v[52:53]
	s_andn2_b64 exec, exec, s[10:11]
	s_cbranch_execnz .LBB83_217
; %bb.218:
	s_or_b64 exec, exec, s[10:11]
.LBB83_219:
	s_or_b64 exec, exec, s[8:9]
	v_mov_b32_e32 v46, 0
	ds_read_b64 v[46:47], v46 offset:32
	s_waitcnt lgkmcnt(0)
	v_mul_f64 v[42:43], v[42:43], v[46:47]
	buffer_store_dword v43, off, s[0:3], 0 offset:36
	buffer_store_dword v42, off, s[0:3], 0 offset:32
.LBB83_220:
	s_or_b64 exec, exec, s[6:7]
	buffer_load_dword v42, off, s[0:3], 0 offset:40
	buffer_load_dword v43, off, s[0:3], 0 offset:44
	v_cmp_gt_u32_e32 vcc, 5, v0
	s_waitcnt vmcnt(0)
	ds_write_b64 v44, v[42:43]
	s_waitcnt lgkmcnt(0)
	; wave barrier
	s_waitcnt lgkmcnt(0)
	s_and_saveexec_b64 s[6:7], vcc
	s_cbranch_execz .LBB83_230
; %bb.221:
	s_and_b64 vcc, exec, s[4:5]
	s_cbranch_vccnz .LBB83_223
; %bb.222:
	buffer_load_dword v42, v45, s[0:3], 0 offen
	buffer_load_dword v43, v45, s[0:3], 0 offen offset:4
	ds_read_b64 v[46:47], v44
	s_waitcnt vmcnt(0) lgkmcnt(0)
	v_mul_f64 v[42:43], v[42:43], v[46:47]
	s_cbranch_execz .LBB83_224
	s_branch .LBB83_225
.LBB83_223:
                                        ; implicit-def: $vgpr42_vgpr43
.LBB83_224:
	ds_read_b64 v[42:43], v44
.LBB83_225:
	v_cmp_ne_u32_e32 vcc, 4, v0
	s_and_saveexec_b64 s[8:9], vcc
	s_cbranch_execz .LBB83_229
; %bb.226:
	v_mov_b32_e32 v47, 0
	v_add_u32_e32 v46, 0xa8, v1
	v_add3_u32 v47, v1, v47, 8
	s_mov_b64 s[10:11], 0
	v_mov_b32_e32 v48, v0
.LBB83_227:                             ; =>This Inner Loop Header: Depth=1
	buffer_load_dword v50, v47, s[0:3], 0 offen
	buffer_load_dword v51, v47, s[0:3], 0 offen offset:4
	ds_read_b64 v[52:53], v46
	v_add_u32_e32 v48, 1, v48
	v_cmp_lt_u32_e32 vcc, 3, v48
	v_add_u32_e32 v46, 8, v46
	v_add_u32_e32 v47, 8, v47
	s_or_b64 s[10:11], vcc, s[10:11]
	s_waitcnt vmcnt(0) lgkmcnt(0)
	v_fmac_f64_e32 v[42:43], v[50:51], v[52:53]
	s_andn2_b64 exec, exec, s[10:11]
	s_cbranch_execnz .LBB83_227
; %bb.228:
	s_or_b64 exec, exec, s[10:11]
.LBB83_229:
	s_or_b64 exec, exec, s[8:9]
	v_mov_b32_e32 v46, 0
	ds_read_b64 v[46:47], v46 offset:40
	s_waitcnt lgkmcnt(0)
	v_mul_f64 v[42:43], v[42:43], v[46:47]
	buffer_store_dword v43, off, s[0:3], 0 offset:44
	buffer_store_dword v42, off, s[0:3], 0 offset:40
.LBB83_230:
	;; [unrolled: 60-line block ×14, first 2 shown]
	s_or_b64 exec, exec, s[6:7]
	buffer_load_dword v42, off, s[0:3], 0 offset:144
	buffer_load_dword v43, off, s[0:3], 0 offset:148
	v_cmp_gt_u32_e64 s[6:7], 18, v0
	s_waitcnt vmcnt(0)
	ds_write_b64 v44, v[42:43]
	s_waitcnt lgkmcnt(0)
	; wave barrier
	s_waitcnt lgkmcnt(0)
	s_and_saveexec_b64 s[8:9], s[6:7]
	s_cbranch_execz .LBB83_360
; %bb.351:
	s_and_b64 vcc, exec, s[4:5]
	s_cbranch_vccnz .LBB83_353
; %bb.352:
	buffer_load_dword v42, v45, s[0:3], 0 offen
	buffer_load_dword v43, v45, s[0:3], 0 offen offset:4
	ds_read_b64 v[46:47], v44
	s_waitcnt vmcnt(0) lgkmcnt(0)
	v_mul_f64 v[42:43], v[42:43], v[46:47]
	s_cbranch_execz .LBB83_354
	s_branch .LBB83_355
.LBB83_353:
                                        ; implicit-def: $vgpr42_vgpr43
.LBB83_354:
	ds_read_b64 v[42:43], v44
.LBB83_355:
	v_cmp_ne_u32_e32 vcc, 17, v0
	s_and_saveexec_b64 s[10:11], vcc
	s_cbranch_execz .LBB83_359
; %bb.356:
	v_mov_b32_e32 v47, 0
	v_add_u32_e32 v46, 0xa8, v1
	v_add3_u32 v47, v1, v47, 8
	s_mov_b64 s[12:13], 0
	v_mov_b32_e32 v48, v0
.LBB83_357:                             ; =>This Inner Loop Header: Depth=1
	buffer_load_dword v50, v47, s[0:3], 0 offen
	buffer_load_dword v51, v47, s[0:3], 0 offen offset:4
	ds_read_b64 v[52:53], v46
	v_add_u32_e32 v48, 1, v48
	v_cmp_lt_u32_e32 vcc, 16, v48
	v_add_u32_e32 v46, 8, v46
	v_add_u32_e32 v47, 8, v47
	s_or_b64 s[12:13], vcc, s[12:13]
	s_waitcnt vmcnt(0) lgkmcnt(0)
	v_fmac_f64_e32 v[42:43], v[50:51], v[52:53]
	s_andn2_b64 exec, exec, s[12:13]
	s_cbranch_execnz .LBB83_357
; %bb.358:
	s_or_b64 exec, exec, s[12:13]
.LBB83_359:
	s_or_b64 exec, exec, s[10:11]
	v_mov_b32_e32 v46, 0
	ds_read_b64 v[46:47], v46 offset:144
	s_waitcnt lgkmcnt(0)
	v_mul_f64 v[42:43], v[42:43], v[46:47]
	buffer_store_dword v43, off, s[0:3], 0 offset:148
	buffer_store_dword v42, off, s[0:3], 0 offset:144
.LBB83_360:
	s_or_b64 exec, exec, s[8:9]
	buffer_load_dword v42, off, s[0:3], 0 offset:152
	buffer_load_dword v43, off, s[0:3], 0 offset:156
	v_cmp_ne_u32_e32 vcc, 19, v0
	s_waitcnt vmcnt(0)
	ds_write_b64 v44, v[42:43]
	s_waitcnt lgkmcnt(0)
	; wave barrier
	s_waitcnt lgkmcnt(0)
	s_and_saveexec_b64 s[8:9], vcc
	s_cbranch_execz .LBB83_370
; %bb.361:
	s_and_b64 vcc, exec, s[4:5]
	s_cbranch_vccnz .LBB83_363
; %bb.362:
	buffer_load_dword v42, v45, s[0:3], 0 offen
	buffer_load_dword v43, v45, s[0:3], 0 offen offset:4
	ds_read_b64 v[46:47], v44
	s_waitcnt vmcnt(0) lgkmcnt(0)
	v_mul_f64 v[42:43], v[42:43], v[46:47]
	s_cbranch_execz .LBB83_364
	s_branch .LBB83_365
.LBB83_363:
                                        ; implicit-def: $vgpr42_vgpr43
.LBB83_364:
	ds_read_b64 v[42:43], v44
.LBB83_365:
	s_and_saveexec_b64 s[4:5], s[6:7]
	s_cbranch_execz .LBB83_369
; %bb.366:
	v_mov_b32_e32 v45, 0
	v_add_u32_e32 v44, 0xa8, v1
	v_add3_u32 v1, v1, v45, 8
	s_mov_b64 s[6:7], 0
.LBB83_367:                             ; =>This Inner Loop Header: Depth=1
	buffer_load_dword v46, v1, s[0:3], 0 offen
	buffer_load_dword v47, v1, s[0:3], 0 offen offset:4
	ds_read_b64 v[48:49], v44
	v_add_u32_e32 v0, 1, v0
	v_cmp_lt_u32_e32 vcc, 17, v0
	v_add_u32_e32 v44, 8, v44
	v_add_u32_e32 v1, 8, v1
	s_or_b64 s[6:7], vcc, s[6:7]
	s_waitcnt vmcnt(0) lgkmcnt(0)
	v_fmac_f64_e32 v[42:43], v[46:47], v[48:49]
	s_andn2_b64 exec, exec, s[6:7]
	s_cbranch_execnz .LBB83_367
; %bb.368:
	s_or_b64 exec, exec, s[6:7]
.LBB83_369:
	s_or_b64 exec, exec, s[4:5]
	v_mov_b32_e32 v0, 0
	ds_read_b64 v[0:1], v0 offset:152
	s_waitcnt lgkmcnt(0)
	v_mul_f64 v[0:1], v[42:43], v[0:1]
	buffer_store_dword v1, off, s[0:3], 0 offset:156
	buffer_store_dword v0, off, s[0:3], 0 offset:152
.LBB83_370:
	s_or_b64 exec, exec, s[8:9]
.LBB83_371:
	buffer_load_dword v0, off, s[0:3], 0
	buffer_load_dword v1, off, s[0:3], 0 offset:4
	buffer_load_dword v42, off, s[0:3], 0 offset:8
	;; [unrolled: 1-line block ×39, first 2 shown]
	s_waitcnt vmcnt(38)
	global_store_dwordx2 v[2:3], v[0:1], off
	s_waitcnt vmcnt(37)
	global_store_dwordx2 v[4:5], v[42:43], off
	;; [unrolled: 2-line block ×9, first 2 shown]
	global_store_dwordx2 v[20:21], v[56:57], off
	global_store_dwordx2 v[22:23], v[58:59], off
	;; [unrolled: 1-line block ×3, first 2 shown]
	s_waitcnt vmcnt(26)
	global_store_dwordx2 v[28:29], v[64:65], off
	s_waitcnt vmcnt(25)
	global_store_dwordx2 v[30:31], v[66:67], off
	;; [unrolled: 2-line block ×8, first 2 shown]
.LBB83_372:
	s_endpgm
	.section	.rodata,"a",@progbits
	.p2align	6, 0x0
	.amdhsa_kernel _ZN9rocsolver6v33100L18trti2_kernel_smallILi20EdPKPdEEv13rocblas_fill_17rocblas_diagonal_T1_iil
		.amdhsa_group_segment_fixed_size 320
		.amdhsa_private_segment_fixed_size 176
		.amdhsa_kernarg_size 32
		.amdhsa_user_sgpr_count 8
		.amdhsa_user_sgpr_private_segment_buffer 1
		.amdhsa_user_sgpr_dispatch_ptr 0
		.amdhsa_user_sgpr_queue_ptr 0
		.amdhsa_user_sgpr_kernarg_segment_ptr 1
		.amdhsa_user_sgpr_dispatch_id 0
		.amdhsa_user_sgpr_flat_scratch_init 1
		.amdhsa_user_sgpr_kernarg_preload_length 0
		.amdhsa_user_sgpr_kernarg_preload_offset 0
		.amdhsa_user_sgpr_private_segment_size 0
		.amdhsa_uses_dynamic_stack 0
		.amdhsa_system_sgpr_private_segment_wavefront_offset 1
		.amdhsa_system_sgpr_workgroup_id_x 1
		.amdhsa_system_sgpr_workgroup_id_y 0
		.amdhsa_system_sgpr_workgroup_id_z 0
		.amdhsa_system_sgpr_workgroup_info 0
		.amdhsa_system_vgpr_workitem_id 0
		.amdhsa_next_free_vgpr 80
		.amdhsa_next_free_sgpr 16
		.amdhsa_accum_offset 80
		.amdhsa_reserve_vcc 1
		.amdhsa_reserve_flat_scratch 0
		.amdhsa_float_round_mode_32 0
		.amdhsa_float_round_mode_16_64 0
		.amdhsa_float_denorm_mode_32 3
		.amdhsa_float_denorm_mode_16_64 3
		.amdhsa_dx10_clamp 1
		.amdhsa_ieee_mode 1
		.amdhsa_fp16_overflow 0
		.amdhsa_tg_split 0
		.amdhsa_exception_fp_ieee_invalid_op 0
		.amdhsa_exception_fp_denorm_src 0
		.amdhsa_exception_fp_ieee_div_zero 0
		.amdhsa_exception_fp_ieee_overflow 0
		.amdhsa_exception_fp_ieee_underflow 0
		.amdhsa_exception_fp_ieee_inexact 0
		.amdhsa_exception_int_div_zero 0
	.end_amdhsa_kernel
	.section	.text._ZN9rocsolver6v33100L18trti2_kernel_smallILi20EdPKPdEEv13rocblas_fill_17rocblas_diagonal_T1_iil,"axG",@progbits,_ZN9rocsolver6v33100L18trti2_kernel_smallILi20EdPKPdEEv13rocblas_fill_17rocblas_diagonal_T1_iil,comdat
.Lfunc_end83:
	.size	_ZN9rocsolver6v33100L18trti2_kernel_smallILi20EdPKPdEEv13rocblas_fill_17rocblas_diagonal_T1_iil, .Lfunc_end83-_ZN9rocsolver6v33100L18trti2_kernel_smallILi20EdPKPdEEv13rocblas_fill_17rocblas_diagonal_T1_iil
                                        ; -- End function
	.section	.AMDGPU.csdata,"",@progbits
; Kernel info:
; codeLenInByte = 11396
; NumSgprs: 20
; NumVgprs: 80
; NumAgprs: 0
; TotalNumVgprs: 80
; ScratchSize: 176
; MemoryBound: 0
; FloatMode: 240
; IeeeMode: 1
; LDSByteSize: 320 bytes/workgroup (compile time only)
; SGPRBlocks: 2
; VGPRBlocks: 9
; NumSGPRsForWavesPerEU: 20
; NumVGPRsForWavesPerEU: 80
; AccumOffset: 80
; Occupancy: 6
; WaveLimiterHint : 1
; COMPUTE_PGM_RSRC2:SCRATCH_EN: 1
; COMPUTE_PGM_RSRC2:USER_SGPR: 8
; COMPUTE_PGM_RSRC2:TRAP_HANDLER: 0
; COMPUTE_PGM_RSRC2:TGID_X_EN: 1
; COMPUTE_PGM_RSRC2:TGID_Y_EN: 0
; COMPUTE_PGM_RSRC2:TGID_Z_EN: 0
; COMPUTE_PGM_RSRC2:TIDIG_COMP_CNT: 0
; COMPUTE_PGM_RSRC3_GFX90A:ACCUM_OFFSET: 19
; COMPUTE_PGM_RSRC3_GFX90A:TG_SPLIT: 0
	.section	.text._ZN9rocsolver6v33100L18trti2_kernel_smallILi21EdPKPdEEv13rocblas_fill_17rocblas_diagonal_T1_iil,"axG",@progbits,_ZN9rocsolver6v33100L18trti2_kernel_smallILi21EdPKPdEEv13rocblas_fill_17rocblas_diagonal_T1_iil,comdat
	.globl	_ZN9rocsolver6v33100L18trti2_kernel_smallILi21EdPKPdEEv13rocblas_fill_17rocblas_diagonal_T1_iil ; -- Begin function _ZN9rocsolver6v33100L18trti2_kernel_smallILi21EdPKPdEEv13rocblas_fill_17rocblas_diagonal_T1_iil
	.p2align	8
	.type	_ZN9rocsolver6v33100L18trti2_kernel_smallILi21EdPKPdEEv13rocblas_fill_17rocblas_diagonal_T1_iil,@function
_ZN9rocsolver6v33100L18trti2_kernel_smallILi21EdPKPdEEv13rocblas_fill_17rocblas_diagonal_T1_iil: ; @_ZN9rocsolver6v33100L18trti2_kernel_smallILi21EdPKPdEEv13rocblas_fill_17rocblas_diagonal_T1_iil
; %bb.0:
	s_add_u32 s0, s0, s9
	s_addc_u32 s1, s1, 0
	v_cmp_gt_u32_e32 vcc, 21, v0
	s_and_saveexec_b64 s[6:7], vcc
	s_cbranch_execz .LBB84_392
; %bb.1:
	s_load_dwordx2 s[6:7], s[4:5], 0x10
	s_load_dwordx4 s[12:15], s[4:5], 0x0
	s_ashr_i32 s9, s8, 31
	s_lshl_b64 s[4:5], s[8:9], 3
	v_lshlrev_b32_e32 v1, 3, v0
	s_waitcnt lgkmcnt(0)
	s_ashr_i32 s9, s6, 31
	s_add_u32 s4, s14, s4
	s_addc_u32 s5, s15, s5
	s_load_dwordx2 s[4:5], s[4:5], 0x0
	s_mov_b32 s8, s6
	s_lshl_b64 s[8:9], s[8:9], 3
	s_waitcnt lgkmcnt(0)
	s_add_u32 s4, s4, s8
	s_addc_u32 s5, s5, s9
	v_mov_b32_e32 v3, s5
	v_add_co_u32_e32 v2, vcc, s4, v1
	s_ashr_i32 s9, s7, 31
	s_mov_b32 s8, s7
	s_add_i32 s6, s7, s7
	v_addc_co_u32_e32 v3, vcc, 0, v3, vcc
	s_lshl_b64 s[8:9], s[8:9], 3
	v_add_u32_e32 v8, s6, v0
	v_mov_b32_e32 v5, s9
	v_add_co_u32_e32 v4, vcc, s8, v2
	v_ashrrev_i32_e32 v9, 31, v8
	v_addc_co_u32_e32 v5, vcc, v3, v5, vcc
	v_lshlrev_b64 v[6:7], 3, v[8:9]
	v_add_u32_e32 v10, s7, v8
	v_mov_b32_e32 v9, s5
	v_add_co_u32_e32 v6, vcc, s4, v6
	v_ashrrev_i32_e32 v11, 31, v10
	v_addc_co_u32_e32 v7, vcc, v9, v7, vcc
	v_lshlrev_b64 v[8:9], 3, v[10:11]
	;; [unrolled: 6-line block ×17, first 2 shown]
	v_add_u32_e32 v42, s7, v40
	v_mov_b32_e32 v41, s5
	v_add_co_u32_e32 v38, vcc, s4, v38
	v_ashrrev_i32_e32 v43, 31, v42
	global_load_dwordx2 v[44:45], v1, s[4:5]
	global_load_dwordx2 v[52:53], v[4:5], off
	global_load_dwordx2 v[48:49], v[6:7], off
	;; [unrolled: 1-line block ×12, first 2 shown]
	v_addc_co_u32_e32 v39, vcc, v41, v39, vcc
	v_lshlrev_b64 v[40:41], 3, v[42:43]
	v_mov_b32_e32 v43, s5
	v_add_co_u32_e32 v40, vcc, s4, v40
	global_load_dwordx2 v[70:71], v[28:29], off
	global_load_dwordx2 v[72:73], v[30:31], off
	;; [unrolled: 1-line block ×4, first 2 shown]
	v_addc_co_u32_e32 v41, vcc, v43, v41, vcc
	global_load_dwordx2 v[78:79], v[36:37], off
	global_load_dwordx2 v[80:81], v[38:39], off
	;; [unrolled: 1-line block ×3, first 2 shown]
	v_add_u32_e32 v42, s7, v42
	v_ashrrev_i32_e32 v43, 31, v42
	v_lshlrev_b64 v[42:43], 3, v[42:43]
	v_mov_b32_e32 v84, s5
	v_add_co_u32_e32 v42, vcc, s4, v42
	v_addc_co_u32_e32 v43, vcc, v84, v43, vcc
	global_load_dwordx2 v[84:85], v[42:43], off
	s_waitcnt vmcnt(20)
	buffer_store_dword v45, off, s[0:3], 0 offset:4
	buffer_store_dword v44, off, s[0:3], 0
	s_waitcnt vmcnt(21)
	buffer_store_dword v53, off, s[0:3], 0 offset:12
	buffer_store_dword v52, off, s[0:3], 0 offset:8
	s_waitcnt vmcnt(22)
	buffer_store_dword v49, off, s[0:3], 0 offset:20
	buffer_store_dword v48, off, s[0:3], 0 offset:16
	;; [unrolled: 3-line block ×13, first 2 shown]
	s_cmpk_lg_i32 s13, 0x84
	v_mov_b32_e32 v44, 0
	v_mov_b32_e32 v65, 0
	s_cselect_b64 s[8:9], -1, 0
	s_cmpk_eq_i32 s13, 0x84
	v_mov_b32_e32 v45, 0xbff00000
	s_waitcnt vmcnt(34)
	buffer_store_dword v73, off, s[0:3], 0 offset:116
	buffer_store_dword v72, off, s[0:3], 0 offset:112
	s_waitcnt vmcnt(35)
	buffer_store_dword v74, off, s[0:3], 0 offset:120
	buffer_store_dword v75, off, s[0:3], 0 offset:124
	;; [unrolled: 3-line block ×7, first 2 shown]
	s_cbranch_scc1 .LBB84_3
; %bb.2:
	v_lshl_add_u32 v54, v0, 3, v65
	buffer_load_dword v44, v54, s[0:3], 0 offen
	buffer_load_dword v45, v54, s[0:3], 0 offen offset:4
	s_waitcnt vmcnt(0)
	v_div_scale_f64 v[46:47], s[4:5], v[44:45], v[44:45], 1.0
	v_rcp_f64_e32 v[48:49], v[46:47]
	v_div_scale_f64 v[50:51], vcc, 1.0, v[44:45], 1.0
	v_fma_f64 v[52:53], -v[46:47], v[48:49], 1.0
	v_fmac_f64_e32 v[48:49], v[48:49], v[52:53]
	v_fma_f64 v[52:53], -v[46:47], v[48:49], 1.0
	v_fmac_f64_e32 v[48:49], v[48:49], v[52:53]
	v_mul_f64 v[52:53], v[50:51], v[48:49]
	v_fma_f64 v[46:47], -v[46:47], v[52:53], v[50:51]
	v_div_fmas_f64 v[46:47], v[46:47], v[48:49], v[52:53]
	v_div_fixup_f64 v[44:45], v[46:47], v[44:45], 1.0
	buffer_store_dword v44, v54, s[0:3], 0 offen
	buffer_store_dword v45, v54, s[0:3], 0 offen offset:4
	v_xor_b32_e32 v45, 0x80000000, v45
.LBB84_3:
	s_cmpk_eq_i32 s12, 0x79
	v_add_u32_e32 v46, 0xb0, v1
	v_add_u32_e32 v47, 0, v1
	s_mov_b64 s[4:5], -1
	ds_write_b64 v1, v[44:45]
	s_cbranch_scc1 .LBB84_197
; %bb.4:
	buffer_load_dword v44, off, s[0:3], 0 offset:152
	buffer_load_dword v45, off, s[0:3], 0 offset:156
	v_cmp_eq_u32_e64 s[4:5], 20, v0
	s_waitcnt vmcnt(0)
	ds_write_b64 v46, v[44:45]
	s_waitcnt lgkmcnt(0)
	; wave barrier
	s_waitcnt lgkmcnt(0)
	s_and_saveexec_b64 s[6:7], s[4:5]
	s_cbranch_execz .LBB84_10
; %bb.5:
	s_and_b64 vcc, exec, s[8:9]
	s_cbranch_vccz .LBB84_7
; %bb.6:
	buffer_load_dword v44, v47, s[0:3], 0 offen
	buffer_load_dword v45, v47, s[0:3], 0 offen offset:4
	ds_read_b64 v[48:49], v46
	s_waitcnt vmcnt(0) lgkmcnt(0)
	v_mul_f64 v[44:45], v[44:45], v[48:49]
	s_cbranch_execz .LBB84_8
	s_branch .LBB84_9
.LBB84_7:
                                        ; implicit-def: $vgpr44_vgpr45
.LBB84_8:
	ds_read_b64 v[44:45], v46
.LBB84_9:
	v_mov_b32_e32 v48, 0
	ds_read_b64 v[48:49], v48 offset:152
	s_waitcnt lgkmcnt(0)
	v_mul_f64 v[44:45], v[44:45], v[48:49]
	buffer_store_dword v45, off, s[0:3], 0 offset:156
	buffer_store_dword v44, off, s[0:3], 0 offset:152
.LBB84_10:
	s_or_b64 exec, exec, s[6:7]
	buffer_load_dword v44, off, s[0:3], 0 offset:144
	buffer_load_dword v45, off, s[0:3], 0 offset:148
	v_or_b32_e32 v48, 8, v65
	v_add_u32_e32 v49, 16, v65
	v_add_u32_e32 v50, 24, v65
	;; [unrolled: 1-line block ×17, first 2 shown]
	v_cmp_lt_u32_e64 s[6:7], 18, v0
	s_waitcnt vmcnt(0)
	ds_write_b64 v46, v[44:45]
	s_waitcnt lgkmcnt(0)
	; wave barrier
	s_waitcnt lgkmcnt(0)
	s_and_saveexec_b64 s[10:11], s[6:7]
	s_cbranch_execz .LBB84_16
; %bb.11:
	s_andn2_b64 vcc, exec, s[8:9]
	s_cbranch_vccnz .LBB84_13
; %bb.12:
	buffer_load_dword v44, v47, s[0:3], 0 offen
	buffer_load_dword v45, v47, s[0:3], 0 offen offset:4
	ds_read_b64 v[66:67], v46
	s_waitcnt vmcnt(0) lgkmcnt(0)
	v_mul_f64 v[44:45], v[44:45], v[66:67]
	s_cbranch_execz .LBB84_14
	s_branch .LBB84_15
.LBB84_13:
                                        ; implicit-def: $vgpr44_vgpr45
.LBB84_14:
	ds_read_b64 v[44:45], v46
.LBB84_15:
	buffer_load_dword v70, off, s[0:3], 0 offset:152
	buffer_load_dword v71, off, s[0:3], 0 offset:156
	v_mov_b32_e32 v66, 0
	ds_read2_b64 v[66:69], v66 offset0:18 offset1:41
	s_waitcnt vmcnt(0) lgkmcnt(0)
	v_fma_f64 v[68:69], v[70:71], v[68:69], v[44:45]
	v_cndmask_b32_e64 v45, v45, v69, s[4:5]
	v_cndmask_b32_e64 v44, v44, v68, s[4:5]
	v_mul_f64 v[44:45], v[44:45], v[66:67]
	buffer_store_dword v45, off, s[0:3], 0 offset:148
	buffer_store_dword v44, off, s[0:3], 0 offset:144
.LBB84_16:
	s_or_b64 exec, exec, s[10:11]
	buffer_load_dword v44, off, s[0:3], 0 offset:136
	buffer_load_dword v45, off, s[0:3], 0 offset:140
	v_cmp_lt_u32_e64 s[4:5], 17, v0
	s_waitcnt vmcnt(0)
	ds_write_b64 v46, v[44:45]
	s_waitcnt lgkmcnt(0)
	; wave barrier
	s_waitcnt lgkmcnt(0)
	s_and_saveexec_b64 s[10:11], s[4:5]
	s_cbranch_execz .LBB84_26
; %bb.17:
	s_andn2_b64 vcc, exec, s[8:9]
	s_cbranch_vccnz .LBB84_19
; %bb.18:
	buffer_load_dword v44, v47, s[0:3], 0 offen
	buffer_load_dword v45, v47, s[0:3], 0 offen offset:4
	ds_read_b64 v[66:67], v46
	s_waitcnt vmcnt(0) lgkmcnt(0)
	v_mul_f64 v[44:45], v[44:45], v[66:67]
	s_cbranch_execz .LBB84_20
	s_branch .LBB84_21
.LBB84_19:
                                        ; implicit-def: $vgpr44_vgpr45
.LBB84_20:
	ds_read_b64 v[44:45], v46
.LBB84_21:
	s_and_saveexec_b64 s[12:13], s[6:7]
	s_cbranch_execz .LBB84_25
; %bb.22:
	v_subrev_u32_e32 v66, 18, v0
	s_movk_i32 s14, 0x140
	s_mov_b64 s[6:7], 0
.LBB84_23:                              ; =>This Inner Loop Header: Depth=1
	buffer_load_dword v68, v65, s[0:3], 0 offen
	buffer_load_dword v69, v65, s[0:3], 0 offen offset:4
	v_mov_b32_e32 v67, s14
	ds_read_b64 v[70:71], v67
	v_add_u32_e32 v66, -1, v66
	s_add_i32 s14, s14, 8
	v_cmp_eq_u32_e32 vcc, 0, v66
	v_add_u32_e32 v65, 8, v65
	s_or_b64 s[6:7], vcc, s[6:7]
	s_waitcnt vmcnt(0) lgkmcnt(0)
	v_fmac_f64_e32 v[44:45], v[68:69], v[70:71]
	s_andn2_b64 exec, exec, s[6:7]
	s_cbranch_execnz .LBB84_23
; %bb.24:
	s_or_b64 exec, exec, s[6:7]
.LBB84_25:
	s_or_b64 exec, exec, s[12:13]
	v_mov_b32_e32 v65, 0
	ds_read_b64 v[66:67], v65 offset:136
	s_waitcnt lgkmcnt(0)
	v_mul_f64 v[44:45], v[44:45], v[66:67]
	buffer_store_dword v45, off, s[0:3], 0 offset:140
	buffer_store_dword v44, off, s[0:3], 0 offset:136
.LBB84_26:
	s_or_b64 exec, exec, s[10:11]
	buffer_load_dword v44, off, s[0:3], 0 offset:128
	buffer_load_dword v45, off, s[0:3], 0 offset:132
	v_cmp_lt_u32_e64 s[6:7], 16, v0
	s_waitcnt vmcnt(0)
	ds_write_b64 v46, v[44:45]
	s_waitcnt lgkmcnt(0)
	; wave barrier
	s_waitcnt lgkmcnt(0)
	s_and_saveexec_b64 s[10:11], s[6:7]
	s_cbranch_execz .LBB84_36
; %bb.27:
	s_andn2_b64 vcc, exec, s[8:9]
	s_cbranch_vccnz .LBB84_29
; %bb.28:
	buffer_load_dword v44, v47, s[0:3], 0 offen
	buffer_load_dword v45, v47, s[0:3], 0 offen offset:4
	ds_read_b64 v[66:67], v46
	s_waitcnt vmcnt(0) lgkmcnt(0)
	v_mul_f64 v[44:45], v[44:45], v[66:67]
	s_cbranch_execz .LBB84_30
	s_branch .LBB84_31
.LBB84_29:
                                        ; implicit-def: $vgpr44_vgpr45
.LBB84_30:
	ds_read_b64 v[44:45], v46
.LBB84_31:
	s_and_saveexec_b64 s[12:13], s[4:5]
	s_cbranch_execz .LBB84_35
; %bb.32:
	v_subrev_u32_e32 v65, 17, v0
	s_movk_i32 s14, 0x138
	s_mov_b64 s[4:5], 0
.LBB84_33:                              ; =>This Inner Loop Header: Depth=1
	buffer_load_dword v66, v64, s[0:3], 0 offen
	buffer_load_dword v67, v64, s[0:3], 0 offen offset:4
	v_mov_b32_e32 v68, s14
	ds_read_b64 v[68:69], v68
	v_add_u32_e32 v65, -1, v65
	s_add_i32 s14, s14, 8
	v_cmp_eq_u32_e32 vcc, 0, v65
	v_add_u32_e32 v64, 8, v64
	s_or_b64 s[4:5], vcc, s[4:5]
	s_waitcnt vmcnt(0) lgkmcnt(0)
	v_fmac_f64_e32 v[44:45], v[66:67], v[68:69]
	s_andn2_b64 exec, exec, s[4:5]
	s_cbranch_execnz .LBB84_33
; %bb.34:
	s_or_b64 exec, exec, s[4:5]
.LBB84_35:
	s_or_b64 exec, exec, s[12:13]
	v_mov_b32_e32 v64, 0
	ds_read_b64 v[64:65], v64 offset:128
	s_waitcnt lgkmcnt(0)
	v_mul_f64 v[44:45], v[44:45], v[64:65]
	buffer_store_dword v45, off, s[0:3], 0 offset:132
	buffer_store_dword v44, off, s[0:3], 0 offset:128
.LBB84_36:
	s_or_b64 exec, exec, s[10:11]
	buffer_load_dword v44, off, s[0:3], 0 offset:120
	buffer_load_dword v45, off, s[0:3], 0 offset:124
	v_cmp_lt_u32_e64 s[4:5], 15, v0
	s_waitcnt vmcnt(0)
	ds_write_b64 v46, v[44:45]
	s_waitcnt lgkmcnt(0)
	; wave barrier
	s_waitcnt lgkmcnt(0)
	s_and_saveexec_b64 s[10:11], s[4:5]
	s_cbranch_execz .LBB84_46
; %bb.37:
	s_andn2_b64 vcc, exec, s[8:9]
	s_cbranch_vccnz .LBB84_39
; %bb.38:
	buffer_load_dword v44, v47, s[0:3], 0 offen
	buffer_load_dword v45, v47, s[0:3], 0 offen offset:4
	ds_read_b64 v[64:65], v46
	s_waitcnt vmcnt(0) lgkmcnt(0)
	v_mul_f64 v[44:45], v[44:45], v[64:65]
	s_cbranch_execz .LBB84_40
	s_branch .LBB84_41
.LBB84_39:
                                        ; implicit-def: $vgpr44_vgpr45
.LBB84_40:
	ds_read_b64 v[44:45], v46
.LBB84_41:
	s_and_saveexec_b64 s[12:13], s[6:7]
	s_cbranch_execz .LBB84_45
; %bb.42:
	v_add_u32_e32 v64, -16, v0
	s_movk_i32 s14, 0x130
	s_mov_b64 s[6:7], 0
.LBB84_43:                              ; =>This Inner Loop Header: Depth=1
	buffer_load_dword v66, v63, s[0:3], 0 offen
	buffer_load_dword v67, v63, s[0:3], 0 offen offset:4
	v_mov_b32_e32 v65, s14
	ds_read_b64 v[68:69], v65
	v_add_u32_e32 v64, -1, v64
	s_add_i32 s14, s14, 8
	v_cmp_eq_u32_e32 vcc, 0, v64
	v_add_u32_e32 v63, 8, v63
	s_or_b64 s[6:7], vcc, s[6:7]
	s_waitcnt vmcnt(0) lgkmcnt(0)
	v_fmac_f64_e32 v[44:45], v[66:67], v[68:69]
	s_andn2_b64 exec, exec, s[6:7]
	s_cbranch_execnz .LBB84_43
; %bb.44:
	s_or_b64 exec, exec, s[6:7]
.LBB84_45:
	s_or_b64 exec, exec, s[12:13]
	v_mov_b32_e32 v63, 0
	ds_read_b64 v[64:65], v63 offset:120
	s_waitcnt lgkmcnt(0)
	v_mul_f64 v[44:45], v[44:45], v[64:65]
	buffer_store_dword v45, off, s[0:3], 0 offset:124
	buffer_store_dword v44, off, s[0:3], 0 offset:120
.LBB84_46:
	s_or_b64 exec, exec, s[10:11]
	buffer_load_dword v44, off, s[0:3], 0 offset:112
	buffer_load_dword v45, off, s[0:3], 0 offset:116
	v_cmp_lt_u32_e64 s[6:7], 14, v0
	s_waitcnt vmcnt(0)
	ds_write_b64 v46, v[44:45]
	s_waitcnt lgkmcnt(0)
	; wave barrier
	s_waitcnt lgkmcnt(0)
	s_and_saveexec_b64 s[10:11], s[6:7]
	s_cbranch_execz .LBB84_56
; %bb.47:
	s_andn2_b64 vcc, exec, s[8:9]
	s_cbranch_vccnz .LBB84_49
; %bb.48:
	buffer_load_dword v44, v47, s[0:3], 0 offen
	buffer_load_dword v45, v47, s[0:3], 0 offen offset:4
	ds_read_b64 v[64:65], v46
	s_waitcnt vmcnt(0) lgkmcnt(0)
	v_mul_f64 v[44:45], v[44:45], v[64:65]
	s_cbranch_execz .LBB84_50
	s_branch .LBB84_51
.LBB84_49:
                                        ; implicit-def: $vgpr44_vgpr45
.LBB84_50:
	ds_read_b64 v[44:45], v46
.LBB84_51:
	s_and_saveexec_b64 s[12:13], s[4:5]
	s_cbranch_execz .LBB84_55
; %bb.52:
	v_add_u32_e32 v63, -15, v0
	s_movk_i32 s14, 0x128
	s_mov_b64 s[4:5], 0
.LBB84_53:                              ; =>This Inner Loop Header: Depth=1
	buffer_load_dword v64, v62, s[0:3], 0 offen
	buffer_load_dword v65, v62, s[0:3], 0 offen offset:4
	v_mov_b32_e32 v66, s14
	ds_read_b64 v[66:67], v66
	v_add_u32_e32 v63, -1, v63
	s_add_i32 s14, s14, 8
	v_cmp_eq_u32_e32 vcc, 0, v63
	v_add_u32_e32 v62, 8, v62
	s_or_b64 s[4:5], vcc, s[4:5]
	s_waitcnt vmcnt(0) lgkmcnt(0)
	v_fmac_f64_e32 v[44:45], v[64:65], v[66:67]
	s_andn2_b64 exec, exec, s[4:5]
	s_cbranch_execnz .LBB84_53
; %bb.54:
	s_or_b64 exec, exec, s[4:5]
.LBB84_55:
	s_or_b64 exec, exec, s[12:13]
	v_mov_b32_e32 v62, 0
	ds_read_b64 v[62:63], v62 offset:112
	s_waitcnt lgkmcnt(0)
	v_mul_f64 v[44:45], v[44:45], v[62:63]
	buffer_store_dword v45, off, s[0:3], 0 offset:116
	buffer_store_dword v44, off, s[0:3], 0 offset:112
.LBB84_56:
	;; [unrolled: 58-line block ×6, first 2 shown]
	s_or_b64 exec, exec, s[10:11]
	buffer_load_dword v44, off, s[0:3], 0 offset:72
	buffer_load_dword v45, off, s[0:3], 0 offset:76
	v_cmp_lt_u32_e64 s[4:5], 9, v0
	s_waitcnt vmcnt(0)
	ds_write_b64 v46, v[44:45]
	s_waitcnt lgkmcnt(0)
	; wave barrier
	s_waitcnt lgkmcnt(0)
	s_and_saveexec_b64 s[10:11], s[4:5]
	s_cbranch_execz .LBB84_106
; %bb.97:
	s_andn2_b64 vcc, exec, s[8:9]
	s_cbranch_vccnz .LBB84_99
; %bb.98:
	buffer_load_dword v44, v47, s[0:3], 0 offen
	buffer_load_dword v45, v47, s[0:3], 0 offen offset:4
	ds_read_b64 v[58:59], v46
	s_waitcnt vmcnt(0) lgkmcnt(0)
	v_mul_f64 v[44:45], v[44:45], v[58:59]
	s_cbranch_execz .LBB84_100
	s_branch .LBB84_101
.LBB84_99:
                                        ; implicit-def: $vgpr44_vgpr45
.LBB84_100:
	ds_read_b64 v[44:45], v46
.LBB84_101:
	s_and_saveexec_b64 s[12:13], s[6:7]
	s_cbranch_execz .LBB84_105
; %bb.102:
	v_add_u32_e32 v58, -10, v0
	s_movk_i32 s14, 0x100
	s_mov_b64 s[6:7], 0
.LBB84_103:                             ; =>This Inner Loop Header: Depth=1
	buffer_load_dword v60, v57, s[0:3], 0 offen
	buffer_load_dword v61, v57, s[0:3], 0 offen offset:4
	v_mov_b32_e32 v59, s14
	ds_read_b64 v[62:63], v59
	v_add_u32_e32 v58, -1, v58
	s_add_i32 s14, s14, 8
	v_cmp_eq_u32_e32 vcc, 0, v58
	v_add_u32_e32 v57, 8, v57
	s_or_b64 s[6:7], vcc, s[6:7]
	s_waitcnt vmcnt(0) lgkmcnt(0)
	v_fmac_f64_e32 v[44:45], v[60:61], v[62:63]
	s_andn2_b64 exec, exec, s[6:7]
	s_cbranch_execnz .LBB84_103
; %bb.104:
	s_or_b64 exec, exec, s[6:7]
.LBB84_105:
	s_or_b64 exec, exec, s[12:13]
	v_mov_b32_e32 v57, 0
	ds_read_b64 v[58:59], v57 offset:72
	s_waitcnt lgkmcnt(0)
	v_mul_f64 v[44:45], v[44:45], v[58:59]
	buffer_store_dword v45, off, s[0:3], 0 offset:76
	buffer_store_dword v44, off, s[0:3], 0 offset:72
.LBB84_106:
	s_or_b64 exec, exec, s[10:11]
	buffer_load_dword v44, off, s[0:3], 0 offset:64
	buffer_load_dword v45, off, s[0:3], 0 offset:68
	v_cmp_lt_u32_e64 s[6:7], 8, v0
	s_waitcnt vmcnt(0)
	ds_write_b64 v46, v[44:45]
	s_waitcnt lgkmcnt(0)
	; wave barrier
	s_waitcnt lgkmcnt(0)
	s_and_saveexec_b64 s[10:11], s[6:7]
	s_cbranch_execz .LBB84_116
; %bb.107:
	s_andn2_b64 vcc, exec, s[8:9]
	s_cbranch_vccnz .LBB84_109
; %bb.108:
	buffer_load_dword v44, v47, s[0:3], 0 offen
	buffer_load_dword v45, v47, s[0:3], 0 offen offset:4
	ds_read_b64 v[58:59], v46
	s_waitcnt vmcnt(0) lgkmcnt(0)
	v_mul_f64 v[44:45], v[44:45], v[58:59]
	s_cbranch_execz .LBB84_110
	s_branch .LBB84_111
.LBB84_109:
                                        ; implicit-def: $vgpr44_vgpr45
.LBB84_110:
	ds_read_b64 v[44:45], v46
.LBB84_111:
	s_and_saveexec_b64 s[12:13], s[4:5]
	s_cbranch_execz .LBB84_115
; %bb.112:
	v_add_u32_e32 v57, -9, v0
	s_movk_i32 s14, 0xf8
	s_mov_b64 s[4:5], 0
.LBB84_113:                             ; =>This Inner Loop Header: Depth=1
	buffer_load_dword v58, v56, s[0:3], 0 offen
	buffer_load_dword v59, v56, s[0:3], 0 offen offset:4
	v_mov_b32_e32 v60, s14
	ds_read_b64 v[60:61], v60
	v_add_u32_e32 v57, -1, v57
	s_add_i32 s14, s14, 8
	v_cmp_eq_u32_e32 vcc, 0, v57
	v_add_u32_e32 v56, 8, v56
	s_or_b64 s[4:5], vcc, s[4:5]
	s_waitcnt vmcnt(0) lgkmcnt(0)
	v_fmac_f64_e32 v[44:45], v[58:59], v[60:61]
	s_andn2_b64 exec, exec, s[4:5]
	s_cbranch_execnz .LBB84_113
; %bb.114:
	s_or_b64 exec, exec, s[4:5]
.LBB84_115:
	s_or_b64 exec, exec, s[12:13]
	v_mov_b32_e32 v56, 0
	ds_read_b64 v[56:57], v56 offset:64
	s_waitcnt lgkmcnt(0)
	v_mul_f64 v[44:45], v[44:45], v[56:57]
	buffer_store_dword v45, off, s[0:3], 0 offset:68
	buffer_store_dword v44, off, s[0:3], 0 offset:64
.LBB84_116:
	;; [unrolled: 58-line block ×9, first 2 shown]
	s_or_b64 exec, exec, s[10:11]
	buffer_load_dword v44, off, s[0:3], 0
	buffer_load_dword v45, off, s[0:3], 0 offset:4
	v_cmp_ne_u32_e32 vcc, 0, v0
	s_waitcnt vmcnt(0)
	ds_write_b64 v46, v[44:45]
	s_waitcnt lgkmcnt(0)
	; wave barrier
	s_waitcnt lgkmcnt(0)
	s_and_saveexec_b64 s[6:7], vcc
	s_cbranch_execz .LBB84_196
; %bb.187:
	s_andn2_b64 vcc, exec, s[8:9]
	s_cbranch_vccnz .LBB84_189
; %bb.188:
	buffer_load_dword v44, v47, s[0:3], 0 offen
	buffer_load_dword v45, v47, s[0:3], 0 offen offset:4
	ds_read_b64 v[50:51], v46
	s_waitcnt vmcnt(0) lgkmcnt(0)
	v_mul_f64 v[44:45], v[44:45], v[50:51]
	s_cbranch_execz .LBB84_190
	s_branch .LBB84_191
.LBB84_189:
                                        ; implicit-def: $vgpr44_vgpr45
.LBB84_190:
	ds_read_b64 v[44:45], v46
.LBB84_191:
	s_and_saveexec_b64 s[10:11], s[4:5]
	s_cbranch_execz .LBB84_195
; %bb.192:
	v_add_u32_e32 v49, -1, v0
	s_movk_i32 s12, 0xb8
	s_mov_b64 s[4:5], 0
.LBB84_193:                             ; =>This Inner Loop Header: Depth=1
	buffer_load_dword v50, v48, s[0:3], 0 offen
	buffer_load_dword v51, v48, s[0:3], 0 offen offset:4
	v_mov_b32_e32 v52, s12
	ds_read_b64 v[52:53], v52
	v_add_u32_e32 v49, -1, v49
	s_add_i32 s12, s12, 8
	v_cmp_eq_u32_e32 vcc, 0, v49
	v_add_u32_e32 v48, 8, v48
	s_or_b64 s[4:5], vcc, s[4:5]
	s_waitcnt vmcnt(0) lgkmcnt(0)
	v_fmac_f64_e32 v[44:45], v[50:51], v[52:53]
	s_andn2_b64 exec, exec, s[4:5]
	s_cbranch_execnz .LBB84_193
; %bb.194:
	s_or_b64 exec, exec, s[4:5]
.LBB84_195:
	s_or_b64 exec, exec, s[10:11]
	v_mov_b32_e32 v48, 0
	ds_read_b64 v[48:49], v48
	s_waitcnt lgkmcnt(0)
	v_mul_f64 v[44:45], v[44:45], v[48:49]
	buffer_store_dword v45, off, s[0:3], 0 offset:4
	buffer_store_dword v44, off, s[0:3], 0
.LBB84_196:
	s_or_b64 exec, exec, s[6:7]
	s_mov_b64 s[4:5], 0
.LBB84_197:
	s_and_b64 vcc, exec, s[4:5]
	s_cbranch_vccz .LBB84_391
; %bb.198:
	buffer_load_dword v44, off, s[0:3], 0 offset:8
	buffer_load_dword v45, off, s[0:3], 0 offset:12
	v_cmp_eq_u32_e64 s[6:7], 0, v0
	s_waitcnt vmcnt(0)
	ds_write_b64 v46, v[44:45]
	s_waitcnt lgkmcnt(0)
	; wave barrier
	s_waitcnt lgkmcnt(0)
	s_and_saveexec_b64 s[4:5], s[6:7]
	s_cbranch_execz .LBB84_204
; %bb.199:
	s_and_b64 vcc, exec, s[8:9]
	s_cbranch_vccz .LBB84_201
; %bb.200:
	buffer_load_dword v44, v47, s[0:3], 0 offen
	buffer_load_dword v45, v47, s[0:3], 0 offen offset:4
	ds_read_b64 v[48:49], v46
	s_waitcnt vmcnt(0) lgkmcnt(0)
	v_mul_f64 v[44:45], v[44:45], v[48:49]
	s_cbranch_execz .LBB84_202
	s_branch .LBB84_203
.LBB84_201:
                                        ; implicit-def: $vgpr44_vgpr45
.LBB84_202:
	ds_read_b64 v[44:45], v46
.LBB84_203:
	v_mov_b32_e32 v48, 0
	ds_read_b64 v[48:49], v48 offset:8
	s_waitcnt lgkmcnt(0)
	v_mul_f64 v[44:45], v[44:45], v[48:49]
	buffer_store_dword v45, off, s[0:3], 0 offset:12
	buffer_store_dword v44, off, s[0:3], 0 offset:8
.LBB84_204:
	s_or_b64 exec, exec, s[4:5]
	buffer_load_dword v44, off, s[0:3], 0 offset:16
	buffer_load_dword v45, off, s[0:3], 0 offset:20
	v_cndmask_b32_e64 v48, 0, 1, s[8:9]
	v_cmp_gt_u32_e32 vcc, 2, v0
	v_cmp_ne_u32_e64 s[4:5], 1, v48
	s_waitcnt vmcnt(0)
	ds_write_b64 v46, v[44:45]
	s_waitcnt lgkmcnt(0)
	; wave barrier
	s_waitcnt lgkmcnt(0)
	s_and_saveexec_b64 s[8:9], vcc
	s_cbranch_execz .LBB84_212
; %bb.205:
	s_and_b64 vcc, exec, s[4:5]
	s_cbranch_vccnz .LBB84_207
; %bb.206:
	buffer_load_dword v44, v47, s[0:3], 0 offen
	buffer_load_dword v45, v47, s[0:3], 0 offen offset:4
	ds_read_b64 v[48:49], v46
	s_waitcnt vmcnt(0) lgkmcnt(0)
	v_mul_f64 v[44:45], v[44:45], v[48:49]
	s_cbranch_execz .LBB84_208
	s_branch .LBB84_209
.LBB84_207:
                                        ; implicit-def: $vgpr44_vgpr45
.LBB84_208:
	ds_read_b64 v[44:45], v46
.LBB84_209:
	s_and_saveexec_b64 s[10:11], s[6:7]
	s_cbranch_execz .LBB84_211
; %bb.210:
	buffer_load_dword v48, v47, s[0:3], 0 offen offset:8
	buffer_load_dword v49, v47, s[0:3], 0 offen offset:12
	ds_read_b64 v[50:51], v46 offset:8
	s_waitcnt vmcnt(0) lgkmcnt(0)
	v_fmac_f64_e32 v[44:45], v[48:49], v[50:51]
.LBB84_211:
	s_or_b64 exec, exec, s[10:11]
	v_mov_b32_e32 v48, 0
	ds_read_b64 v[48:49], v48 offset:16
	s_waitcnt lgkmcnt(0)
	v_mul_f64 v[44:45], v[44:45], v[48:49]
	buffer_store_dword v45, off, s[0:3], 0 offset:20
	buffer_store_dword v44, off, s[0:3], 0 offset:16
.LBB84_212:
	s_or_b64 exec, exec, s[8:9]
	buffer_load_dword v44, off, s[0:3], 0 offset:24
	buffer_load_dword v45, off, s[0:3], 0 offset:28
	v_cmp_gt_u32_e32 vcc, 3, v0
	s_waitcnt vmcnt(0)
	ds_write_b64 v46, v[44:45]
	s_waitcnt lgkmcnt(0)
	; wave barrier
	s_waitcnt lgkmcnt(0)
	s_and_saveexec_b64 s[8:9], vcc
	s_cbranch_execz .LBB84_220
; %bb.213:
	s_and_b64 vcc, exec, s[4:5]
	s_cbranch_vccnz .LBB84_215
; %bb.214:
	buffer_load_dword v44, v47, s[0:3], 0 offen
	buffer_load_dword v45, v47, s[0:3], 0 offen offset:4
	ds_read_b64 v[48:49], v46
	s_waitcnt vmcnt(0) lgkmcnt(0)
	v_mul_f64 v[44:45], v[44:45], v[48:49]
	s_cbranch_execz .LBB84_216
	s_branch .LBB84_217
.LBB84_215:
                                        ; implicit-def: $vgpr44_vgpr45
.LBB84_216:
	ds_read_b64 v[44:45], v46
.LBB84_217:
	v_cmp_ne_u32_e32 vcc, 2, v0
	s_and_saveexec_b64 s[10:11], vcc
	s_cbranch_execz .LBB84_219
; %bb.218:
	buffer_load_dword v49, v47, s[0:3], 0 offen offset:12
	buffer_load_dword v50, off, s[0:3], 0 offset:16
	buffer_load_dword v48, v47, s[0:3], 0 offen offset:8
	buffer_load_dword v51, off, s[0:3], 0 offset:20
	v_mov_b32_e32 v54, 0
	ds_read_b64 v[52:53], v46 offset:8
	ds_read_b64 v[54:55], v54 offset:192
	s_waitcnt vmcnt(1) lgkmcnt(1)
	v_fmac_f64_e32 v[44:45], v[48:49], v[52:53]
	s_waitcnt vmcnt(0) lgkmcnt(0)
	v_fma_f64 v[48:49], v[50:51], v[54:55], v[44:45]
	v_cndmask_b32_e64 v45, v45, v49, s[6:7]
	v_cndmask_b32_e64 v44, v44, v48, s[6:7]
.LBB84_219:
	s_or_b64 exec, exec, s[10:11]
	v_mov_b32_e32 v48, 0
	ds_read_b64 v[48:49], v48 offset:24
	s_waitcnt lgkmcnt(0)
	v_mul_f64 v[44:45], v[44:45], v[48:49]
	buffer_store_dword v45, off, s[0:3], 0 offset:28
	buffer_store_dword v44, off, s[0:3], 0 offset:24
.LBB84_220:
	s_or_b64 exec, exec, s[8:9]
	buffer_load_dword v44, off, s[0:3], 0 offset:32
	buffer_load_dword v45, off, s[0:3], 0 offset:36
	v_cmp_gt_u32_e32 vcc, 4, v0
	s_waitcnt vmcnt(0)
	ds_write_b64 v46, v[44:45]
	s_waitcnt lgkmcnt(0)
	; wave barrier
	s_waitcnt lgkmcnt(0)
	s_and_saveexec_b64 s[6:7], vcc
	s_cbranch_execz .LBB84_230
; %bb.221:
	s_and_b64 vcc, exec, s[4:5]
	s_cbranch_vccnz .LBB84_223
; %bb.222:
	buffer_load_dword v44, v47, s[0:3], 0 offen
	buffer_load_dword v45, v47, s[0:3], 0 offen offset:4
	ds_read_b64 v[48:49], v46
	s_waitcnt vmcnt(0) lgkmcnt(0)
	v_mul_f64 v[44:45], v[44:45], v[48:49]
	s_cbranch_execz .LBB84_224
	s_branch .LBB84_225
.LBB84_223:
                                        ; implicit-def: $vgpr44_vgpr45
.LBB84_224:
	ds_read_b64 v[44:45], v46
.LBB84_225:
	v_cmp_ne_u32_e32 vcc, 3, v0
	s_and_saveexec_b64 s[8:9], vcc
	s_cbranch_execz .LBB84_229
; %bb.226:
	v_mov_b32_e32 v49, 0
	v_add_u32_e32 v48, 0xb8, v1
	v_add3_u32 v49, v1, v49, 8
	s_mov_b64 s[10:11], 0
	v_mov_b32_e32 v50, v0
.LBB84_227:                             ; =>This Inner Loop Header: Depth=1
	buffer_load_dword v52, v49, s[0:3], 0 offen
	buffer_load_dword v53, v49, s[0:3], 0 offen offset:4
	ds_read_b64 v[54:55], v48
	v_add_u32_e32 v50, 1, v50
	v_cmp_lt_u32_e32 vcc, 2, v50
	v_add_u32_e32 v48, 8, v48
	v_add_u32_e32 v49, 8, v49
	s_or_b64 s[10:11], vcc, s[10:11]
	s_waitcnt vmcnt(0) lgkmcnt(0)
	v_fmac_f64_e32 v[44:45], v[52:53], v[54:55]
	s_andn2_b64 exec, exec, s[10:11]
	s_cbranch_execnz .LBB84_227
; %bb.228:
	s_or_b64 exec, exec, s[10:11]
.LBB84_229:
	s_or_b64 exec, exec, s[8:9]
	v_mov_b32_e32 v48, 0
	ds_read_b64 v[48:49], v48 offset:32
	s_waitcnt lgkmcnt(0)
	v_mul_f64 v[44:45], v[44:45], v[48:49]
	buffer_store_dword v45, off, s[0:3], 0 offset:36
	buffer_store_dword v44, off, s[0:3], 0 offset:32
.LBB84_230:
	s_or_b64 exec, exec, s[6:7]
	buffer_load_dword v44, off, s[0:3], 0 offset:40
	buffer_load_dword v45, off, s[0:3], 0 offset:44
	v_cmp_gt_u32_e32 vcc, 5, v0
	s_waitcnt vmcnt(0)
	ds_write_b64 v46, v[44:45]
	s_waitcnt lgkmcnt(0)
	; wave barrier
	s_waitcnt lgkmcnt(0)
	s_and_saveexec_b64 s[6:7], vcc
	s_cbranch_execz .LBB84_240
; %bb.231:
	s_and_b64 vcc, exec, s[4:5]
	s_cbranch_vccnz .LBB84_233
; %bb.232:
	buffer_load_dword v44, v47, s[0:3], 0 offen
	buffer_load_dword v45, v47, s[0:3], 0 offen offset:4
	ds_read_b64 v[48:49], v46
	s_waitcnt vmcnt(0) lgkmcnt(0)
	v_mul_f64 v[44:45], v[44:45], v[48:49]
	s_cbranch_execz .LBB84_234
	s_branch .LBB84_235
.LBB84_233:
                                        ; implicit-def: $vgpr44_vgpr45
.LBB84_234:
	ds_read_b64 v[44:45], v46
.LBB84_235:
	v_cmp_ne_u32_e32 vcc, 4, v0
	s_and_saveexec_b64 s[8:9], vcc
	s_cbranch_execz .LBB84_239
; %bb.236:
	v_mov_b32_e32 v49, 0
	v_add_u32_e32 v48, 0xb8, v1
	v_add3_u32 v49, v1, v49, 8
	s_mov_b64 s[10:11], 0
	v_mov_b32_e32 v50, v0
.LBB84_237:                             ; =>This Inner Loop Header: Depth=1
	buffer_load_dword v52, v49, s[0:3], 0 offen
	buffer_load_dword v53, v49, s[0:3], 0 offen offset:4
	ds_read_b64 v[54:55], v48
	v_add_u32_e32 v50, 1, v50
	v_cmp_lt_u32_e32 vcc, 3, v50
	v_add_u32_e32 v48, 8, v48
	v_add_u32_e32 v49, 8, v49
	s_or_b64 s[10:11], vcc, s[10:11]
	s_waitcnt vmcnt(0) lgkmcnt(0)
	v_fmac_f64_e32 v[44:45], v[52:53], v[54:55]
	s_andn2_b64 exec, exec, s[10:11]
	s_cbranch_execnz .LBB84_237
; %bb.238:
	s_or_b64 exec, exec, s[10:11]
.LBB84_239:
	s_or_b64 exec, exec, s[8:9]
	v_mov_b32_e32 v48, 0
	ds_read_b64 v[48:49], v48 offset:40
	s_waitcnt lgkmcnt(0)
	v_mul_f64 v[44:45], v[44:45], v[48:49]
	buffer_store_dword v45, off, s[0:3], 0 offset:44
	buffer_store_dword v44, off, s[0:3], 0 offset:40
.LBB84_240:
	;; [unrolled: 60-line block ×15, first 2 shown]
	s_or_b64 exec, exec, s[6:7]
	buffer_load_dword v44, off, s[0:3], 0 offset:152
	buffer_load_dword v45, off, s[0:3], 0 offset:156
	v_cmp_gt_u32_e64 s[6:7], 19, v0
	s_waitcnt vmcnt(0)
	ds_write_b64 v46, v[44:45]
	s_waitcnt lgkmcnt(0)
	; wave barrier
	s_waitcnt lgkmcnt(0)
	s_and_saveexec_b64 s[8:9], s[6:7]
	s_cbranch_execz .LBB84_380
; %bb.371:
	s_and_b64 vcc, exec, s[4:5]
	s_cbranch_vccnz .LBB84_373
; %bb.372:
	buffer_load_dword v44, v47, s[0:3], 0 offen
	buffer_load_dword v45, v47, s[0:3], 0 offen offset:4
	ds_read_b64 v[48:49], v46
	s_waitcnt vmcnt(0) lgkmcnt(0)
	v_mul_f64 v[44:45], v[44:45], v[48:49]
	s_cbranch_execz .LBB84_374
	s_branch .LBB84_375
.LBB84_373:
                                        ; implicit-def: $vgpr44_vgpr45
.LBB84_374:
	ds_read_b64 v[44:45], v46
.LBB84_375:
	v_cmp_ne_u32_e32 vcc, 18, v0
	s_and_saveexec_b64 s[10:11], vcc
	s_cbranch_execz .LBB84_379
; %bb.376:
	v_mov_b32_e32 v49, 0
	v_add_u32_e32 v48, 0xb8, v1
	v_add3_u32 v49, v1, v49, 8
	s_mov_b64 s[12:13], 0
	v_mov_b32_e32 v50, v0
.LBB84_377:                             ; =>This Inner Loop Header: Depth=1
	buffer_load_dword v52, v49, s[0:3], 0 offen
	buffer_load_dword v53, v49, s[0:3], 0 offen offset:4
	ds_read_b64 v[54:55], v48
	v_add_u32_e32 v50, 1, v50
	v_cmp_lt_u32_e32 vcc, 17, v50
	v_add_u32_e32 v48, 8, v48
	v_add_u32_e32 v49, 8, v49
	s_or_b64 s[12:13], vcc, s[12:13]
	s_waitcnt vmcnt(0) lgkmcnt(0)
	v_fmac_f64_e32 v[44:45], v[52:53], v[54:55]
	s_andn2_b64 exec, exec, s[12:13]
	s_cbranch_execnz .LBB84_377
; %bb.378:
	s_or_b64 exec, exec, s[12:13]
.LBB84_379:
	s_or_b64 exec, exec, s[10:11]
	v_mov_b32_e32 v48, 0
	ds_read_b64 v[48:49], v48 offset:152
	s_waitcnt lgkmcnt(0)
	v_mul_f64 v[44:45], v[44:45], v[48:49]
	buffer_store_dword v45, off, s[0:3], 0 offset:156
	buffer_store_dword v44, off, s[0:3], 0 offset:152
.LBB84_380:
	s_or_b64 exec, exec, s[8:9]
	buffer_load_dword v44, off, s[0:3], 0 offset:160
	buffer_load_dword v45, off, s[0:3], 0 offset:164
	v_cmp_ne_u32_e32 vcc, 20, v0
	s_waitcnt vmcnt(0)
	ds_write_b64 v46, v[44:45]
	s_waitcnt lgkmcnt(0)
	; wave barrier
	s_waitcnt lgkmcnt(0)
	s_and_saveexec_b64 s[8:9], vcc
	s_cbranch_execz .LBB84_390
; %bb.381:
	s_and_b64 vcc, exec, s[4:5]
	s_cbranch_vccnz .LBB84_383
; %bb.382:
	buffer_load_dword v44, v47, s[0:3], 0 offen
	buffer_load_dword v45, v47, s[0:3], 0 offen offset:4
	ds_read_b64 v[48:49], v46
	s_waitcnt vmcnt(0) lgkmcnt(0)
	v_mul_f64 v[44:45], v[44:45], v[48:49]
	s_cbranch_execz .LBB84_384
	s_branch .LBB84_385
.LBB84_383:
                                        ; implicit-def: $vgpr44_vgpr45
.LBB84_384:
	ds_read_b64 v[44:45], v46
.LBB84_385:
	s_and_saveexec_b64 s[4:5], s[6:7]
	s_cbranch_execz .LBB84_389
; %bb.386:
	v_mov_b32_e32 v47, 0
	v_add_u32_e32 v46, 0xb8, v1
	v_add3_u32 v1, v1, v47, 8
	s_mov_b64 s[6:7], 0
.LBB84_387:                             ; =>This Inner Loop Header: Depth=1
	buffer_load_dword v48, v1, s[0:3], 0 offen
	buffer_load_dword v49, v1, s[0:3], 0 offen offset:4
	ds_read_b64 v[50:51], v46
	v_add_u32_e32 v0, 1, v0
	v_cmp_lt_u32_e32 vcc, 18, v0
	v_add_u32_e32 v46, 8, v46
	v_add_u32_e32 v1, 8, v1
	s_or_b64 s[6:7], vcc, s[6:7]
	s_waitcnt vmcnt(0) lgkmcnt(0)
	v_fmac_f64_e32 v[44:45], v[48:49], v[50:51]
	s_andn2_b64 exec, exec, s[6:7]
	s_cbranch_execnz .LBB84_387
; %bb.388:
	s_or_b64 exec, exec, s[6:7]
.LBB84_389:
	s_or_b64 exec, exec, s[4:5]
	v_mov_b32_e32 v0, 0
	ds_read_b64 v[0:1], v0 offset:160
	s_waitcnt lgkmcnt(0)
	v_mul_f64 v[0:1], v[44:45], v[0:1]
	buffer_store_dword v1, off, s[0:3], 0 offset:164
	buffer_store_dword v0, off, s[0:3], 0 offset:160
.LBB84_390:
	s_or_b64 exec, exec, s[8:9]
.LBB84_391:
	buffer_load_dword v0, off, s[0:3], 0
	buffer_load_dword v1, off, s[0:3], 0 offset:4
	buffer_load_dword v44, off, s[0:3], 0 offset:8
	;; [unrolled: 1-line block ×41, first 2 shown]
	s_waitcnt vmcnt(40)
	global_store_dwordx2 v[2:3], v[0:1], off
	s_waitcnt vmcnt(39)
	global_store_dwordx2 v[4:5], v[44:45], off
	;; [unrolled: 2-line block ×9, first 2 shown]
	global_store_dwordx2 v[20:21], v[58:59], off
	global_store_dwordx2 v[22:23], v[60:61], off
	;; [unrolled: 1-line block ×3, first 2 shown]
	s_waitcnt vmcnt(28)
	global_store_dwordx2 v[26:27], v[66:67], off
	s_waitcnt vmcnt(27)
	global_store_dwordx2 v[28:29], v[68:69], off
	;; [unrolled: 2-line block ×9, first 2 shown]
.LBB84_392:
	s_endpgm
	.section	.rodata,"a",@progbits
	.p2align	6, 0x0
	.amdhsa_kernel _ZN9rocsolver6v33100L18trti2_kernel_smallILi21EdPKPdEEv13rocblas_fill_17rocblas_diagonal_T1_iil
		.amdhsa_group_segment_fixed_size 344
		.amdhsa_private_segment_fixed_size 176
		.amdhsa_kernarg_size 32
		.amdhsa_user_sgpr_count 8
		.amdhsa_user_sgpr_private_segment_buffer 1
		.amdhsa_user_sgpr_dispatch_ptr 0
		.amdhsa_user_sgpr_queue_ptr 0
		.amdhsa_user_sgpr_kernarg_segment_ptr 1
		.amdhsa_user_sgpr_dispatch_id 0
		.amdhsa_user_sgpr_flat_scratch_init 1
		.amdhsa_user_sgpr_kernarg_preload_length 0
		.amdhsa_user_sgpr_kernarg_preload_offset 0
		.amdhsa_user_sgpr_private_segment_size 0
		.amdhsa_uses_dynamic_stack 0
		.amdhsa_system_sgpr_private_segment_wavefront_offset 1
		.amdhsa_system_sgpr_workgroup_id_x 1
		.amdhsa_system_sgpr_workgroup_id_y 0
		.amdhsa_system_sgpr_workgroup_id_z 0
		.amdhsa_system_sgpr_workgroup_info 0
		.amdhsa_system_vgpr_workitem_id 0
		.amdhsa_next_free_vgpr 86
		.amdhsa_next_free_sgpr 16
		.amdhsa_accum_offset 88
		.amdhsa_reserve_vcc 1
		.amdhsa_reserve_flat_scratch 0
		.amdhsa_float_round_mode_32 0
		.amdhsa_float_round_mode_16_64 0
		.amdhsa_float_denorm_mode_32 3
		.amdhsa_float_denorm_mode_16_64 3
		.amdhsa_dx10_clamp 1
		.amdhsa_ieee_mode 1
		.amdhsa_fp16_overflow 0
		.amdhsa_tg_split 0
		.amdhsa_exception_fp_ieee_invalid_op 0
		.amdhsa_exception_fp_denorm_src 0
		.amdhsa_exception_fp_ieee_div_zero 0
		.amdhsa_exception_fp_ieee_overflow 0
		.amdhsa_exception_fp_ieee_underflow 0
		.amdhsa_exception_fp_ieee_inexact 0
		.amdhsa_exception_int_div_zero 0
	.end_amdhsa_kernel
	.section	.text._ZN9rocsolver6v33100L18trti2_kernel_smallILi21EdPKPdEEv13rocblas_fill_17rocblas_diagonal_T1_iil,"axG",@progbits,_ZN9rocsolver6v33100L18trti2_kernel_smallILi21EdPKPdEEv13rocblas_fill_17rocblas_diagonal_T1_iil,comdat
.Lfunc_end84:
	.size	_ZN9rocsolver6v33100L18trti2_kernel_smallILi21EdPKPdEEv13rocblas_fill_17rocblas_diagonal_T1_iil, .Lfunc_end84-_ZN9rocsolver6v33100L18trti2_kernel_smallILi21EdPKPdEEv13rocblas_fill_17rocblas_diagonal_T1_iil
                                        ; -- End function
	.section	.AMDGPU.csdata,"",@progbits
; Kernel info:
; codeLenInByte = 12000
; NumSgprs: 20
; NumVgprs: 86
; NumAgprs: 0
; TotalNumVgprs: 86
; ScratchSize: 176
; MemoryBound: 0
; FloatMode: 240
; IeeeMode: 1
; LDSByteSize: 344 bytes/workgroup (compile time only)
; SGPRBlocks: 2
; VGPRBlocks: 10
; NumSGPRsForWavesPerEU: 20
; NumVGPRsForWavesPerEU: 86
; AccumOffset: 88
; Occupancy: 5
; WaveLimiterHint : 1
; COMPUTE_PGM_RSRC2:SCRATCH_EN: 1
; COMPUTE_PGM_RSRC2:USER_SGPR: 8
; COMPUTE_PGM_RSRC2:TRAP_HANDLER: 0
; COMPUTE_PGM_RSRC2:TGID_X_EN: 1
; COMPUTE_PGM_RSRC2:TGID_Y_EN: 0
; COMPUTE_PGM_RSRC2:TGID_Z_EN: 0
; COMPUTE_PGM_RSRC2:TIDIG_COMP_CNT: 0
; COMPUTE_PGM_RSRC3_GFX90A:ACCUM_OFFSET: 21
; COMPUTE_PGM_RSRC3_GFX90A:TG_SPLIT: 0
	.section	.text._ZN9rocsolver6v33100L18trti2_kernel_smallILi22EdPKPdEEv13rocblas_fill_17rocblas_diagonal_T1_iil,"axG",@progbits,_ZN9rocsolver6v33100L18trti2_kernel_smallILi22EdPKPdEEv13rocblas_fill_17rocblas_diagonal_T1_iil,comdat
	.globl	_ZN9rocsolver6v33100L18trti2_kernel_smallILi22EdPKPdEEv13rocblas_fill_17rocblas_diagonal_T1_iil ; -- Begin function _ZN9rocsolver6v33100L18trti2_kernel_smallILi22EdPKPdEEv13rocblas_fill_17rocblas_diagonal_T1_iil
	.p2align	8
	.type	_ZN9rocsolver6v33100L18trti2_kernel_smallILi22EdPKPdEEv13rocblas_fill_17rocblas_diagonal_T1_iil,@function
_ZN9rocsolver6v33100L18trti2_kernel_smallILi22EdPKPdEEv13rocblas_fill_17rocblas_diagonal_T1_iil: ; @_ZN9rocsolver6v33100L18trti2_kernel_smallILi22EdPKPdEEv13rocblas_fill_17rocblas_diagonal_T1_iil
; %bb.0:
	s_add_u32 s0, s0, s9
	s_addc_u32 s1, s1, 0
	v_cmp_gt_u32_e32 vcc, 22, v0
	s_and_saveexec_b64 s[6:7], vcc
	s_cbranch_execz .LBB85_412
; %bb.1:
	s_load_dwordx2 s[6:7], s[4:5], 0x10
	s_load_dwordx4 s[12:15], s[4:5], 0x0
	s_ashr_i32 s9, s8, 31
	s_lshl_b64 s[4:5], s[8:9], 3
	v_lshlrev_b32_e32 v1, 3, v0
	s_waitcnt lgkmcnt(0)
	s_ashr_i32 s9, s6, 31
	s_add_u32 s4, s14, s4
	s_addc_u32 s5, s15, s5
	s_load_dwordx2 s[4:5], s[4:5], 0x0
	s_mov_b32 s8, s6
	s_lshl_b64 s[8:9], s[8:9], 3
	s_waitcnt lgkmcnt(0)
	s_add_u32 s4, s4, s8
	s_addc_u32 s5, s5, s9
	v_mov_b32_e32 v3, s5
	v_add_co_u32_e32 v2, vcc, s4, v1
	s_ashr_i32 s9, s7, 31
	s_mov_b32 s8, s7
	s_add_i32 s6, s7, s7
	v_addc_co_u32_e32 v3, vcc, 0, v3, vcc
	s_lshl_b64 s[8:9], s[8:9], 3
	v_add_u32_e32 v8, s6, v0
	v_mov_b32_e32 v5, s9
	v_add_co_u32_e32 v4, vcc, s8, v2
	v_ashrrev_i32_e32 v9, 31, v8
	v_addc_co_u32_e32 v5, vcc, v3, v5, vcc
	v_lshlrev_b64 v[6:7], 3, v[8:9]
	v_add_u32_e32 v10, s7, v8
	v_mov_b32_e32 v9, s5
	v_add_co_u32_e32 v6, vcc, s4, v6
	v_ashrrev_i32_e32 v11, 31, v10
	v_addc_co_u32_e32 v7, vcc, v9, v7, vcc
	v_lshlrev_b64 v[8:9], 3, v[10:11]
	;; [unrolled: 6-line block ×6, first 2 shown]
	v_mov_b32_e32 v19, s5
	v_add_co_u32_e32 v16, vcc, s4, v16
	v_add_u32_e32 v18, s7, v18
	v_addc_co_u32_e32 v17, vcc, v19, v17, vcc
	v_ashrrev_i32_e32 v19, 31, v18
	v_add_u32_e32 v20, s7, v18
	v_lshlrev_b64 v[18:19], 3, v[18:19]
	v_mov_b32_e32 v21, s5
	v_add_co_u32_e32 v18, vcc, s4, v18
	v_addc_co_u32_e32 v19, vcc, v21, v19, vcc
	v_ashrrev_i32_e32 v21, 31, v20
	v_add_u32_e32 v22, s7, v20
	v_lshlrev_b64 v[20:21], 3, v[20:21]
	v_mov_b32_e32 v23, s5
	v_add_co_u32_e32 v20, vcc, s4, v20
	;; [unrolled: 6-line block ×12, first 2 shown]
	v_addc_co_u32_e32 v41, vcc, v43, v41, vcc
	v_ashrrev_i32_e32 v43, 31, v42
	global_load_dwordx2 v[46:47], v1, s[4:5]
	global_load_dwordx2 v[54:55], v[4:5], off
	global_load_dwordx2 v[50:51], v[6:7], off
	;; [unrolled: 1-line block ×4, first 2 shown]
	v_add_u32_e32 v44, s7, v42
	global_load_dwordx2 v[56:57], v[12:13], off
	global_load_dwordx2 v[58:59], v[14:15], off
	;; [unrolled: 1-line block ×8, first 2 shown]
	v_lshlrev_b64 v[42:43], 3, v[42:43]
	global_load_dwordx2 v[72:73], v[28:29], off
	global_load_dwordx2 v[74:75], v[30:31], off
	;; [unrolled: 1-line block ×4, first 2 shown]
	v_mov_b32_e32 v80, s5
	v_add_co_u32_e32 v42, vcc, s4, v42
	v_addc_co_u32_e32 v43, vcc, v80, v43, vcc
	global_load_dwordx2 v[80:81], v[36:37], off
	global_load_dwordx2 v[82:83], v[38:39], off
	;; [unrolled: 1-line block ×4, first 2 shown]
	v_ashrrev_i32_e32 v45, 31, v44
	v_lshlrev_b64 v[44:45], 3, v[44:45]
	v_mov_b32_e32 v88, s5
	v_add_co_u32_e32 v44, vcc, s4, v44
	v_addc_co_u32_e32 v45, vcc, v88, v45, vcc
	global_load_dwordx2 v[88:89], v[44:45], off
	s_waitcnt vmcnt(21)
	buffer_store_dword v47, off, s[0:3], 0 offset:4
	buffer_store_dword v46, off, s[0:3], 0
	s_waitcnt vmcnt(22)
	buffer_store_dword v55, off, s[0:3], 0 offset:12
	buffer_store_dword v54, off, s[0:3], 0 offset:8
	s_waitcnt vmcnt(23)
	buffer_store_dword v51, off, s[0:3], 0 offset:20
	buffer_store_dword v50, off, s[0:3], 0 offset:16
	s_waitcnt vmcnt(24)
	buffer_store_dword v49, off, s[0:3], 0 offset:28
	buffer_store_dword v48, off, s[0:3], 0 offset:24
	s_waitcnt vmcnt(25)
	buffer_store_dword v53, off, s[0:3], 0 offset:36
	buffer_store_dword v52, off, s[0:3], 0 offset:32
	s_waitcnt vmcnt(26)
	buffer_store_dword v57, off, s[0:3], 0 offset:44
	buffer_store_dword v56, off, s[0:3], 0 offset:40
	s_waitcnt vmcnt(27)
	buffer_store_dword v59, off, s[0:3], 0 offset:52
	buffer_store_dword v58, off, s[0:3], 0 offset:48
	s_waitcnt vmcnt(28)
	buffer_store_dword v61, off, s[0:3], 0 offset:60
	buffer_store_dword v60, off, s[0:3], 0 offset:56
	s_waitcnt vmcnt(29)
	buffer_store_dword v63, off, s[0:3], 0 offset:68
	buffer_store_dword v62, off, s[0:3], 0 offset:64
	s_waitcnt vmcnt(30)
	buffer_store_dword v64, off, s[0:3], 0 offset:72
	buffer_store_dword v65, off, s[0:3], 0 offset:76
	s_waitcnt vmcnt(31)
	buffer_store_dword v66, off, s[0:3], 0 offset:80
	buffer_store_dword v67, off, s[0:3], 0 offset:84
	s_waitcnt vmcnt(32)
	buffer_store_dword v68, off, s[0:3], 0 offset:88
	buffer_store_dword v69, off, s[0:3], 0 offset:92
	s_waitcnt vmcnt(33)
	buffer_store_dword v70, off, s[0:3], 0 offset:96
	buffer_store_dword v71, off, s[0:3], 0 offset:100
	s_waitcnt vmcnt(34)
	buffer_store_dword v72, off, s[0:3], 0 offset:104
	buffer_store_dword v73, off, s[0:3], 0 offset:108
	s_waitcnt vmcnt(35)
	buffer_store_dword v75, off, s[0:3], 0 offset:116
	buffer_store_dword v74, off, s[0:3], 0 offset:112
	s_waitcnt vmcnt(36)
	buffer_store_dword v76, off, s[0:3], 0 offset:120
	buffer_store_dword v77, off, s[0:3], 0 offset:124
	s_cmpk_lg_i32 s13, 0x84
	v_mov_b32_e32 v46, 0
	v_mov_b32_e32 v68, 0
	s_cselect_b64 s[8:9], -1, 0
	s_cmpk_eq_i32 s13, 0x84
	v_mov_b32_e32 v47, 0xbff00000
	s_waitcnt vmcnt(37)
	buffer_store_dword v78, off, s[0:3], 0 offset:128
	buffer_store_dword v79, off, s[0:3], 0 offset:132
	s_waitcnt vmcnt(38)
	buffer_store_dword v80, off, s[0:3], 0 offset:136
	buffer_store_dword v81, off, s[0:3], 0 offset:140
	;; [unrolled: 3-line block ×6, first 2 shown]
	s_cbranch_scc1 .LBB85_3
; %bb.2:
	v_lshl_add_u32 v56, v0, 3, v68
	buffer_load_dword v46, v56, s[0:3], 0 offen
	buffer_load_dword v47, v56, s[0:3], 0 offen offset:4
	s_waitcnt vmcnt(0)
	v_div_scale_f64 v[48:49], s[4:5], v[46:47], v[46:47], 1.0
	v_rcp_f64_e32 v[50:51], v[48:49]
	v_div_scale_f64 v[52:53], vcc, 1.0, v[46:47], 1.0
	v_fma_f64 v[54:55], -v[48:49], v[50:51], 1.0
	v_fmac_f64_e32 v[50:51], v[50:51], v[54:55]
	v_fma_f64 v[54:55], -v[48:49], v[50:51], 1.0
	v_fmac_f64_e32 v[50:51], v[50:51], v[54:55]
	v_mul_f64 v[54:55], v[52:53], v[50:51]
	v_fma_f64 v[48:49], -v[48:49], v[54:55], v[52:53]
	v_div_fmas_f64 v[48:49], v[48:49], v[50:51], v[54:55]
	v_div_fixup_f64 v[46:47], v[48:49], v[46:47], 1.0
	buffer_store_dword v46, v56, s[0:3], 0 offen
	buffer_store_dword v47, v56, s[0:3], 0 offen offset:4
	v_xor_b32_e32 v47, 0x80000000, v47
.LBB85_3:
	s_cmpk_eq_i32 s12, 0x79
	v_add_u32_e32 v48, 0xb0, v1
	v_add_u32_e32 v49, 0, v1
	s_mov_b64 s[4:5], -1
	ds_write_b64 v1, v[46:47]
	s_cbranch_scc1 .LBB85_207
; %bb.4:
	buffer_load_dword v46, off, s[0:3], 0 offset:160
	buffer_load_dword v47, off, s[0:3], 0 offset:164
	v_cmp_eq_u32_e64 s[4:5], 21, v0
	s_waitcnt vmcnt(0)
	ds_write_b64 v48, v[46:47]
	s_waitcnt lgkmcnt(0)
	; wave barrier
	s_waitcnt lgkmcnt(0)
	s_and_saveexec_b64 s[6:7], s[4:5]
	s_cbranch_execz .LBB85_10
; %bb.5:
	s_and_b64 vcc, exec, s[8:9]
	s_cbranch_vccz .LBB85_7
; %bb.6:
	buffer_load_dword v46, v49, s[0:3], 0 offen
	buffer_load_dword v47, v49, s[0:3], 0 offen offset:4
	ds_read_b64 v[50:51], v48
	s_waitcnt vmcnt(0) lgkmcnt(0)
	v_mul_f64 v[46:47], v[46:47], v[50:51]
	s_cbranch_execz .LBB85_8
	s_branch .LBB85_9
.LBB85_7:
                                        ; implicit-def: $vgpr46_vgpr47
.LBB85_8:
	ds_read_b64 v[46:47], v48
.LBB85_9:
	v_mov_b32_e32 v50, 0
	ds_read_b64 v[50:51], v50 offset:160
	s_waitcnt lgkmcnt(0)
	v_mul_f64 v[46:47], v[46:47], v[50:51]
	buffer_store_dword v47, off, s[0:3], 0 offset:164
	buffer_store_dword v46, off, s[0:3], 0 offset:160
.LBB85_10:
	s_or_b64 exec, exec, s[6:7]
	buffer_load_dword v46, off, s[0:3], 0 offset:152
	buffer_load_dword v47, off, s[0:3], 0 offset:156
	v_or_b32_e32 v50, 8, v68
	v_add_u32_e32 v51, 16, v68
	v_add_u32_e32 v52, 24, v68
	;; [unrolled: 1-line block ×18, first 2 shown]
	v_cmp_lt_u32_e64 s[6:7], 19, v0
	s_waitcnt vmcnt(0)
	ds_write_b64 v48, v[46:47]
	s_waitcnt lgkmcnt(0)
	; wave barrier
	s_waitcnt lgkmcnt(0)
	s_and_saveexec_b64 s[10:11], s[6:7]
	s_cbranch_execz .LBB85_16
; %bb.11:
	s_andn2_b64 vcc, exec, s[8:9]
	s_cbranch_vccnz .LBB85_13
; %bb.12:
	buffer_load_dword v46, v49, s[0:3], 0 offen
	buffer_load_dword v47, v49, s[0:3], 0 offen offset:4
	ds_read_b64 v[70:71], v48
	s_waitcnt vmcnt(0) lgkmcnt(0)
	v_mul_f64 v[46:47], v[46:47], v[70:71]
	s_cbranch_execz .LBB85_14
	s_branch .LBB85_15
.LBB85_13:
                                        ; implicit-def: $vgpr46_vgpr47
.LBB85_14:
	ds_read_b64 v[46:47], v48
.LBB85_15:
	buffer_load_dword v74, off, s[0:3], 0 offset:160
	buffer_load_dword v75, off, s[0:3], 0 offset:164
	v_mov_b32_e32 v69, 0
	ds_read2_b64 v[70:73], v69 offset0:19 offset1:42
	s_waitcnt vmcnt(0) lgkmcnt(0)
	v_fma_f64 v[72:73], v[74:75], v[72:73], v[46:47]
	v_cndmask_b32_e64 v47, v47, v73, s[4:5]
	v_cndmask_b32_e64 v46, v46, v72, s[4:5]
	v_mul_f64 v[46:47], v[46:47], v[70:71]
	buffer_store_dword v47, off, s[0:3], 0 offset:156
	buffer_store_dword v46, off, s[0:3], 0 offset:152
.LBB85_16:
	s_or_b64 exec, exec, s[10:11]
	buffer_load_dword v46, off, s[0:3], 0 offset:144
	buffer_load_dword v47, off, s[0:3], 0 offset:148
	v_cmp_lt_u32_e64 s[4:5], 18, v0
	s_waitcnt vmcnt(0)
	ds_write_b64 v48, v[46:47]
	s_waitcnt lgkmcnt(0)
	; wave barrier
	s_waitcnt lgkmcnt(0)
	s_and_saveexec_b64 s[10:11], s[4:5]
	s_cbranch_execz .LBB85_26
; %bb.17:
	s_andn2_b64 vcc, exec, s[8:9]
	s_cbranch_vccnz .LBB85_19
; %bb.18:
	buffer_load_dword v46, v49, s[0:3], 0 offen
	buffer_load_dword v47, v49, s[0:3], 0 offen offset:4
	ds_read_b64 v[70:71], v48
	s_waitcnt vmcnt(0) lgkmcnt(0)
	v_mul_f64 v[46:47], v[46:47], v[70:71]
	s_cbranch_execz .LBB85_20
	s_branch .LBB85_21
.LBB85_19:
                                        ; implicit-def: $vgpr46_vgpr47
.LBB85_20:
	ds_read_b64 v[46:47], v48
.LBB85_21:
	s_and_saveexec_b64 s[12:13], s[6:7]
	s_cbranch_execz .LBB85_25
; %bb.22:
	v_subrev_u32_e32 v69, 19, v0
	s_movk_i32 s14, 0x148
	s_mov_b64 s[6:7], 0
.LBB85_23:                              ; =>This Inner Loop Header: Depth=1
	buffer_load_dword v70, v68, s[0:3], 0 offen
	buffer_load_dword v71, v68, s[0:3], 0 offen offset:4
	v_mov_b32_e32 v72, s14
	ds_read_b64 v[72:73], v72
	v_add_u32_e32 v69, -1, v69
	s_add_i32 s14, s14, 8
	v_cmp_eq_u32_e32 vcc, 0, v69
	v_add_u32_e32 v68, 8, v68
	s_or_b64 s[6:7], vcc, s[6:7]
	s_waitcnt vmcnt(0) lgkmcnt(0)
	v_fmac_f64_e32 v[46:47], v[70:71], v[72:73]
	s_andn2_b64 exec, exec, s[6:7]
	s_cbranch_execnz .LBB85_23
; %bb.24:
	s_or_b64 exec, exec, s[6:7]
.LBB85_25:
	s_or_b64 exec, exec, s[12:13]
	v_mov_b32_e32 v68, 0
	ds_read_b64 v[68:69], v68 offset:144
	s_waitcnt lgkmcnt(0)
	v_mul_f64 v[46:47], v[46:47], v[68:69]
	buffer_store_dword v47, off, s[0:3], 0 offset:148
	buffer_store_dword v46, off, s[0:3], 0 offset:144
.LBB85_26:
	s_or_b64 exec, exec, s[10:11]
	buffer_load_dword v46, off, s[0:3], 0 offset:136
	buffer_load_dword v47, off, s[0:3], 0 offset:140
	v_cmp_lt_u32_e64 s[6:7], 17, v0
	s_waitcnt vmcnt(0)
	ds_write_b64 v48, v[46:47]
	s_waitcnt lgkmcnt(0)
	; wave barrier
	s_waitcnt lgkmcnt(0)
	s_and_saveexec_b64 s[10:11], s[6:7]
	s_cbranch_execz .LBB85_36
; %bb.27:
	s_andn2_b64 vcc, exec, s[8:9]
	s_cbranch_vccnz .LBB85_29
; %bb.28:
	buffer_load_dword v46, v49, s[0:3], 0 offen
	buffer_load_dword v47, v49, s[0:3], 0 offen offset:4
	ds_read_b64 v[68:69], v48
	s_waitcnt vmcnt(0) lgkmcnt(0)
	v_mul_f64 v[46:47], v[46:47], v[68:69]
	s_cbranch_execz .LBB85_30
	s_branch .LBB85_31
.LBB85_29:
                                        ; implicit-def: $vgpr46_vgpr47
.LBB85_30:
	ds_read_b64 v[46:47], v48
.LBB85_31:
	s_and_saveexec_b64 s[12:13], s[4:5]
	s_cbranch_execz .LBB85_35
; %bb.32:
	v_subrev_u32_e32 v68, 18, v0
	s_movk_i32 s14, 0x140
	s_mov_b64 s[4:5], 0
.LBB85_33:                              ; =>This Inner Loop Header: Depth=1
	buffer_load_dword v70, v67, s[0:3], 0 offen
	buffer_load_dword v71, v67, s[0:3], 0 offen offset:4
	v_mov_b32_e32 v69, s14
	ds_read_b64 v[72:73], v69
	v_add_u32_e32 v68, -1, v68
	s_add_i32 s14, s14, 8
	v_cmp_eq_u32_e32 vcc, 0, v68
	v_add_u32_e32 v67, 8, v67
	s_or_b64 s[4:5], vcc, s[4:5]
	s_waitcnt vmcnt(0) lgkmcnt(0)
	v_fmac_f64_e32 v[46:47], v[70:71], v[72:73]
	s_andn2_b64 exec, exec, s[4:5]
	s_cbranch_execnz .LBB85_33
; %bb.34:
	s_or_b64 exec, exec, s[4:5]
.LBB85_35:
	s_or_b64 exec, exec, s[12:13]
	v_mov_b32_e32 v67, 0
	ds_read_b64 v[68:69], v67 offset:136
	s_waitcnt lgkmcnt(0)
	v_mul_f64 v[46:47], v[46:47], v[68:69]
	buffer_store_dword v47, off, s[0:3], 0 offset:140
	buffer_store_dword v46, off, s[0:3], 0 offset:136
.LBB85_36:
	;; [unrolled: 58-line block ×3, first 2 shown]
	s_or_b64 exec, exec, s[10:11]
	buffer_load_dword v46, off, s[0:3], 0 offset:120
	buffer_load_dword v47, off, s[0:3], 0 offset:124
	v_cmp_lt_u32_e64 s[6:7], 15, v0
	s_waitcnt vmcnt(0)
	ds_write_b64 v48, v[46:47]
	s_waitcnt lgkmcnt(0)
	; wave barrier
	s_waitcnt lgkmcnt(0)
	s_and_saveexec_b64 s[10:11], s[6:7]
	s_cbranch_execz .LBB85_56
; %bb.47:
	s_andn2_b64 vcc, exec, s[8:9]
	s_cbranch_vccnz .LBB85_49
; %bb.48:
	buffer_load_dword v46, v49, s[0:3], 0 offen
	buffer_load_dword v47, v49, s[0:3], 0 offen offset:4
	ds_read_b64 v[66:67], v48
	s_waitcnt vmcnt(0) lgkmcnt(0)
	v_mul_f64 v[46:47], v[46:47], v[66:67]
	s_cbranch_execz .LBB85_50
	s_branch .LBB85_51
.LBB85_49:
                                        ; implicit-def: $vgpr46_vgpr47
.LBB85_50:
	ds_read_b64 v[46:47], v48
.LBB85_51:
	s_and_saveexec_b64 s[12:13], s[4:5]
	s_cbranch_execz .LBB85_55
; %bb.52:
	v_add_u32_e32 v66, -16, v0
	s_movk_i32 s14, 0x130
	s_mov_b64 s[4:5], 0
.LBB85_53:                              ; =>This Inner Loop Header: Depth=1
	buffer_load_dword v68, v65, s[0:3], 0 offen
	buffer_load_dword v69, v65, s[0:3], 0 offen offset:4
	v_mov_b32_e32 v67, s14
	ds_read_b64 v[70:71], v67
	v_add_u32_e32 v66, -1, v66
	s_add_i32 s14, s14, 8
	v_cmp_eq_u32_e32 vcc, 0, v66
	v_add_u32_e32 v65, 8, v65
	s_or_b64 s[4:5], vcc, s[4:5]
	s_waitcnt vmcnt(0) lgkmcnt(0)
	v_fmac_f64_e32 v[46:47], v[68:69], v[70:71]
	s_andn2_b64 exec, exec, s[4:5]
	s_cbranch_execnz .LBB85_53
; %bb.54:
	s_or_b64 exec, exec, s[4:5]
.LBB85_55:
	s_or_b64 exec, exec, s[12:13]
	v_mov_b32_e32 v65, 0
	ds_read_b64 v[66:67], v65 offset:120
	s_waitcnt lgkmcnt(0)
	v_mul_f64 v[46:47], v[46:47], v[66:67]
	buffer_store_dword v47, off, s[0:3], 0 offset:124
	buffer_store_dword v46, off, s[0:3], 0 offset:120
.LBB85_56:
	s_or_b64 exec, exec, s[10:11]
	buffer_load_dword v46, off, s[0:3], 0 offset:112
	buffer_load_dword v47, off, s[0:3], 0 offset:116
	v_cmp_lt_u32_e64 s[4:5], 14, v0
	s_waitcnt vmcnt(0)
	ds_write_b64 v48, v[46:47]
	s_waitcnt lgkmcnt(0)
	; wave barrier
	s_waitcnt lgkmcnt(0)
	s_and_saveexec_b64 s[10:11], s[4:5]
	s_cbranch_execz .LBB85_66
; %bb.57:
	s_andn2_b64 vcc, exec, s[8:9]
	s_cbranch_vccnz .LBB85_59
; %bb.58:
	buffer_load_dword v46, v49, s[0:3], 0 offen
	buffer_load_dword v47, v49, s[0:3], 0 offen offset:4
	ds_read_b64 v[66:67], v48
	s_waitcnt vmcnt(0) lgkmcnt(0)
	v_mul_f64 v[46:47], v[46:47], v[66:67]
	s_cbranch_execz .LBB85_60
	s_branch .LBB85_61
.LBB85_59:
                                        ; implicit-def: $vgpr46_vgpr47
.LBB85_60:
	ds_read_b64 v[46:47], v48
.LBB85_61:
	s_and_saveexec_b64 s[12:13], s[6:7]
	s_cbranch_execz .LBB85_65
; %bb.62:
	v_add_u32_e32 v65, -15, v0
	s_movk_i32 s14, 0x128
	s_mov_b64 s[6:7], 0
.LBB85_63:                              ; =>This Inner Loop Header: Depth=1
	buffer_load_dword v66, v64, s[0:3], 0 offen
	buffer_load_dword v67, v64, s[0:3], 0 offen offset:4
	v_mov_b32_e32 v68, s14
	ds_read_b64 v[68:69], v68
	v_add_u32_e32 v65, -1, v65
	s_add_i32 s14, s14, 8
	v_cmp_eq_u32_e32 vcc, 0, v65
	v_add_u32_e32 v64, 8, v64
	s_or_b64 s[6:7], vcc, s[6:7]
	s_waitcnt vmcnt(0) lgkmcnt(0)
	v_fmac_f64_e32 v[46:47], v[66:67], v[68:69]
	s_andn2_b64 exec, exec, s[6:7]
	s_cbranch_execnz .LBB85_63
; %bb.64:
	s_or_b64 exec, exec, s[6:7]
.LBB85_65:
	s_or_b64 exec, exec, s[12:13]
	v_mov_b32_e32 v64, 0
	ds_read_b64 v[64:65], v64 offset:112
	s_waitcnt lgkmcnt(0)
	v_mul_f64 v[46:47], v[46:47], v[64:65]
	buffer_store_dword v47, off, s[0:3], 0 offset:116
	buffer_store_dword v46, off, s[0:3], 0 offset:112
.LBB85_66:
	;; [unrolled: 58-line block ×5, first 2 shown]
	s_or_b64 exec, exec, s[10:11]
	buffer_load_dword v46, off, s[0:3], 0 offset:80
	buffer_load_dword v47, off, s[0:3], 0 offset:84
	v_cmp_lt_u32_e64 s[4:5], 10, v0
	s_waitcnt vmcnt(0)
	ds_write_b64 v48, v[46:47]
	s_waitcnt lgkmcnt(0)
	; wave barrier
	s_waitcnt lgkmcnt(0)
	s_and_saveexec_b64 s[10:11], s[4:5]
	s_cbranch_execz .LBB85_106
; %bb.97:
	s_andn2_b64 vcc, exec, s[8:9]
	s_cbranch_vccnz .LBB85_99
; %bb.98:
	buffer_load_dword v46, v49, s[0:3], 0 offen
	buffer_load_dword v47, v49, s[0:3], 0 offen offset:4
	ds_read_b64 v[62:63], v48
	s_waitcnt vmcnt(0) lgkmcnt(0)
	v_mul_f64 v[46:47], v[46:47], v[62:63]
	s_cbranch_execz .LBB85_100
	s_branch .LBB85_101
.LBB85_99:
                                        ; implicit-def: $vgpr46_vgpr47
.LBB85_100:
	ds_read_b64 v[46:47], v48
.LBB85_101:
	s_and_saveexec_b64 s[12:13], s[6:7]
	s_cbranch_execz .LBB85_105
; %bb.102:
	v_add_u32_e32 v61, -11, v0
	s_movk_i32 s14, 0x108
	s_mov_b64 s[6:7], 0
.LBB85_103:                             ; =>This Inner Loop Header: Depth=1
	buffer_load_dword v62, v60, s[0:3], 0 offen
	buffer_load_dword v63, v60, s[0:3], 0 offen offset:4
	v_mov_b32_e32 v64, s14
	ds_read_b64 v[64:65], v64
	v_add_u32_e32 v61, -1, v61
	s_add_i32 s14, s14, 8
	v_cmp_eq_u32_e32 vcc, 0, v61
	v_add_u32_e32 v60, 8, v60
	s_or_b64 s[6:7], vcc, s[6:7]
	s_waitcnt vmcnt(0) lgkmcnt(0)
	v_fmac_f64_e32 v[46:47], v[62:63], v[64:65]
	s_andn2_b64 exec, exec, s[6:7]
	s_cbranch_execnz .LBB85_103
; %bb.104:
	s_or_b64 exec, exec, s[6:7]
.LBB85_105:
	s_or_b64 exec, exec, s[12:13]
	v_mov_b32_e32 v60, 0
	ds_read_b64 v[60:61], v60 offset:80
	s_waitcnt lgkmcnt(0)
	v_mul_f64 v[46:47], v[46:47], v[60:61]
	buffer_store_dword v47, off, s[0:3], 0 offset:84
	buffer_store_dword v46, off, s[0:3], 0 offset:80
.LBB85_106:
	s_or_b64 exec, exec, s[10:11]
	buffer_load_dword v46, off, s[0:3], 0 offset:72
	buffer_load_dword v47, off, s[0:3], 0 offset:76
	v_cmp_lt_u32_e64 s[6:7], 9, v0
	s_waitcnt vmcnt(0)
	ds_write_b64 v48, v[46:47]
	s_waitcnt lgkmcnt(0)
	; wave barrier
	s_waitcnt lgkmcnt(0)
	s_and_saveexec_b64 s[10:11], s[6:7]
	s_cbranch_execz .LBB85_116
; %bb.107:
	s_andn2_b64 vcc, exec, s[8:9]
	s_cbranch_vccnz .LBB85_109
; %bb.108:
	buffer_load_dword v46, v49, s[0:3], 0 offen
	buffer_load_dword v47, v49, s[0:3], 0 offen offset:4
	ds_read_b64 v[60:61], v48
	s_waitcnt vmcnt(0) lgkmcnt(0)
	v_mul_f64 v[46:47], v[46:47], v[60:61]
	s_cbranch_execz .LBB85_110
	s_branch .LBB85_111
.LBB85_109:
                                        ; implicit-def: $vgpr46_vgpr47
.LBB85_110:
	ds_read_b64 v[46:47], v48
.LBB85_111:
	s_and_saveexec_b64 s[12:13], s[4:5]
	s_cbranch_execz .LBB85_115
; %bb.112:
	v_add_u32_e32 v60, -10, v0
	s_movk_i32 s14, 0x100
	s_mov_b64 s[4:5], 0
.LBB85_113:                             ; =>This Inner Loop Header: Depth=1
	buffer_load_dword v62, v59, s[0:3], 0 offen
	buffer_load_dword v63, v59, s[0:3], 0 offen offset:4
	v_mov_b32_e32 v61, s14
	ds_read_b64 v[64:65], v61
	v_add_u32_e32 v60, -1, v60
	s_add_i32 s14, s14, 8
	v_cmp_eq_u32_e32 vcc, 0, v60
	v_add_u32_e32 v59, 8, v59
	s_or_b64 s[4:5], vcc, s[4:5]
	s_waitcnt vmcnt(0) lgkmcnt(0)
	v_fmac_f64_e32 v[46:47], v[62:63], v[64:65]
	s_andn2_b64 exec, exec, s[4:5]
	s_cbranch_execnz .LBB85_113
; %bb.114:
	s_or_b64 exec, exec, s[4:5]
.LBB85_115:
	s_or_b64 exec, exec, s[12:13]
	v_mov_b32_e32 v59, 0
	ds_read_b64 v[60:61], v59 offset:72
	s_waitcnt lgkmcnt(0)
	v_mul_f64 v[46:47], v[46:47], v[60:61]
	buffer_store_dword v47, off, s[0:3], 0 offset:76
	buffer_store_dword v46, off, s[0:3], 0 offset:72
.LBB85_116:
	;; [unrolled: 58-line block ×10, first 2 shown]
	s_or_b64 exec, exec, s[10:11]
	buffer_load_dword v46, off, s[0:3], 0
	buffer_load_dword v47, off, s[0:3], 0 offset:4
	v_cmp_ne_u32_e32 vcc, 0, v0
	s_waitcnt vmcnt(0)
	ds_write_b64 v48, v[46:47]
	s_waitcnt lgkmcnt(0)
	; wave barrier
	s_waitcnt lgkmcnt(0)
	s_and_saveexec_b64 s[4:5], vcc
	s_cbranch_execz .LBB85_206
; %bb.197:
	s_andn2_b64 vcc, exec, s[8:9]
	s_cbranch_vccnz .LBB85_199
; %bb.198:
	buffer_load_dword v46, v49, s[0:3], 0 offen
	buffer_load_dword v47, v49, s[0:3], 0 offen offset:4
	ds_read_b64 v[52:53], v48
	s_waitcnt vmcnt(0) lgkmcnt(0)
	v_mul_f64 v[46:47], v[46:47], v[52:53]
	s_cbranch_execz .LBB85_200
	s_branch .LBB85_201
.LBB85_199:
                                        ; implicit-def: $vgpr46_vgpr47
.LBB85_200:
	ds_read_b64 v[46:47], v48
.LBB85_201:
	s_and_saveexec_b64 s[10:11], s[6:7]
	s_cbranch_execz .LBB85_205
; %bb.202:
	v_add_u32_e32 v51, -1, v0
	s_movk_i32 s12, 0xb8
	s_mov_b64 s[6:7], 0
.LBB85_203:                             ; =>This Inner Loop Header: Depth=1
	buffer_load_dword v52, v50, s[0:3], 0 offen
	buffer_load_dword v53, v50, s[0:3], 0 offen offset:4
	v_mov_b32_e32 v54, s12
	ds_read_b64 v[54:55], v54
	v_add_u32_e32 v51, -1, v51
	s_add_i32 s12, s12, 8
	v_cmp_eq_u32_e32 vcc, 0, v51
	v_add_u32_e32 v50, 8, v50
	s_or_b64 s[6:7], vcc, s[6:7]
	s_waitcnt vmcnt(0) lgkmcnt(0)
	v_fmac_f64_e32 v[46:47], v[52:53], v[54:55]
	s_andn2_b64 exec, exec, s[6:7]
	s_cbranch_execnz .LBB85_203
; %bb.204:
	s_or_b64 exec, exec, s[6:7]
.LBB85_205:
	s_or_b64 exec, exec, s[10:11]
	v_mov_b32_e32 v50, 0
	ds_read_b64 v[50:51], v50
	s_waitcnt lgkmcnt(0)
	v_mul_f64 v[46:47], v[46:47], v[50:51]
	buffer_store_dword v47, off, s[0:3], 0 offset:4
	buffer_store_dword v46, off, s[0:3], 0
.LBB85_206:
	s_or_b64 exec, exec, s[4:5]
	s_mov_b64 s[4:5], 0
.LBB85_207:
	s_and_b64 vcc, exec, s[4:5]
	s_cbranch_vccz .LBB85_411
; %bb.208:
	buffer_load_dword v46, off, s[0:3], 0 offset:8
	buffer_load_dword v47, off, s[0:3], 0 offset:12
	v_cmp_eq_u32_e64 s[6:7], 0, v0
	s_waitcnt vmcnt(0)
	ds_write_b64 v48, v[46:47]
	s_waitcnt lgkmcnt(0)
	; wave barrier
	s_waitcnt lgkmcnt(0)
	s_and_saveexec_b64 s[4:5], s[6:7]
	s_cbranch_execz .LBB85_214
; %bb.209:
	s_and_b64 vcc, exec, s[8:9]
	s_cbranch_vccz .LBB85_211
; %bb.210:
	buffer_load_dword v46, v49, s[0:3], 0 offen
	buffer_load_dword v47, v49, s[0:3], 0 offen offset:4
	ds_read_b64 v[50:51], v48
	s_waitcnt vmcnt(0) lgkmcnt(0)
	v_mul_f64 v[46:47], v[46:47], v[50:51]
	s_cbranch_execz .LBB85_212
	s_branch .LBB85_213
.LBB85_211:
                                        ; implicit-def: $vgpr46_vgpr47
.LBB85_212:
	ds_read_b64 v[46:47], v48
.LBB85_213:
	v_mov_b32_e32 v50, 0
	ds_read_b64 v[50:51], v50 offset:8
	s_waitcnt lgkmcnt(0)
	v_mul_f64 v[46:47], v[46:47], v[50:51]
	buffer_store_dword v47, off, s[0:3], 0 offset:12
	buffer_store_dword v46, off, s[0:3], 0 offset:8
.LBB85_214:
	s_or_b64 exec, exec, s[4:5]
	buffer_load_dword v46, off, s[0:3], 0 offset:16
	buffer_load_dword v47, off, s[0:3], 0 offset:20
	v_cndmask_b32_e64 v50, 0, 1, s[8:9]
	v_cmp_gt_u32_e32 vcc, 2, v0
	v_cmp_ne_u32_e64 s[4:5], 1, v50
	s_waitcnt vmcnt(0)
	ds_write_b64 v48, v[46:47]
	s_waitcnt lgkmcnt(0)
	; wave barrier
	s_waitcnt lgkmcnt(0)
	s_and_saveexec_b64 s[8:9], vcc
	s_cbranch_execz .LBB85_222
; %bb.215:
	s_and_b64 vcc, exec, s[4:5]
	s_cbranch_vccnz .LBB85_217
; %bb.216:
	buffer_load_dword v46, v49, s[0:3], 0 offen
	buffer_load_dword v47, v49, s[0:3], 0 offen offset:4
	ds_read_b64 v[50:51], v48
	s_waitcnt vmcnt(0) lgkmcnt(0)
	v_mul_f64 v[46:47], v[46:47], v[50:51]
	s_cbranch_execz .LBB85_218
	s_branch .LBB85_219
.LBB85_217:
                                        ; implicit-def: $vgpr46_vgpr47
.LBB85_218:
	ds_read_b64 v[46:47], v48
.LBB85_219:
	s_and_saveexec_b64 s[10:11], s[6:7]
	s_cbranch_execz .LBB85_221
; %bb.220:
	buffer_load_dword v50, v49, s[0:3], 0 offen offset:8
	buffer_load_dword v51, v49, s[0:3], 0 offen offset:12
	ds_read_b64 v[52:53], v48 offset:8
	s_waitcnt vmcnt(0) lgkmcnt(0)
	v_fmac_f64_e32 v[46:47], v[50:51], v[52:53]
.LBB85_221:
	s_or_b64 exec, exec, s[10:11]
	v_mov_b32_e32 v50, 0
	ds_read_b64 v[50:51], v50 offset:16
	s_waitcnt lgkmcnt(0)
	v_mul_f64 v[46:47], v[46:47], v[50:51]
	buffer_store_dword v47, off, s[0:3], 0 offset:20
	buffer_store_dword v46, off, s[0:3], 0 offset:16
.LBB85_222:
	s_or_b64 exec, exec, s[8:9]
	buffer_load_dword v46, off, s[0:3], 0 offset:24
	buffer_load_dword v47, off, s[0:3], 0 offset:28
	v_cmp_gt_u32_e32 vcc, 3, v0
	s_waitcnt vmcnt(0)
	ds_write_b64 v48, v[46:47]
	s_waitcnt lgkmcnt(0)
	; wave barrier
	s_waitcnt lgkmcnt(0)
	s_and_saveexec_b64 s[8:9], vcc
	s_cbranch_execz .LBB85_230
; %bb.223:
	s_and_b64 vcc, exec, s[4:5]
	s_cbranch_vccnz .LBB85_225
; %bb.224:
	buffer_load_dword v46, v49, s[0:3], 0 offen
	buffer_load_dword v47, v49, s[0:3], 0 offen offset:4
	ds_read_b64 v[50:51], v48
	s_waitcnt vmcnt(0) lgkmcnt(0)
	v_mul_f64 v[46:47], v[46:47], v[50:51]
	s_cbranch_execz .LBB85_226
	s_branch .LBB85_227
.LBB85_225:
                                        ; implicit-def: $vgpr46_vgpr47
.LBB85_226:
	ds_read_b64 v[46:47], v48
.LBB85_227:
	v_cmp_ne_u32_e32 vcc, 2, v0
	s_and_saveexec_b64 s[10:11], vcc
	s_cbranch_execz .LBB85_229
; %bb.228:
	buffer_load_dword v51, v49, s[0:3], 0 offen offset:12
	buffer_load_dword v52, off, s[0:3], 0 offset:16
	buffer_load_dword v50, v49, s[0:3], 0 offen offset:8
	buffer_load_dword v53, off, s[0:3], 0 offset:20
	v_mov_b32_e32 v56, 0
	ds_read_b64 v[54:55], v48 offset:8
	ds_read_b64 v[56:57], v56 offset:192
	s_waitcnt vmcnt(1) lgkmcnt(1)
	v_fmac_f64_e32 v[46:47], v[50:51], v[54:55]
	s_waitcnt vmcnt(0) lgkmcnt(0)
	v_fma_f64 v[50:51], v[52:53], v[56:57], v[46:47]
	v_cndmask_b32_e64 v47, v47, v51, s[6:7]
	v_cndmask_b32_e64 v46, v46, v50, s[6:7]
.LBB85_229:
	s_or_b64 exec, exec, s[10:11]
	v_mov_b32_e32 v50, 0
	ds_read_b64 v[50:51], v50 offset:24
	s_waitcnt lgkmcnt(0)
	v_mul_f64 v[46:47], v[46:47], v[50:51]
	buffer_store_dword v47, off, s[0:3], 0 offset:28
	buffer_store_dword v46, off, s[0:3], 0 offset:24
.LBB85_230:
	s_or_b64 exec, exec, s[8:9]
	buffer_load_dword v46, off, s[0:3], 0 offset:32
	buffer_load_dword v47, off, s[0:3], 0 offset:36
	v_cmp_gt_u32_e32 vcc, 4, v0
	s_waitcnt vmcnt(0)
	ds_write_b64 v48, v[46:47]
	s_waitcnt lgkmcnt(0)
	; wave barrier
	s_waitcnt lgkmcnt(0)
	s_and_saveexec_b64 s[6:7], vcc
	s_cbranch_execz .LBB85_240
; %bb.231:
	s_and_b64 vcc, exec, s[4:5]
	s_cbranch_vccnz .LBB85_233
; %bb.232:
	buffer_load_dword v46, v49, s[0:3], 0 offen
	buffer_load_dword v47, v49, s[0:3], 0 offen offset:4
	ds_read_b64 v[50:51], v48
	s_waitcnt vmcnt(0) lgkmcnt(0)
	v_mul_f64 v[46:47], v[46:47], v[50:51]
	s_cbranch_execz .LBB85_234
	s_branch .LBB85_235
.LBB85_233:
                                        ; implicit-def: $vgpr46_vgpr47
.LBB85_234:
	ds_read_b64 v[46:47], v48
.LBB85_235:
	v_cmp_ne_u32_e32 vcc, 3, v0
	s_and_saveexec_b64 s[8:9], vcc
	s_cbranch_execz .LBB85_239
; %bb.236:
	v_mov_b32_e32 v51, 0
	v_add_u32_e32 v50, 0xb8, v1
	v_add3_u32 v51, v1, v51, 8
	s_mov_b64 s[10:11], 0
	v_mov_b32_e32 v52, v0
.LBB85_237:                             ; =>This Inner Loop Header: Depth=1
	buffer_load_dword v54, v51, s[0:3], 0 offen
	buffer_load_dword v55, v51, s[0:3], 0 offen offset:4
	ds_read_b64 v[56:57], v50
	v_add_u32_e32 v52, 1, v52
	v_cmp_lt_u32_e32 vcc, 2, v52
	v_add_u32_e32 v50, 8, v50
	v_add_u32_e32 v51, 8, v51
	s_or_b64 s[10:11], vcc, s[10:11]
	s_waitcnt vmcnt(0) lgkmcnt(0)
	v_fmac_f64_e32 v[46:47], v[54:55], v[56:57]
	s_andn2_b64 exec, exec, s[10:11]
	s_cbranch_execnz .LBB85_237
; %bb.238:
	s_or_b64 exec, exec, s[10:11]
.LBB85_239:
	s_or_b64 exec, exec, s[8:9]
	v_mov_b32_e32 v50, 0
	ds_read_b64 v[50:51], v50 offset:32
	s_waitcnt lgkmcnt(0)
	v_mul_f64 v[46:47], v[46:47], v[50:51]
	buffer_store_dword v47, off, s[0:3], 0 offset:36
	buffer_store_dword v46, off, s[0:3], 0 offset:32
.LBB85_240:
	s_or_b64 exec, exec, s[6:7]
	buffer_load_dword v46, off, s[0:3], 0 offset:40
	buffer_load_dword v47, off, s[0:3], 0 offset:44
	v_cmp_gt_u32_e32 vcc, 5, v0
	s_waitcnt vmcnt(0)
	ds_write_b64 v48, v[46:47]
	s_waitcnt lgkmcnt(0)
	; wave barrier
	s_waitcnt lgkmcnt(0)
	s_and_saveexec_b64 s[6:7], vcc
	s_cbranch_execz .LBB85_250
; %bb.241:
	s_and_b64 vcc, exec, s[4:5]
	s_cbranch_vccnz .LBB85_243
; %bb.242:
	buffer_load_dword v46, v49, s[0:3], 0 offen
	buffer_load_dword v47, v49, s[0:3], 0 offen offset:4
	ds_read_b64 v[50:51], v48
	s_waitcnt vmcnt(0) lgkmcnt(0)
	v_mul_f64 v[46:47], v[46:47], v[50:51]
	s_cbranch_execz .LBB85_244
	s_branch .LBB85_245
.LBB85_243:
                                        ; implicit-def: $vgpr46_vgpr47
.LBB85_244:
	ds_read_b64 v[46:47], v48
.LBB85_245:
	v_cmp_ne_u32_e32 vcc, 4, v0
	s_and_saveexec_b64 s[8:9], vcc
	s_cbranch_execz .LBB85_249
; %bb.246:
	v_mov_b32_e32 v51, 0
	v_add_u32_e32 v50, 0xb8, v1
	v_add3_u32 v51, v1, v51, 8
	s_mov_b64 s[10:11], 0
	v_mov_b32_e32 v52, v0
.LBB85_247:                             ; =>This Inner Loop Header: Depth=1
	buffer_load_dword v54, v51, s[0:3], 0 offen
	buffer_load_dword v55, v51, s[0:3], 0 offen offset:4
	ds_read_b64 v[56:57], v50
	v_add_u32_e32 v52, 1, v52
	v_cmp_lt_u32_e32 vcc, 3, v52
	v_add_u32_e32 v50, 8, v50
	v_add_u32_e32 v51, 8, v51
	s_or_b64 s[10:11], vcc, s[10:11]
	s_waitcnt vmcnt(0) lgkmcnt(0)
	v_fmac_f64_e32 v[46:47], v[54:55], v[56:57]
	s_andn2_b64 exec, exec, s[10:11]
	s_cbranch_execnz .LBB85_247
; %bb.248:
	s_or_b64 exec, exec, s[10:11]
.LBB85_249:
	s_or_b64 exec, exec, s[8:9]
	v_mov_b32_e32 v50, 0
	ds_read_b64 v[50:51], v50 offset:40
	s_waitcnt lgkmcnt(0)
	v_mul_f64 v[46:47], v[46:47], v[50:51]
	buffer_store_dword v47, off, s[0:3], 0 offset:44
	buffer_store_dword v46, off, s[0:3], 0 offset:40
.LBB85_250:
	;; [unrolled: 60-line block ×16, first 2 shown]
	s_or_b64 exec, exec, s[6:7]
	buffer_load_dword v46, off, s[0:3], 0 offset:160
	buffer_load_dword v47, off, s[0:3], 0 offset:164
	v_cmp_gt_u32_e64 s[6:7], 20, v0
	s_waitcnt vmcnt(0)
	ds_write_b64 v48, v[46:47]
	s_waitcnt lgkmcnt(0)
	; wave barrier
	s_waitcnt lgkmcnt(0)
	s_and_saveexec_b64 s[8:9], s[6:7]
	s_cbranch_execz .LBB85_400
; %bb.391:
	s_and_b64 vcc, exec, s[4:5]
	s_cbranch_vccnz .LBB85_393
; %bb.392:
	buffer_load_dword v46, v49, s[0:3], 0 offen
	buffer_load_dword v47, v49, s[0:3], 0 offen offset:4
	ds_read_b64 v[50:51], v48
	s_waitcnt vmcnt(0) lgkmcnt(0)
	v_mul_f64 v[46:47], v[46:47], v[50:51]
	s_cbranch_execz .LBB85_394
	s_branch .LBB85_395
.LBB85_393:
                                        ; implicit-def: $vgpr46_vgpr47
.LBB85_394:
	ds_read_b64 v[46:47], v48
.LBB85_395:
	v_cmp_ne_u32_e32 vcc, 19, v0
	s_and_saveexec_b64 s[10:11], vcc
	s_cbranch_execz .LBB85_399
; %bb.396:
	v_mov_b32_e32 v51, 0
	v_add_u32_e32 v50, 0xb8, v1
	v_add3_u32 v51, v1, v51, 8
	s_mov_b64 s[12:13], 0
	v_mov_b32_e32 v52, v0
.LBB85_397:                             ; =>This Inner Loop Header: Depth=1
	buffer_load_dword v54, v51, s[0:3], 0 offen
	buffer_load_dword v55, v51, s[0:3], 0 offen offset:4
	ds_read_b64 v[56:57], v50
	v_add_u32_e32 v52, 1, v52
	v_cmp_lt_u32_e32 vcc, 18, v52
	v_add_u32_e32 v50, 8, v50
	v_add_u32_e32 v51, 8, v51
	s_or_b64 s[12:13], vcc, s[12:13]
	s_waitcnt vmcnt(0) lgkmcnt(0)
	v_fmac_f64_e32 v[46:47], v[54:55], v[56:57]
	s_andn2_b64 exec, exec, s[12:13]
	s_cbranch_execnz .LBB85_397
; %bb.398:
	s_or_b64 exec, exec, s[12:13]
.LBB85_399:
	s_or_b64 exec, exec, s[10:11]
	v_mov_b32_e32 v50, 0
	ds_read_b64 v[50:51], v50 offset:160
	s_waitcnt lgkmcnt(0)
	v_mul_f64 v[46:47], v[46:47], v[50:51]
	buffer_store_dword v47, off, s[0:3], 0 offset:164
	buffer_store_dword v46, off, s[0:3], 0 offset:160
.LBB85_400:
	s_or_b64 exec, exec, s[8:9]
	buffer_load_dword v46, off, s[0:3], 0 offset:168
	buffer_load_dword v47, off, s[0:3], 0 offset:172
	v_cmp_ne_u32_e32 vcc, 21, v0
	s_waitcnt vmcnt(0)
	ds_write_b64 v48, v[46:47]
	s_waitcnt lgkmcnt(0)
	; wave barrier
	s_waitcnt lgkmcnt(0)
	s_and_saveexec_b64 s[8:9], vcc
	s_cbranch_execz .LBB85_410
; %bb.401:
	s_and_b64 vcc, exec, s[4:5]
	s_cbranch_vccnz .LBB85_403
; %bb.402:
	buffer_load_dword v46, v49, s[0:3], 0 offen
	buffer_load_dword v47, v49, s[0:3], 0 offen offset:4
	ds_read_b64 v[50:51], v48
	s_waitcnt vmcnt(0) lgkmcnt(0)
	v_mul_f64 v[46:47], v[46:47], v[50:51]
	s_cbranch_execz .LBB85_404
	s_branch .LBB85_405
.LBB85_403:
                                        ; implicit-def: $vgpr46_vgpr47
.LBB85_404:
	ds_read_b64 v[46:47], v48
.LBB85_405:
	s_and_saveexec_b64 s[4:5], s[6:7]
	s_cbranch_execz .LBB85_409
; %bb.406:
	v_mov_b32_e32 v49, 0
	v_add_u32_e32 v48, 0xb8, v1
	v_add3_u32 v1, v1, v49, 8
	s_mov_b64 s[6:7], 0
.LBB85_407:                             ; =>This Inner Loop Header: Depth=1
	buffer_load_dword v50, v1, s[0:3], 0 offen
	buffer_load_dword v51, v1, s[0:3], 0 offen offset:4
	ds_read_b64 v[52:53], v48
	v_add_u32_e32 v0, 1, v0
	v_cmp_lt_u32_e32 vcc, 19, v0
	v_add_u32_e32 v48, 8, v48
	v_add_u32_e32 v1, 8, v1
	s_or_b64 s[6:7], vcc, s[6:7]
	s_waitcnt vmcnt(0) lgkmcnt(0)
	v_fmac_f64_e32 v[46:47], v[50:51], v[52:53]
	s_andn2_b64 exec, exec, s[6:7]
	s_cbranch_execnz .LBB85_407
; %bb.408:
	s_or_b64 exec, exec, s[6:7]
.LBB85_409:
	s_or_b64 exec, exec, s[4:5]
	v_mov_b32_e32 v0, 0
	ds_read_b64 v[0:1], v0 offset:168
	s_waitcnt lgkmcnt(0)
	v_mul_f64 v[0:1], v[46:47], v[0:1]
	buffer_store_dword v1, off, s[0:3], 0 offset:172
	buffer_store_dword v0, off, s[0:3], 0 offset:168
.LBB85_410:
	s_or_b64 exec, exec, s[8:9]
.LBB85_411:
	buffer_load_dword v0, off, s[0:3], 0
	buffer_load_dword v1, off, s[0:3], 0 offset:4
	buffer_load_dword v46, off, s[0:3], 0 offset:8
	;; [unrolled: 1-line block ×43, first 2 shown]
	s_waitcnt vmcnt(42)
	global_store_dwordx2 v[2:3], v[0:1], off
	s_waitcnt vmcnt(41)
	global_store_dwordx2 v[4:5], v[46:47], off
	;; [unrolled: 2-line block ×9, first 2 shown]
	global_store_dwordx2 v[20:21], v[60:61], off
	global_store_dwordx2 v[22:23], v[62:63], off
	;; [unrolled: 1-line block ×3, first 2 shown]
	s_waitcnt vmcnt(30)
	global_store_dwordx2 v[26:27], v[68:69], off
	s_waitcnt vmcnt(29)
	global_store_dwordx2 v[28:29], v[70:71], off
	;; [unrolled: 2-line block ×10, first 2 shown]
.LBB85_412:
	s_endpgm
	.section	.rodata,"a",@progbits
	.p2align	6, 0x0
	.amdhsa_kernel _ZN9rocsolver6v33100L18trti2_kernel_smallILi22EdPKPdEEv13rocblas_fill_17rocblas_diagonal_T1_iil
		.amdhsa_group_segment_fixed_size 352
		.amdhsa_private_segment_fixed_size 192
		.amdhsa_kernarg_size 32
		.amdhsa_user_sgpr_count 8
		.amdhsa_user_sgpr_private_segment_buffer 1
		.amdhsa_user_sgpr_dispatch_ptr 0
		.amdhsa_user_sgpr_queue_ptr 0
		.amdhsa_user_sgpr_kernarg_segment_ptr 1
		.amdhsa_user_sgpr_dispatch_id 0
		.amdhsa_user_sgpr_flat_scratch_init 1
		.amdhsa_user_sgpr_kernarg_preload_length 0
		.amdhsa_user_sgpr_kernarg_preload_offset 0
		.amdhsa_user_sgpr_private_segment_size 0
		.amdhsa_uses_dynamic_stack 0
		.amdhsa_system_sgpr_private_segment_wavefront_offset 1
		.amdhsa_system_sgpr_workgroup_id_x 1
		.amdhsa_system_sgpr_workgroup_id_y 0
		.amdhsa_system_sgpr_workgroup_id_z 0
		.amdhsa_system_sgpr_workgroup_info 0
		.amdhsa_system_vgpr_workitem_id 0
		.amdhsa_next_free_vgpr 90
		.amdhsa_next_free_sgpr 16
		.amdhsa_accum_offset 92
		.amdhsa_reserve_vcc 1
		.amdhsa_reserve_flat_scratch 0
		.amdhsa_float_round_mode_32 0
		.amdhsa_float_round_mode_16_64 0
		.amdhsa_float_denorm_mode_32 3
		.amdhsa_float_denorm_mode_16_64 3
		.amdhsa_dx10_clamp 1
		.amdhsa_ieee_mode 1
		.amdhsa_fp16_overflow 0
		.amdhsa_tg_split 0
		.amdhsa_exception_fp_ieee_invalid_op 0
		.amdhsa_exception_fp_denorm_src 0
		.amdhsa_exception_fp_ieee_div_zero 0
		.amdhsa_exception_fp_ieee_overflow 0
		.amdhsa_exception_fp_ieee_underflow 0
		.amdhsa_exception_fp_ieee_inexact 0
		.amdhsa_exception_int_div_zero 0
	.end_amdhsa_kernel
	.section	.text._ZN9rocsolver6v33100L18trti2_kernel_smallILi22EdPKPdEEv13rocblas_fill_17rocblas_diagonal_T1_iil,"axG",@progbits,_ZN9rocsolver6v33100L18trti2_kernel_smallILi22EdPKPdEEv13rocblas_fill_17rocblas_diagonal_T1_iil,comdat
.Lfunc_end85:
	.size	_ZN9rocsolver6v33100L18trti2_kernel_smallILi22EdPKPdEEv13rocblas_fill_17rocblas_diagonal_T1_iil, .Lfunc_end85-_ZN9rocsolver6v33100L18trti2_kernel_smallILi22EdPKPdEEv13rocblas_fill_17rocblas_diagonal_T1_iil
                                        ; -- End function
	.section	.AMDGPU.csdata,"",@progbits
; Kernel info:
; codeLenInByte = 12600
; NumSgprs: 20
; NumVgprs: 90
; NumAgprs: 0
; TotalNumVgprs: 90
; ScratchSize: 192
; MemoryBound: 0
; FloatMode: 240
; IeeeMode: 1
; LDSByteSize: 352 bytes/workgroup (compile time only)
; SGPRBlocks: 2
; VGPRBlocks: 11
; NumSGPRsForWavesPerEU: 20
; NumVGPRsForWavesPerEU: 90
; AccumOffset: 92
; Occupancy: 5
; WaveLimiterHint : 1
; COMPUTE_PGM_RSRC2:SCRATCH_EN: 1
; COMPUTE_PGM_RSRC2:USER_SGPR: 8
; COMPUTE_PGM_RSRC2:TRAP_HANDLER: 0
; COMPUTE_PGM_RSRC2:TGID_X_EN: 1
; COMPUTE_PGM_RSRC2:TGID_Y_EN: 0
; COMPUTE_PGM_RSRC2:TGID_Z_EN: 0
; COMPUTE_PGM_RSRC2:TIDIG_COMP_CNT: 0
; COMPUTE_PGM_RSRC3_GFX90A:ACCUM_OFFSET: 22
; COMPUTE_PGM_RSRC3_GFX90A:TG_SPLIT: 0
	.section	.text._ZN9rocsolver6v33100L18trti2_kernel_smallILi23EdPKPdEEv13rocblas_fill_17rocblas_diagonal_T1_iil,"axG",@progbits,_ZN9rocsolver6v33100L18trti2_kernel_smallILi23EdPKPdEEv13rocblas_fill_17rocblas_diagonal_T1_iil,comdat
	.globl	_ZN9rocsolver6v33100L18trti2_kernel_smallILi23EdPKPdEEv13rocblas_fill_17rocblas_diagonal_T1_iil ; -- Begin function _ZN9rocsolver6v33100L18trti2_kernel_smallILi23EdPKPdEEv13rocblas_fill_17rocblas_diagonal_T1_iil
	.p2align	8
	.type	_ZN9rocsolver6v33100L18trti2_kernel_smallILi23EdPKPdEEv13rocblas_fill_17rocblas_diagonal_T1_iil,@function
_ZN9rocsolver6v33100L18trti2_kernel_smallILi23EdPKPdEEv13rocblas_fill_17rocblas_diagonal_T1_iil: ; @_ZN9rocsolver6v33100L18trti2_kernel_smallILi23EdPKPdEEv13rocblas_fill_17rocblas_diagonal_T1_iil
; %bb.0:
	s_add_u32 s0, s0, s9
	s_addc_u32 s1, s1, 0
	v_cmp_gt_u32_e32 vcc, 23, v0
	s_and_saveexec_b64 s[6:7], vcc
	s_cbranch_execz .LBB86_432
; %bb.1:
	s_load_dwordx2 s[6:7], s[4:5], 0x10
	s_load_dwordx4 s[12:15], s[4:5], 0x0
	s_ashr_i32 s9, s8, 31
	s_lshl_b64 s[4:5], s[8:9], 3
	v_lshlrev_b32_e32 v1, 3, v0
	s_waitcnt lgkmcnt(0)
	s_ashr_i32 s9, s6, 31
	s_add_u32 s4, s14, s4
	s_addc_u32 s5, s15, s5
	s_load_dwordx2 s[4:5], s[4:5], 0x0
	s_mov_b32 s8, s6
	s_lshl_b64 s[8:9], s[8:9], 3
	s_waitcnt lgkmcnt(0)
	s_add_u32 s4, s4, s8
	s_addc_u32 s5, s5, s9
	s_add_i32 s6, s7, s7
	v_add_u32_e32 v8, s6, v0
	v_add_u32_e32 v10, s7, v8
	;; [unrolled: 1-line block ×10, first 2 shown]
	v_mov_b32_e32 v3, s5
	v_add_co_u32_e32 v2, vcc, s4, v1
	s_ashr_i32 s9, s7, 31
	s_mov_b32 s8, s7
	v_add_u32_e32 v28, s7, v26
	v_addc_co_u32_e32 v3, vcc, 0, v3, vcc
	s_lshl_b64 s[8:9], s[8:9], 3
	v_add_u32_e32 v30, s7, v28
	v_mov_b32_e32 v5, s9
	v_add_co_u32_e32 v4, vcc, s8, v2
	v_ashrrev_i32_e32 v9, 31, v8
	v_add_u32_e32 v32, s7, v30
	v_addc_co_u32_e32 v5, vcc, v3, v5, vcc
	v_lshlrev_b64 v[6:7], 3, v[8:9]
	v_add_u32_e32 v34, s7, v32
	v_mov_b32_e32 v9, s5
	v_add_co_u32_e32 v6, vcc, s4, v6
	v_ashrrev_i32_e32 v11, 31, v10
	v_add_u32_e32 v36, s7, v34
	v_addc_co_u32_e32 v7, vcc, v9, v7, vcc
	v_lshlrev_b64 v[8:9], 3, v[10:11]
	;; [unrolled: 7-line block ×4, first 2 shown]
	v_add_u32_e32 v46, s7, v44
	v_mov_b32_e32 v15, s5
	v_add_co_u32_e32 v12, vcc, s4, v12
	v_add_u32_e32 v14, s7, v46
	v_addc_co_u32_e32 v13, vcc, v15, v13, vcc
	v_ashrrev_i32_e32 v15, 31, v14
	v_lshlrev_b64 v[14:15], 3, v[14:15]
	v_mov_b32_e32 v17, s5
	v_add_co_u32_e32 v14, vcc, s4, v14
	v_addc_co_u32_e32 v15, vcc, v17, v15, vcc
	global_load_dwordx2 v[48:49], v[4:5], off
	global_load_dwordx2 v[50:51], v[6:7], off
	;; [unrolled: 1-line block ×4, first 2 shown]
	global_load_dwordx2 v[56:57], v1, s[4:5]
	global_load_dwordx2 v[58:59], v[14:15], off
	v_ashrrev_i32_e32 v17, 31, v16
	v_lshlrev_b64 v[16:17], 3, v[16:17]
	v_mov_b32_e32 v19, s5
	v_add_co_u32_e32 v16, vcc, s4, v16
	v_addc_co_u32_e32 v17, vcc, v19, v17, vcc
	v_ashrrev_i32_e32 v19, 31, v18
	v_lshlrev_b64 v[18:19], 3, v[18:19]
	v_mov_b32_e32 v21, s5
	v_add_co_u32_e32 v18, vcc, s4, v18
	v_addc_co_u32_e32 v19, vcc, v21, v19, vcc
	v_ashrrev_i32_e32 v21, 31, v20
	v_lshlrev_b64 v[20:21], 3, v[20:21]
	v_mov_b32_e32 v23, s5
	v_add_co_u32_e32 v20, vcc, s4, v20
	v_addc_co_u32_e32 v21, vcc, v23, v21, vcc
	v_ashrrev_i32_e32 v23, 31, v22
	v_lshlrev_b64 v[22:23], 3, v[22:23]
	v_mov_b32_e32 v25, s5
	v_add_co_u32_e32 v22, vcc, s4, v22
	v_addc_co_u32_e32 v23, vcc, v25, v23, vcc
	v_ashrrev_i32_e32 v25, 31, v24
	v_lshlrev_b64 v[24:25], 3, v[24:25]
	v_mov_b32_e32 v27, s5
	v_add_co_u32_e32 v24, vcc, s4, v24
	v_addc_co_u32_e32 v25, vcc, v27, v25, vcc
	v_ashrrev_i32_e32 v27, 31, v26
	v_lshlrev_b64 v[26:27], 3, v[26:27]
	v_mov_b32_e32 v29, s5
	v_add_co_u32_e32 v26, vcc, s4, v26
	v_addc_co_u32_e32 v27, vcc, v29, v27, vcc
	v_ashrrev_i32_e32 v29, 31, v28
	v_lshlrev_b64 v[28:29], 3, v[28:29]
	v_mov_b32_e32 v31, s5
	v_add_co_u32_e32 v28, vcc, s4, v28
	v_addc_co_u32_e32 v29, vcc, v31, v29, vcc
	v_ashrrev_i32_e32 v31, 31, v30
	v_lshlrev_b64 v[30:31], 3, v[30:31]
	v_mov_b32_e32 v33, s5
	v_add_co_u32_e32 v30, vcc, s4, v30
	v_addc_co_u32_e32 v31, vcc, v33, v31, vcc
	v_ashrrev_i32_e32 v33, 31, v32
	v_lshlrev_b64 v[32:33], 3, v[32:33]
	v_mov_b32_e32 v35, s5
	v_add_co_u32_e32 v32, vcc, s4, v32
	v_addc_co_u32_e32 v33, vcc, v35, v33, vcc
	v_ashrrev_i32_e32 v35, 31, v34
	v_lshlrev_b64 v[34:35], 3, v[34:35]
	v_mov_b32_e32 v37, s5
	v_add_co_u32_e32 v34, vcc, s4, v34
	v_addc_co_u32_e32 v35, vcc, v37, v35, vcc
	v_ashrrev_i32_e32 v37, 31, v36
	v_lshlrev_b64 v[36:37], 3, v[36:37]
	v_mov_b32_e32 v39, s5
	v_add_co_u32_e32 v36, vcc, s4, v36
	v_addc_co_u32_e32 v37, vcc, v39, v37, vcc
	v_ashrrev_i32_e32 v39, 31, v38
	v_lshlrev_b64 v[38:39], 3, v[38:39]
	v_mov_b32_e32 v41, s5
	v_add_co_u32_e32 v38, vcc, s4, v38
	v_addc_co_u32_e32 v39, vcc, v41, v39, vcc
	v_ashrrev_i32_e32 v41, 31, v40
	v_lshlrev_b64 v[40:41], 3, v[40:41]
	v_mov_b32_e32 v43, s5
	v_add_co_u32_e32 v40, vcc, s4, v40
	v_addc_co_u32_e32 v41, vcc, v43, v41, vcc
	v_ashrrev_i32_e32 v43, 31, v42
	v_lshlrev_b64 v[42:43], 3, v[42:43]
	v_mov_b32_e32 v45, s5
	v_add_co_u32_e32 v42, vcc, s4, v42
	v_addc_co_u32_e32 v43, vcc, v45, v43, vcc
	v_ashrrev_i32_e32 v45, 31, v44
	v_lshlrev_b64 v[44:45], 3, v[44:45]
	global_load_dwordx2 v[60:61], v[12:13], off
	global_load_dwordx2 v[62:63], v[16:17], off
	;; [unrolled: 1-line block ×12, first 2 shown]
	v_mov_b32_e32 v47, s5
	v_add_co_u32_e32 v44, vcc, s4, v44
	global_load_dwordx2 v[84:85], v[38:39], off
	global_load_dwordx2 v[86:87], v[40:41], off
	v_addc_co_u32_e32 v45, vcc, v47, v45, vcc
	v_ashrrev_i32_e32 v47, 31, v46
	v_lshlrev_b64 v[46:47], 3, v[46:47]
	v_mov_b32_e32 v88, s5
	v_add_co_u32_e32 v46, vcc, s4, v46
	v_addc_co_u32_e32 v47, vcc, v88, v47, vcc
	global_load_dwordx2 v[88:89], v[42:43], off
	global_load_dwordx2 v[90:91], v[44:45], off
	s_cmpk_lg_i32 s13, 0x84
	s_waitcnt vmcnt(17)
	buffer_store_dword v57, off, s[0:3], 0 offset:4
	buffer_store_dword v56, off, s[0:3], 0
	global_load_dwordx2 v[56:57], v[46:47], off
	s_nop 0
	buffer_store_dword v49, off, s[0:3], 0 offset:12
	buffer_store_dword v48, off, s[0:3], 0 offset:8
	;; [unrolled: 1-line block ×8, first 2 shown]
	s_waitcnt vmcnt(26)
	buffer_store_dword v61, off, s[0:3], 0 offset:44
	buffer_store_dword v60, off, s[0:3], 0 offset:40
	s_waitcnt vmcnt(27)
	buffer_store_dword v63, off, s[0:3], 0 offset:52
	buffer_store_dword v62, off, s[0:3], 0 offset:48
	;; [unrolled: 3-line block ×13, first 2 shown]
	v_mov_b32_e32 v48, 0
	v_mov_b32_e32 v71, 0
	s_cselect_b64 s[8:9], -1, 0
	s_cmpk_eq_i32 s13, 0x84
	v_mov_b32_e32 v49, 0xbff00000
	s_waitcnt vmcnt(39)
	buffer_store_dword v86, off, s[0:3], 0 offset:144
	buffer_store_dword v87, off, s[0:3], 0 offset:148
	s_waitcnt vmcnt(40)
	buffer_store_dword v89, off, s[0:3], 0 offset:156
	buffer_store_dword v88, off, s[0:3], 0 offset:152
	;; [unrolled: 3-line block ×4, first 2 shown]
	buffer_store_dword v58, off, s[0:3], 0 offset:176
	buffer_store_dword v59, off, s[0:3], 0 offset:180
	s_cbranch_scc1 .LBB86_3
; %bb.2:
	v_lshl_add_u32 v58, v0, 3, v71
	buffer_load_dword v48, v58, s[0:3], 0 offen
	buffer_load_dword v49, v58, s[0:3], 0 offen offset:4
	s_waitcnt vmcnt(0)
	v_div_scale_f64 v[50:51], s[4:5], v[48:49], v[48:49], 1.0
	v_rcp_f64_e32 v[52:53], v[50:51]
	v_div_scale_f64 v[54:55], vcc, 1.0, v[48:49], 1.0
	v_fma_f64 v[56:57], -v[50:51], v[52:53], 1.0
	v_fmac_f64_e32 v[52:53], v[52:53], v[56:57]
	v_fma_f64 v[56:57], -v[50:51], v[52:53], 1.0
	v_fmac_f64_e32 v[52:53], v[52:53], v[56:57]
	v_mul_f64 v[56:57], v[54:55], v[52:53]
	v_fma_f64 v[50:51], -v[50:51], v[56:57], v[54:55]
	v_div_fmas_f64 v[50:51], v[50:51], v[52:53], v[56:57]
	v_div_fixup_f64 v[48:49], v[50:51], v[48:49], 1.0
	buffer_store_dword v48, v58, s[0:3], 0 offen
	buffer_store_dword v49, v58, s[0:3], 0 offen offset:4
	v_xor_b32_e32 v49, 0x80000000, v49
.LBB86_3:
	s_cmpk_eq_i32 s12, 0x79
	v_add_u32_e32 v50, 0xc0, v1
	v_add_u32_e32 v51, 0, v1
	s_mov_b64 s[4:5], -1
	ds_write_b64 v1, v[48:49]
	s_cbranch_scc1 .LBB86_217
; %bb.4:
	buffer_load_dword v48, off, s[0:3], 0 offset:168
	buffer_load_dword v49, off, s[0:3], 0 offset:172
	v_cmp_eq_u32_e64 s[4:5], 22, v0
	s_waitcnt vmcnt(0)
	ds_write_b64 v50, v[48:49]
	s_waitcnt lgkmcnt(0)
	; wave barrier
	s_waitcnt lgkmcnt(0)
	s_and_saveexec_b64 s[6:7], s[4:5]
	s_cbranch_execz .LBB86_10
; %bb.5:
	s_and_b64 vcc, exec, s[8:9]
	s_cbranch_vccz .LBB86_7
; %bb.6:
	buffer_load_dword v48, v51, s[0:3], 0 offen
	buffer_load_dword v49, v51, s[0:3], 0 offen offset:4
	ds_read_b64 v[52:53], v50
	s_waitcnt vmcnt(0) lgkmcnt(0)
	v_mul_f64 v[48:49], v[48:49], v[52:53]
	s_cbranch_execz .LBB86_8
	s_branch .LBB86_9
.LBB86_7:
                                        ; implicit-def: $vgpr48_vgpr49
.LBB86_8:
	ds_read_b64 v[48:49], v50
.LBB86_9:
	v_mov_b32_e32 v52, 0
	ds_read_b64 v[52:53], v52 offset:168
	s_waitcnt lgkmcnt(0)
	v_mul_f64 v[48:49], v[48:49], v[52:53]
	buffer_store_dword v49, off, s[0:3], 0 offset:172
	buffer_store_dword v48, off, s[0:3], 0 offset:168
.LBB86_10:
	s_or_b64 exec, exec, s[6:7]
	buffer_load_dword v48, off, s[0:3], 0 offset:160
	buffer_load_dword v49, off, s[0:3], 0 offset:164
	v_or_b32_e32 v52, 8, v71
	v_add_u32_e32 v53, 16, v71
	v_add_u32_e32 v54, 24, v71
	;; [unrolled: 1-line block ×19, first 2 shown]
	v_cmp_lt_u32_e64 s[6:7], 20, v0
	s_waitcnt vmcnt(0)
	ds_write_b64 v50, v[48:49]
	s_waitcnt lgkmcnt(0)
	; wave barrier
	s_waitcnt lgkmcnt(0)
	s_and_saveexec_b64 s[10:11], s[6:7]
	s_cbranch_execz .LBB86_16
; %bb.11:
	s_andn2_b64 vcc, exec, s[8:9]
	s_cbranch_vccnz .LBB86_13
; %bb.12:
	buffer_load_dword v48, v51, s[0:3], 0 offen
	buffer_load_dword v49, v51, s[0:3], 0 offen offset:4
	ds_read_b64 v[72:73], v50
	s_waitcnt vmcnt(0) lgkmcnt(0)
	v_mul_f64 v[48:49], v[48:49], v[72:73]
	s_cbranch_execz .LBB86_14
	s_branch .LBB86_15
.LBB86_13:
                                        ; implicit-def: $vgpr48_vgpr49
.LBB86_14:
	ds_read_b64 v[48:49], v50
.LBB86_15:
	buffer_load_dword v76, off, s[0:3], 0 offset:168
	buffer_load_dword v77, off, s[0:3], 0 offset:172
	v_mov_b32_e32 v72, 0
	ds_read2_b64 v[72:75], v72 offset0:20 offset1:45
	s_waitcnt vmcnt(0) lgkmcnt(0)
	v_fma_f64 v[74:75], v[76:77], v[74:75], v[48:49]
	v_cndmask_b32_e64 v49, v49, v75, s[4:5]
	v_cndmask_b32_e64 v48, v48, v74, s[4:5]
	v_mul_f64 v[48:49], v[48:49], v[72:73]
	buffer_store_dword v49, off, s[0:3], 0 offset:164
	buffer_store_dword v48, off, s[0:3], 0 offset:160
.LBB86_16:
	s_or_b64 exec, exec, s[10:11]
	buffer_load_dword v48, off, s[0:3], 0 offset:152
	buffer_load_dword v49, off, s[0:3], 0 offset:156
	v_cmp_lt_u32_e64 s[4:5], 19, v0
	s_waitcnt vmcnt(0)
	ds_write_b64 v50, v[48:49]
	s_waitcnt lgkmcnt(0)
	; wave barrier
	s_waitcnt lgkmcnt(0)
	s_and_saveexec_b64 s[10:11], s[4:5]
	s_cbranch_execz .LBB86_26
; %bb.17:
	s_andn2_b64 vcc, exec, s[8:9]
	s_cbranch_vccnz .LBB86_19
; %bb.18:
	buffer_load_dword v48, v51, s[0:3], 0 offen
	buffer_load_dword v49, v51, s[0:3], 0 offen offset:4
	ds_read_b64 v[72:73], v50
	s_waitcnt vmcnt(0) lgkmcnt(0)
	v_mul_f64 v[48:49], v[48:49], v[72:73]
	s_cbranch_execz .LBB86_20
	s_branch .LBB86_21
.LBB86_19:
                                        ; implicit-def: $vgpr48_vgpr49
.LBB86_20:
	ds_read_b64 v[48:49], v50
.LBB86_21:
	s_and_saveexec_b64 s[12:13], s[6:7]
	s_cbranch_execz .LBB86_25
; %bb.22:
	v_subrev_u32_e32 v72, 20, v0
	s_movk_i32 s14, 0x160
	s_mov_b64 s[6:7], 0
.LBB86_23:                              ; =>This Inner Loop Header: Depth=1
	buffer_load_dword v74, v71, s[0:3], 0 offen
	buffer_load_dword v75, v71, s[0:3], 0 offen offset:4
	v_mov_b32_e32 v73, s14
	ds_read_b64 v[76:77], v73
	v_add_u32_e32 v72, -1, v72
	s_add_i32 s14, s14, 8
	v_cmp_eq_u32_e32 vcc, 0, v72
	v_add_u32_e32 v71, 8, v71
	s_or_b64 s[6:7], vcc, s[6:7]
	s_waitcnt vmcnt(0) lgkmcnt(0)
	v_fmac_f64_e32 v[48:49], v[74:75], v[76:77]
	s_andn2_b64 exec, exec, s[6:7]
	s_cbranch_execnz .LBB86_23
; %bb.24:
	s_or_b64 exec, exec, s[6:7]
.LBB86_25:
	s_or_b64 exec, exec, s[12:13]
	v_mov_b32_e32 v71, 0
	ds_read_b64 v[72:73], v71 offset:152
	s_waitcnt lgkmcnt(0)
	v_mul_f64 v[48:49], v[48:49], v[72:73]
	buffer_store_dword v49, off, s[0:3], 0 offset:156
	buffer_store_dword v48, off, s[0:3], 0 offset:152
.LBB86_26:
	s_or_b64 exec, exec, s[10:11]
	buffer_load_dword v48, off, s[0:3], 0 offset:144
	buffer_load_dword v49, off, s[0:3], 0 offset:148
	v_cmp_lt_u32_e64 s[6:7], 18, v0
	s_waitcnt vmcnt(0)
	ds_write_b64 v50, v[48:49]
	s_waitcnt lgkmcnt(0)
	; wave barrier
	s_waitcnt lgkmcnt(0)
	s_and_saveexec_b64 s[10:11], s[6:7]
	s_cbranch_execz .LBB86_36
; %bb.27:
	s_andn2_b64 vcc, exec, s[8:9]
	s_cbranch_vccnz .LBB86_29
; %bb.28:
	buffer_load_dword v48, v51, s[0:3], 0 offen
	buffer_load_dword v49, v51, s[0:3], 0 offen offset:4
	ds_read_b64 v[72:73], v50
	s_waitcnt vmcnt(0) lgkmcnt(0)
	v_mul_f64 v[48:49], v[48:49], v[72:73]
	s_cbranch_execz .LBB86_30
	s_branch .LBB86_31
.LBB86_29:
                                        ; implicit-def: $vgpr48_vgpr49
.LBB86_30:
	ds_read_b64 v[48:49], v50
.LBB86_31:
	s_and_saveexec_b64 s[12:13], s[4:5]
	s_cbranch_execz .LBB86_35
; %bb.32:
	v_subrev_u32_e32 v71, 19, v0
	s_movk_i32 s14, 0x158
	s_mov_b64 s[4:5], 0
.LBB86_33:                              ; =>This Inner Loop Header: Depth=1
	buffer_load_dword v72, v70, s[0:3], 0 offen
	buffer_load_dword v73, v70, s[0:3], 0 offen offset:4
	v_mov_b32_e32 v74, s14
	ds_read_b64 v[74:75], v74
	v_add_u32_e32 v71, -1, v71
	s_add_i32 s14, s14, 8
	v_cmp_eq_u32_e32 vcc, 0, v71
	v_add_u32_e32 v70, 8, v70
	s_or_b64 s[4:5], vcc, s[4:5]
	s_waitcnt vmcnt(0) lgkmcnt(0)
	v_fmac_f64_e32 v[48:49], v[72:73], v[74:75]
	s_andn2_b64 exec, exec, s[4:5]
	s_cbranch_execnz .LBB86_33
; %bb.34:
	s_or_b64 exec, exec, s[4:5]
.LBB86_35:
	s_or_b64 exec, exec, s[12:13]
	v_mov_b32_e32 v70, 0
	ds_read_b64 v[70:71], v70 offset:144
	s_waitcnt lgkmcnt(0)
	v_mul_f64 v[48:49], v[48:49], v[70:71]
	buffer_store_dword v49, off, s[0:3], 0 offset:148
	buffer_store_dword v48, off, s[0:3], 0 offset:144
.LBB86_36:
	;; [unrolled: 58-line block ×4, first 2 shown]
	s_or_b64 exec, exec, s[10:11]
	buffer_load_dword v48, off, s[0:3], 0 offset:120
	buffer_load_dword v49, off, s[0:3], 0 offset:124
	v_cmp_lt_u32_e64 s[4:5], 15, v0
	s_waitcnt vmcnt(0)
	ds_write_b64 v50, v[48:49]
	s_waitcnt lgkmcnt(0)
	; wave barrier
	s_waitcnt lgkmcnt(0)
	s_and_saveexec_b64 s[10:11], s[4:5]
	s_cbranch_execz .LBB86_66
; %bb.57:
	s_andn2_b64 vcc, exec, s[8:9]
	s_cbranch_vccnz .LBB86_59
; %bb.58:
	buffer_load_dword v48, v51, s[0:3], 0 offen
	buffer_load_dword v49, v51, s[0:3], 0 offen offset:4
	ds_read_b64 v[68:69], v50
	s_waitcnt vmcnt(0) lgkmcnt(0)
	v_mul_f64 v[48:49], v[48:49], v[68:69]
	s_cbranch_execz .LBB86_60
	s_branch .LBB86_61
.LBB86_59:
                                        ; implicit-def: $vgpr48_vgpr49
.LBB86_60:
	ds_read_b64 v[48:49], v50
.LBB86_61:
	s_and_saveexec_b64 s[12:13], s[6:7]
	s_cbranch_execz .LBB86_65
; %bb.62:
	v_add_u32_e32 v68, -16, v0
	s_movk_i32 s14, 0x140
	s_mov_b64 s[6:7], 0
.LBB86_63:                              ; =>This Inner Loop Header: Depth=1
	buffer_load_dword v70, v67, s[0:3], 0 offen
	buffer_load_dword v71, v67, s[0:3], 0 offen offset:4
	v_mov_b32_e32 v69, s14
	ds_read_b64 v[72:73], v69
	v_add_u32_e32 v68, -1, v68
	s_add_i32 s14, s14, 8
	v_cmp_eq_u32_e32 vcc, 0, v68
	v_add_u32_e32 v67, 8, v67
	s_or_b64 s[6:7], vcc, s[6:7]
	s_waitcnt vmcnt(0) lgkmcnt(0)
	v_fmac_f64_e32 v[48:49], v[70:71], v[72:73]
	s_andn2_b64 exec, exec, s[6:7]
	s_cbranch_execnz .LBB86_63
; %bb.64:
	s_or_b64 exec, exec, s[6:7]
.LBB86_65:
	s_or_b64 exec, exec, s[12:13]
	v_mov_b32_e32 v67, 0
	ds_read_b64 v[68:69], v67 offset:120
	s_waitcnt lgkmcnt(0)
	v_mul_f64 v[48:49], v[48:49], v[68:69]
	buffer_store_dword v49, off, s[0:3], 0 offset:124
	buffer_store_dword v48, off, s[0:3], 0 offset:120
.LBB86_66:
	s_or_b64 exec, exec, s[10:11]
	buffer_load_dword v48, off, s[0:3], 0 offset:112
	buffer_load_dword v49, off, s[0:3], 0 offset:116
	v_cmp_lt_u32_e64 s[6:7], 14, v0
	s_waitcnt vmcnt(0)
	ds_write_b64 v50, v[48:49]
	s_waitcnt lgkmcnt(0)
	; wave barrier
	s_waitcnt lgkmcnt(0)
	s_and_saveexec_b64 s[10:11], s[6:7]
	s_cbranch_execz .LBB86_76
; %bb.67:
	s_andn2_b64 vcc, exec, s[8:9]
	s_cbranch_vccnz .LBB86_69
; %bb.68:
	buffer_load_dword v48, v51, s[0:3], 0 offen
	buffer_load_dword v49, v51, s[0:3], 0 offen offset:4
	ds_read_b64 v[68:69], v50
	s_waitcnt vmcnt(0) lgkmcnt(0)
	v_mul_f64 v[48:49], v[48:49], v[68:69]
	s_cbranch_execz .LBB86_70
	s_branch .LBB86_71
.LBB86_69:
                                        ; implicit-def: $vgpr48_vgpr49
.LBB86_70:
	ds_read_b64 v[48:49], v50
.LBB86_71:
	s_and_saveexec_b64 s[12:13], s[4:5]
	s_cbranch_execz .LBB86_75
; %bb.72:
	v_add_u32_e32 v67, -15, v0
	s_movk_i32 s14, 0x138
	s_mov_b64 s[4:5], 0
.LBB86_73:                              ; =>This Inner Loop Header: Depth=1
	buffer_load_dword v68, v66, s[0:3], 0 offen
	buffer_load_dword v69, v66, s[0:3], 0 offen offset:4
	v_mov_b32_e32 v70, s14
	ds_read_b64 v[70:71], v70
	v_add_u32_e32 v67, -1, v67
	s_add_i32 s14, s14, 8
	v_cmp_eq_u32_e32 vcc, 0, v67
	v_add_u32_e32 v66, 8, v66
	s_or_b64 s[4:5], vcc, s[4:5]
	s_waitcnt vmcnt(0) lgkmcnt(0)
	v_fmac_f64_e32 v[48:49], v[68:69], v[70:71]
	s_andn2_b64 exec, exec, s[4:5]
	s_cbranch_execnz .LBB86_73
; %bb.74:
	s_or_b64 exec, exec, s[4:5]
.LBB86_75:
	s_or_b64 exec, exec, s[12:13]
	v_mov_b32_e32 v66, 0
	ds_read_b64 v[66:67], v66 offset:112
	s_waitcnt lgkmcnt(0)
	v_mul_f64 v[48:49], v[48:49], v[66:67]
	buffer_store_dword v49, off, s[0:3], 0 offset:116
	buffer_store_dword v48, off, s[0:3], 0 offset:112
.LBB86_76:
	;; [unrolled: 58-line block ×4, first 2 shown]
	s_or_b64 exec, exec, s[10:11]
	buffer_load_dword v48, off, s[0:3], 0 offset:88
	buffer_load_dword v49, off, s[0:3], 0 offset:92
	v_cmp_lt_u32_e64 s[4:5], 11, v0
	s_waitcnt vmcnt(0)
	ds_write_b64 v50, v[48:49]
	s_waitcnt lgkmcnt(0)
	; wave barrier
	s_waitcnt lgkmcnt(0)
	s_and_saveexec_b64 s[10:11], s[4:5]
	s_cbranch_execz .LBB86_106
; %bb.97:
	s_andn2_b64 vcc, exec, s[8:9]
	s_cbranch_vccnz .LBB86_99
; %bb.98:
	buffer_load_dword v48, v51, s[0:3], 0 offen
	buffer_load_dword v49, v51, s[0:3], 0 offen offset:4
	ds_read_b64 v[64:65], v50
	s_waitcnt vmcnt(0) lgkmcnt(0)
	v_mul_f64 v[48:49], v[48:49], v[64:65]
	s_cbranch_execz .LBB86_100
	s_branch .LBB86_101
.LBB86_99:
                                        ; implicit-def: $vgpr48_vgpr49
.LBB86_100:
	ds_read_b64 v[48:49], v50
.LBB86_101:
	s_and_saveexec_b64 s[12:13], s[6:7]
	s_cbranch_execz .LBB86_105
; %bb.102:
	v_add_u32_e32 v64, -12, v0
	s_movk_i32 s14, 0x120
	s_mov_b64 s[6:7], 0
.LBB86_103:                             ; =>This Inner Loop Header: Depth=1
	buffer_load_dword v66, v63, s[0:3], 0 offen
	buffer_load_dword v67, v63, s[0:3], 0 offen offset:4
	v_mov_b32_e32 v65, s14
	ds_read_b64 v[68:69], v65
	v_add_u32_e32 v64, -1, v64
	s_add_i32 s14, s14, 8
	v_cmp_eq_u32_e32 vcc, 0, v64
	v_add_u32_e32 v63, 8, v63
	s_or_b64 s[6:7], vcc, s[6:7]
	s_waitcnt vmcnt(0) lgkmcnt(0)
	v_fmac_f64_e32 v[48:49], v[66:67], v[68:69]
	s_andn2_b64 exec, exec, s[6:7]
	s_cbranch_execnz .LBB86_103
; %bb.104:
	s_or_b64 exec, exec, s[6:7]
.LBB86_105:
	s_or_b64 exec, exec, s[12:13]
	v_mov_b32_e32 v63, 0
	ds_read_b64 v[64:65], v63 offset:88
	s_waitcnt lgkmcnt(0)
	v_mul_f64 v[48:49], v[48:49], v[64:65]
	buffer_store_dword v49, off, s[0:3], 0 offset:92
	buffer_store_dword v48, off, s[0:3], 0 offset:88
.LBB86_106:
	s_or_b64 exec, exec, s[10:11]
	buffer_load_dword v48, off, s[0:3], 0 offset:80
	buffer_load_dword v49, off, s[0:3], 0 offset:84
	v_cmp_lt_u32_e64 s[6:7], 10, v0
	s_waitcnt vmcnt(0)
	ds_write_b64 v50, v[48:49]
	s_waitcnt lgkmcnt(0)
	; wave barrier
	s_waitcnt lgkmcnt(0)
	s_and_saveexec_b64 s[10:11], s[6:7]
	s_cbranch_execz .LBB86_116
; %bb.107:
	s_andn2_b64 vcc, exec, s[8:9]
	s_cbranch_vccnz .LBB86_109
; %bb.108:
	buffer_load_dword v48, v51, s[0:3], 0 offen
	buffer_load_dword v49, v51, s[0:3], 0 offen offset:4
	ds_read_b64 v[64:65], v50
	s_waitcnt vmcnt(0) lgkmcnt(0)
	v_mul_f64 v[48:49], v[48:49], v[64:65]
	s_cbranch_execz .LBB86_110
	s_branch .LBB86_111
.LBB86_109:
                                        ; implicit-def: $vgpr48_vgpr49
.LBB86_110:
	ds_read_b64 v[48:49], v50
.LBB86_111:
	s_and_saveexec_b64 s[12:13], s[4:5]
	s_cbranch_execz .LBB86_115
; %bb.112:
	v_add_u32_e32 v63, -11, v0
	s_movk_i32 s14, 0x118
	s_mov_b64 s[4:5], 0
.LBB86_113:                             ; =>This Inner Loop Header: Depth=1
	buffer_load_dword v64, v62, s[0:3], 0 offen
	buffer_load_dword v65, v62, s[0:3], 0 offen offset:4
	v_mov_b32_e32 v66, s14
	ds_read_b64 v[66:67], v66
	v_add_u32_e32 v63, -1, v63
	s_add_i32 s14, s14, 8
	v_cmp_eq_u32_e32 vcc, 0, v63
	v_add_u32_e32 v62, 8, v62
	s_or_b64 s[4:5], vcc, s[4:5]
	s_waitcnt vmcnt(0) lgkmcnt(0)
	v_fmac_f64_e32 v[48:49], v[64:65], v[66:67]
	s_andn2_b64 exec, exec, s[4:5]
	s_cbranch_execnz .LBB86_113
; %bb.114:
	s_or_b64 exec, exec, s[4:5]
.LBB86_115:
	s_or_b64 exec, exec, s[12:13]
	v_mov_b32_e32 v62, 0
	ds_read_b64 v[62:63], v62 offset:80
	s_waitcnt lgkmcnt(0)
	v_mul_f64 v[48:49], v[48:49], v[62:63]
	buffer_store_dword v49, off, s[0:3], 0 offset:84
	buffer_store_dword v48, off, s[0:3], 0 offset:80
.LBB86_116:
	s_or_b64 exec, exec, s[10:11]
	buffer_load_dword v48, off, s[0:3], 0 offset:72
	buffer_load_dword v49, off, s[0:3], 0 offset:76
	v_cmp_lt_u32_e64 s[4:5], 9, v0
	s_waitcnt vmcnt(0)
	ds_write_b64 v50, v[48:49]
	s_waitcnt lgkmcnt(0)
	; wave barrier
	s_waitcnt lgkmcnt(0)
	s_and_saveexec_b64 s[10:11], s[4:5]
	s_cbranch_execz .LBB86_126
; %bb.117:
	s_andn2_b64 vcc, exec, s[8:9]
	s_cbranch_vccnz .LBB86_119
; %bb.118:
	buffer_load_dword v48, v51, s[0:3], 0 offen
	buffer_load_dword v49, v51, s[0:3], 0 offen offset:4
	ds_read_b64 v[62:63], v50
	s_waitcnt vmcnt(0) lgkmcnt(0)
	v_mul_f64 v[48:49], v[48:49], v[62:63]
	s_cbranch_execz .LBB86_120
	s_branch .LBB86_121
.LBB86_119:
                                        ; implicit-def: $vgpr48_vgpr49
.LBB86_120:
	ds_read_b64 v[48:49], v50
.LBB86_121:
	s_and_saveexec_b64 s[12:13], s[6:7]
	s_cbranch_execz .LBB86_125
; %bb.122:
	v_add_u32_e32 v62, -10, v0
	s_movk_i32 s14, 0x110
	s_mov_b64 s[6:7], 0
.LBB86_123:                             ; =>This Inner Loop Header: Depth=1
	buffer_load_dword v64, v61, s[0:3], 0 offen
	buffer_load_dword v65, v61, s[0:3], 0 offen offset:4
	v_mov_b32_e32 v63, s14
	ds_read_b64 v[66:67], v63
	v_add_u32_e32 v62, -1, v62
	s_add_i32 s14, s14, 8
	v_cmp_eq_u32_e32 vcc, 0, v62
	v_add_u32_e32 v61, 8, v61
	s_or_b64 s[6:7], vcc, s[6:7]
	s_waitcnt vmcnt(0) lgkmcnt(0)
	v_fmac_f64_e32 v[48:49], v[64:65], v[66:67]
	s_andn2_b64 exec, exec, s[6:7]
	s_cbranch_execnz .LBB86_123
; %bb.124:
	s_or_b64 exec, exec, s[6:7]
.LBB86_125:
	s_or_b64 exec, exec, s[12:13]
	v_mov_b32_e32 v61, 0
	ds_read_b64 v[62:63], v61 offset:72
	s_waitcnt lgkmcnt(0)
	v_mul_f64 v[48:49], v[48:49], v[62:63]
	buffer_store_dword v49, off, s[0:3], 0 offset:76
	buffer_store_dword v48, off, s[0:3], 0 offset:72
.LBB86_126:
	s_or_b64 exec, exec, s[10:11]
	buffer_load_dword v48, off, s[0:3], 0 offset:64
	buffer_load_dword v49, off, s[0:3], 0 offset:68
	v_cmp_lt_u32_e64 s[6:7], 8, v0
	s_waitcnt vmcnt(0)
	ds_write_b64 v50, v[48:49]
	s_waitcnt lgkmcnt(0)
	; wave barrier
	s_waitcnt lgkmcnt(0)
	s_and_saveexec_b64 s[10:11], s[6:7]
	s_cbranch_execz .LBB86_136
; %bb.127:
	s_andn2_b64 vcc, exec, s[8:9]
	s_cbranch_vccnz .LBB86_129
; %bb.128:
	buffer_load_dword v48, v51, s[0:3], 0 offen
	buffer_load_dword v49, v51, s[0:3], 0 offen offset:4
	ds_read_b64 v[62:63], v50
	s_waitcnt vmcnt(0) lgkmcnt(0)
	v_mul_f64 v[48:49], v[48:49], v[62:63]
	s_cbranch_execz .LBB86_130
	s_branch .LBB86_131
.LBB86_129:
                                        ; implicit-def: $vgpr48_vgpr49
.LBB86_130:
	ds_read_b64 v[48:49], v50
.LBB86_131:
	s_and_saveexec_b64 s[12:13], s[4:5]
	s_cbranch_execz .LBB86_135
; %bb.132:
	v_add_u32_e32 v61, -9, v0
	s_movk_i32 s14, 0x108
	s_mov_b64 s[4:5], 0
.LBB86_133:                             ; =>This Inner Loop Header: Depth=1
	buffer_load_dword v62, v60, s[0:3], 0 offen
	buffer_load_dword v63, v60, s[0:3], 0 offen offset:4
	v_mov_b32_e32 v64, s14
	ds_read_b64 v[64:65], v64
	v_add_u32_e32 v61, -1, v61
	s_add_i32 s14, s14, 8
	v_cmp_eq_u32_e32 vcc, 0, v61
	v_add_u32_e32 v60, 8, v60
	s_or_b64 s[4:5], vcc, s[4:5]
	s_waitcnt vmcnt(0) lgkmcnt(0)
	v_fmac_f64_e32 v[48:49], v[62:63], v[64:65]
	s_andn2_b64 exec, exec, s[4:5]
	s_cbranch_execnz .LBB86_133
; %bb.134:
	s_or_b64 exec, exec, s[4:5]
.LBB86_135:
	s_or_b64 exec, exec, s[12:13]
	v_mov_b32_e32 v60, 0
	ds_read_b64 v[60:61], v60 offset:64
	s_waitcnt lgkmcnt(0)
	v_mul_f64 v[48:49], v[48:49], v[60:61]
	buffer_store_dword v49, off, s[0:3], 0 offset:68
	buffer_store_dword v48, off, s[0:3], 0 offset:64
.LBB86_136:
	s_or_b64 exec, exec, s[10:11]
	buffer_load_dword v48, off, s[0:3], 0 offset:56
	buffer_load_dword v49, off, s[0:3], 0 offset:60
	v_cmp_lt_u32_e64 s[4:5], 7, v0
	s_waitcnt vmcnt(0)
	ds_write_b64 v50, v[48:49]
	s_waitcnt lgkmcnt(0)
	; wave barrier
	s_waitcnt lgkmcnt(0)
	s_and_saveexec_b64 s[10:11], s[4:5]
	s_cbranch_execz .LBB86_146
; %bb.137:
	s_andn2_b64 vcc, exec, s[8:9]
	s_cbranch_vccnz .LBB86_139
; %bb.138:
	buffer_load_dword v48, v51, s[0:3], 0 offen
	buffer_load_dword v49, v51, s[0:3], 0 offen offset:4
	ds_read_b64 v[60:61], v50
	s_waitcnt vmcnt(0) lgkmcnt(0)
	v_mul_f64 v[48:49], v[48:49], v[60:61]
	s_cbranch_execz .LBB86_140
	s_branch .LBB86_141
.LBB86_139:
                                        ; implicit-def: $vgpr48_vgpr49
.LBB86_140:
	ds_read_b64 v[48:49], v50
.LBB86_141:
	s_and_saveexec_b64 s[12:13], s[6:7]
	s_cbranch_execz .LBB86_145
; %bb.142:
	v_add_u32_e32 v60, -8, v0
	s_movk_i32 s14, 0x100
	s_mov_b64 s[6:7], 0
.LBB86_143:                             ; =>This Inner Loop Header: Depth=1
	buffer_load_dword v62, v59, s[0:3], 0 offen
	buffer_load_dword v63, v59, s[0:3], 0 offen offset:4
	v_mov_b32_e32 v61, s14
	ds_read_b64 v[64:65], v61
	v_add_u32_e32 v60, -1, v60
	s_add_i32 s14, s14, 8
	v_cmp_eq_u32_e32 vcc, 0, v60
	v_add_u32_e32 v59, 8, v59
	s_or_b64 s[6:7], vcc, s[6:7]
	s_waitcnt vmcnt(0) lgkmcnt(0)
	v_fmac_f64_e32 v[48:49], v[62:63], v[64:65]
	s_andn2_b64 exec, exec, s[6:7]
	s_cbranch_execnz .LBB86_143
; %bb.144:
	s_or_b64 exec, exec, s[6:7]
.LBB86_145:
	s_or_b64 exec, exec, s[12:13]
	v_mov_b32_e32 v59, 0
	ds_read_b64 v[60:61], v59 offset:56
	s_waitcnt lgkmcnt(0)
	v_mul_f64 v[48:49], v[48:49], v[60:61]
	buffer_store_dword v49, off, s[0:3], 0 offset:60
	buffer_store_dword v48, off, s[0:3], 0 offset:56
.LBB86_146:
	s_or_b64 exec, exec, s[10:11]
	buffer_load_dword v48, off, s[0:3], 0 offset:48
	buffer_load_dword v49, off, s[0:3], 0 offset:52
	v_cmp_lt_u32_e64 s[6:7], 6, v0
	s_waitcnt vmcnt(0)
	ds_write_b64 v50, v[48:49]
	s_waitcnt lgkmcnt(0)
	; wave barrier
	s_waitcnt lgkmcnt(0)
	s_and_saveexec_b64 s[10:11], s[6:7]
	s_cbranch_execz .LBB86_156
; %bb.147:
	s_andn2_b64 vcc, exec, s[8:9]
	s_cbranch_vccnz .LBB86_149
; %bb.148:
	buffer_load_dword v48, v51, s[0:3], 0 offen
	buffer_load_dword v49, v51, s[0:3], 0 offen offset:4
	ds_read_b64 v[60:61], v50
	s_waitcnt vmcnt(0) lgkmcnt(0)
	v_mul_f64 v[48:49], v[48:49], v[60:61]
	s_cbranch_execz .LBB86_150
	s_branch .LBB86_151
.LBB86_149:
                                        ; implicit-def: $vgpr48_vgpr49
.LBB86_150:
	ds_read_b64 v[48:49], v50
.LBB86_151:
	s_and_saveexec_b64 s[12:13], s[4:5]
	s_cbranch_execz .LBB86_155
; %bb.152:
	v_add_u32_e32 v59, -7, v0
	s_movk_i32 s14, 0xf8
	s_mov_b64 s[4:5], 0
.LBB86_153:                             ; =>This Inner Loop Header: Depth=1
	buffer_load_dword v60, v58, s[0:3], 0 offen
	buffer_load_dword v61, v58, s[0:3], 0 offen offset:4
	v_mov_b32_e32 v62, s14
	ds_read_b64 v[62:63], v62
	v_add_u32_e32 v59, -1, v59
	s_add_i32 s14, s14, 8
	v_cmp_eq_u32_e32 vcc, 0, v59
	v_add_u32_e32 v58, 8, v58
	s_or_b64 s[4:5], vcc, s[4:5]
	s_waitcnt vmcnt(0) lgkmcnt(0)
	v_fmac_f64_e32 v[48:49], v[60:61], v[62:63]
	s_andn2_b64 exec, exec, s[4:5]
	s_cbranch_execnz .LBB86_153
; %bb.154:
	s_or_b64 exec, exec, s[4:5]
.LBB86_155:
	s_or_b64 exec, exec, s[12:13]
	v_mov_b32_e32 v58, 0
	ds_read_b64 v[58:59], v58 offset:48
	s_waitcnt lgkmcnt(0)
	v_mul_f64 v[48:49], v[48:49], v[58:59]
	buffer_store_dword v49, off, s[0:3], 0 offset:52
	buffer_store_dword v48, off, s[0:3], 0 offset:48
.LBB86_156:
	s_or_b64 exec, exec, s[10:11]
	buffer_load_dword v48, off, s[0:3], 0 offset:40
	buffer_load_dword v49, off, s[0:3], 0 offset:44
	v_cmp_lt_u32_e64 s[4:5], 5, v0
	s_waitcnt vmcnt(0)
	ds_write_b64 v50, v[48:49]
	s_waitcnt lgkmcnt(0)
	; wave barrier
	s_waitcnt lgkmcnt(0)
	s_and_saveexec_b64 s[10:11], s[4:5]
	s_cbranch_execz .LBB86_166
; %bb.157:
	s_andn2_b64 vcc, exec, s[8:9]
	s_cbranch_vccnz .LBB86_159
; %bb.158:
	buffer_load_dword v48, v51, s[0:3], 0 offen
	buffer_load_dword v49, v51, s[0:3], 0 offen offset:4
	ds_read_b64 v[58:59], v50
	s_waitcnt vmcnt(0) lgkmcnt(0)
	v_mul_f64 v[48:49], v[48:49], v[58:59]
	s_cbranch_execz .LBB86_160
	s_branch .LBB86_161
.LBB86_159:
                                        ; implicit-def: $vgpr48_vgpr49
.LBB86_160:
	ds_read_b64 v[48:49], v50
.LBB86_161:
	s_and_saveexec_b64 s[12:13], s[6:7]
	s_cbranch_execz .LBB86_165
; %bb.162:
	v_add_u32_e32 v58, -6, v0
	s_movk_i32 s14, 0xf0
	s_mov_b64 s[6:7], 0
.LBB86_163:                             ; =>This Inner Loop Header: Depth=1
	buffer_load_dword v60, v57, s[0:3], 0 offen
	buffer_load_dword v61, v57, s[0:3], 0 offen offset:4
	v_mov_b32_e32 v59, s14
	ds_read_b64 v[62:63], v59
	v_add_u32_e32 v58, -1, v58
	s_add_i32 s14, s14, 8
	v_cmp_eq_u32_e32 vcc, 0, v58
	v_add_u32_e32 v57, 8, v57
	s_or_b64 s[6:7], vcc, s[6:7]
	s_waitcnt vmcnt(0) lgkmcnt(0)
	v_fmac_f64_e32 v[48:49], v[60:61], v[62:63]
	s_andn2_b64 exec, exec, s[6:7]
	s_cbranch_execnz .LBB86_163
; %bb.164:
	s_or_b64 exec, exec, s[6:7]
.LBB86_165:
	s_or_b64 exec, exec, s[12:13]
	v_mov_b32_e32 v57, 0
	ds_read_b64 v[58:59], v57 offset:40
	s_waitcnt lgkmcnt(0)
	v_mul_f64 v[48:49], v[48:49], v[58:59]
	buffer_store_dword v49, off, s[0:3], 0 offset:44
	buffer_store_dword v48, off, s[0:3], 0 offset:40
.LBB86_166:
	s_or_b64 exec, exec, s[10:11]
	buffer_load_dword v48, off, s[0:3], 0 offset:32
	buffer_load_dword v49, off, s[0:3], 0 offset:36
	v_cmp_lt_u32_e64 s[6:7], 4, v0
	s_waitcnt vmcnt(0)
	ds_write_b64 v50, v[48:49]
	s_waitcnt lgkmcnt(0)
	; wave barrier
	s_waitcnt lgkmcnt(0)
	s_and_saveexec_b64 s[10:11], s[6:7]
	s_cbranch_execz .LBB86_176
; %bb.167:
	s_andn2_b64 vcc, exec, s[8:9]
	s_cbranch_vccnz .LBB86_169
; %bb.168:
	buffer_load_dword v48, v51, s[0:3], 0 offen
	buffer_load_dword v49, v51, s[0:3], 0 offen offset:4
	ds_read_b64 v[58:59], v50
	s_waitcnt vmcnt(0) lgkmcnt(0)
	v_mul_f64 v[48:49], v[48:49], v[58:59]
	s_cbranch_execz .LBB86_170
	s_branch .LBB86_171
.LBB86_169:
                                        ; implicit-def: $vgpr48_vgpr49
.LBB86_170:
	ds_read_b64 v[48:49], v50
.LBB86_171:
	s_and_saveexec_b64 s[12:13], s[4:5]
	s_cbranch_execz .LBB86_175
; %bb.172:
	v_add_u32_e32 v57, -5, v0
	s_movk_i32 s14, 0xe8
	s_mov_b64 s[4:5], 0
.LBB86_173:                             ; =>This Inner Loop Header: Depth=1
	buffer_load_dword v58, v56, s[0:3], 0 offen
	buffer_load_dword v59, v56, s[0:3], 0 offen offset:4
	v_mov_b32_e32 v60, s14
	ds_read_b64 v[60:61], v60
	v_add_u32_e32 v57, -1, v57
	s_add_i32 s14, s14, 8
	v_cmp_eq_u32_e32 vcc, 0, v57
	v_add_u32_e32 v56, 8, v56
	s_or_b64 s[4:5], vcc, s[4:5]
	s_waitcnt vmcnt(0) lgkmcnt(0)
	v_fmac_f64_e32 v[48:49], v[58:59], v[60:61]
	s_andn2_b64 exec, exec, s[4:5]
	s_cbranch_execnz .LBB86_173
; %bb.174:
	s_or_b64 exec, exec, s[4:5]
.LBB86_175:
	s_or_b64 exec, exec, s[12:13]
	v_mov_b32_e32 v56, 0
	ds_read_b64 v[56:57], v56 offset:32
	s_waitcnt lgkmcnt(0)
	v_mul_f64 v[48:49], v[48:49], v[56:57]
	buffer_store_dword v49, off, s[0:3], 0 offset:36
	buffer_store_dword v48, off, s[0:3], 0 offset:32
.LBB86_176:
	s_or_b64 exec, exec, s[10:11]
	buffer_load_dword v48, off, s[0:3], 0 offset:24
	buffer_load_dword v49, off, s[0:3], 0 offset:28
	v_cmp_lt_u32_e64 s[4:5], 3, v0
	s_waitcnt vmcnt(0)
	ds_write_b64 v50, v[48:49]
	s_waitcnt lgkmcnt(0)
	; wave barrier
	s_waitcnt lgkmcnt(0)
	s_and_saveexec_b64 s[10:11], s[4:5]
	s_cbranch_execz .LBB86_186
; %bb.177:
	s_andn2_b64 vcc, exec, s[8:9]
	s_cbranch_vccnz .LBB86_179
; %bb.178:
	buffer_load_dword v48, v51, s[0:3], 0 offen
	buffer_load_dword v49, v51, s[0:3], 0 offen offset:4
	ds_read_b64 v[56:57], v50
	s_waitcnt vmcnt(0) lgkmcnt(0)
	v_mul_f64 v[48:49], v[48:49], v[56:57]
	s_cbranch_execz .LBB86_180
	s_branch .LBB86_181
.LBB86_179:
                                        ; implicit-def: $vgpr48_vgpr49
.LBB86_180:
	ds_read_b64 v[48:49], v50
.LBB86_181:
	s_and_saveexec_b64 s[12:13], s[6:7]
	s_cbranch_execz .LBB86_185
; %bb.182:
	v_add_u32_e32 v56, -4, v0
	s_movk_i32 s14, 0xe0
	s_mov_b64 s[6:7], 0
.LBB86_183:                             ; =>This Inner Loop Header: Depth=1
	buffer_load_dword v58, v55, s[0:3], 0 offen
	buffer_load_dword v59, v55, s[0:3], 0 offen offset:4
	v_mov_b32_e32 v57, s14
	ds_read_b64 v[60:61], v57
	v_add_u32_e32 v56, -1, v56
	s_add_i32 s14, s14, 8
	v_cmp_eq_u32_e32 vcc, 0, v56
	v_add_u32_e32 v55, 8, v55
	s_or_b64 s[6:7], vcc, s[6:7]
	s_waitcnt vmcnt(0) lgkmcnt(0)
	v_fmac_f64_e32 v[48:49], v[58:59], v[60:61]
	s_andn2_b64 exec, exec, s[6:7]
	s_cbranch_execnz .LBB86_183
; %bb.184:
	s_or_b64 exec, exec, s[6:7]
.LBB86_185:
	s_or_b64 exec, exec, s[12:13]
	v_mov_b32_e32 v55, 0
	ds_read_b64 v[56:57], v55 offset:24
	s_waitcnt lgkmcnt(0)
	v_mul_f64 v[48:49], v[48:49], v[56:57]
	buffer_store_dword v49, off, s[0:3], 0 offset:28
	buffer_store_dword v48, off, s[0:3], 0 offset:24
.LBB86_186:
	s_or_b64 exec, exec, s[10:11]
	buffer_load_dword v48, off, s[0:3], 0 offset:16
	buffer_load_dword v49, off, s[0:3], 0 offset:20
	v_cmp_lt_u32_e64 s[6:7], 2, v0
	s_waitcnt vmcnt(0)
	ds_write_b64 v50, v[48:49]
	s_waitcnt lgkmcnt(0)
	; wave barrier
	s_waitcnt lgkmcnt(0)
	s_and_saveexec_b64 s[10:11], s[6:7]
	s_cbranch_execz .LBB86_196
; %bb.187:
	s_andn2_b64 vcc, exec, s[8:9]
	s_cbranch_vccnz .LBB86_189
; %bb.188:
	buffer_load_dword v48, v51, s[0:3], 0 offen
	buffer_load_dword v49, v51, s[0:3], 0 offen offset:4
	ds_read_b64 v[56:57], v50
	s_waitcnt vmcnt(0) lgkmcnt(0)
	v_mul_f64 v[48:49], v[48:49], v[56:57]
	s_cbranch_execz .LBB86_190
	s_branch .LBB86_191
.LBB86_189:
                                        ; implicit-def: $vgpr48_vgpr49
.LBB86_190:
	ds_read_b64 v[48:49], v50
.LBB86_191:
	s_and_saveexec_b64 s[12:13], s[4:5]
	s_cbranch_execz .LBB86_195
; %bb.192:
	v_add_u32_e32 v55, -3, v0
	s_movk_i32 s14, 0xd8
	s_mov_b64 s[4:5], 0
.LBB86_193:                             ; =>This Inner Loop Header: Depth=1
	buffer_load_dword v56, v54, s[0:3], 0 offen
	buffer_load_dword v57, v54, s[0:3], 0 offen offset:4
	v_mov_b32_e32 v58, s14
	ds_read_b64 v[58:59], v58
	v_add_u32_e32 v55, -1, v55
	s_add_i32 s14, s14, 8
	v_cmp_eq_u32_e32 vcc, 0, v55
	v_add_u32_e32 v54, 8, v54
	s_or_b64 s[4:5], vcc, s[4:5]
	s_waitcnt vmcnt(0) lgkmcnt(0)
	v_fmac_f64_e32 v[48:49], v[56:57], v[58:59]
	s_andn2_b64 exec, exec, s[4:5]
	s_cbranch_execnz .LBB86_193
; %bb.194:
	s_or_b64 exec, exec, s[4:5]
.LBB86_195:
	s_or_b64 exec, exec, s[12:13]
	v_mov_b32_e32 v54, 0
	ds_read_b64 v[54:55], v54 offset:16
	s_waitcnt lgkmcnt(0)
	v_mul_f64 v[48:49], v[48:49], v[54:55]
	buffer_store_dword v49, off, s[0:3], 0 offset:20
	buffer_store_dword v48, off, s[0:3], 0 offset:16
.LBB86_196:
	s_or_b64 exec, exec, s[10:11]
	buffer_load_dword v48, off, s[0:3], 0 offset:8
	buffer_load_dword v49, off, s[0:3], 0 offset:12
	v_cmp_lt_u32_e64 s[4:5], 1, v0
	s_waitcnt vmcnt(0)
	ds_write_b64 v50, v[48:49]
	s_waitcnt lgkmcnt(0)
	; wave barrier
	s_waitcnt lgkmcnt(0)
	s_and_saveexec_b64 s[10:11], s[4:5]
	s_cbranch_execz .LBB86_206
; %bb.197:
	s_andn2_b64 vcc, exec, s[8:9]
	s_cbranch_vccnz .LBB86_199
; %bb.198:
	buffer_load_dword v48, v51, s[0:3], 0 offen
	buffer_load_dword v49, v51, s[0:3], 0 offen offset:4
	ds_read_b64 v[54:55], v50
	s_waitcnt vmcnt(0) lgkmcnt(0)
	v_mul_f64 v[48:49], v[48:49], v[54:55]
	s_cbranch_execz .LBB86_200
	s_branch .LBB86_201
.LBB86_199:
                                        ; implicit-def: $vgpr48_vgpr49
.LBB86_200:
	ds_read_b64 v[48:49], v50
.LBB86_201:
	s_and_saveexec_b64 s[12:13], s[6:7]
	s_cbranch_execz .LBB86_205
; %bb.202:
	v_add_u32_e32 v54, -2, v0
	s_movk_i32 s14, 0xd0
	s_mov_b64 s[6:7], 0
.LBB86_203:                             ; =>This Inner Loop Header: Depth=1
	buffer_load_dword v56, v53, s[0:3], 0 offen
	buffer_load_dword v57, v53, s[0:3], 0 offen offset:4
	v_mov_b32_e32 v55, s14
	ds_read_b64 v[58:59], v55
	v_add_u32_e32 v54, -1, v54
	s_add_i32 s14, s14, 8
	v_cmp_eq_u32_e32 vcc, 0, v54
	v_add_u32_e32 v53, 8, v53
	s_or_b64 s[6:7], vcc, s[6:7]
	s_waitcnt vmcnt(0) lgkmcnt(0)
	v_fmac_f64_e32 v[48:49], v[56:57], v[58:59]
	s_andn2_b64 exec, exec, s[6:7]
	s_cbranch_execnz .LBB86_203
; %bb.204:
	s_or_b64 exec, exec, s[6:7]
.LBB86_205:
	s_or_b64 exec, exec, s[12:13]
	v_mov_b32_e32 v53, 0
	ds_read_b64 v[54:55], v53 offset:8
	s_waitcnt lgkmcnt(0)
	v_mul_f64 v[48:49], v[48:49], v[54:55]
	buffer_store_dword v49, off, s[0:3], 0 offset:12
	buffer_store_dword v48, off, s[0:3], 0 offset:8
.LBB86_206:
	s_or_b64 exec, exec, s[10:11]
	buffer_load_dword v48, off, s[0:3], 0
	buffer_load_dword v49, off, s[0:3], 0 offset:4
	v_cmp_ne_u32_e32 vcc, 0, v0
	s_waitcnt vmcnt(0)
	ds_write_b64 v50, v[48:49]
	s_waitcnt lgkmcnt(0)
	; wave barrier
	s_waitcnt lgkmcnt(0)
	s_and_saveexec_b64 s[6:7], vcc
	s_cbranch_execz .LBB86_216
; %bb.207:
	s_andn2_b64 vcc, exec, s[8:9]
	s_cbranch_vccnz .LBB86_209
; %bb.208:
	buffer_load_dword v48, v51, s[0:3], 0 offen
	buffer_load_dword v49, v51, s[0:3], 0 offen offset:4
	ds_read_b64 v[54:55], v50
	s_waitcnt vmcnt(0) lgkmcnt(0)
	v_mul_f64 v[48:49], v[48:49], v[54:55]
	s_cbranch_execz .LBB86_210
	s_branch .LBB86_211
.LBB86_209:
                                        ; implicit-def: $vgpr48_vgpr49
.LBB86_210:
	ds_read_b64 v[48:49], v50
.LBB86_211:
	s_and_saveexec_b64 s[10:11], s[4:5]
	s_cbranch_execz .LBB86_215
; %bb.212:
	v_add_u32_e32 v53, -1, v0
	s_movk_i32 s12, 0xc8
	s_mov_b64 s[4:5], 0
.LBB86_213:                             ; =>This Inner Loop Header: Depth=1
	buffer_load_dword v54, v52, s[0:3], 0 offen
	buffer_load_dword v55, v52, s[0:3], 0 offen offset:4
	v_mov_b32_e32 v56, s12
	ds_read_b64 v[56:57], v56
	v_add_u32_e32 v53, -1, v53
	s_add_i32 s12, s12, 8
	v_cmp_eq_u32_e32 vcc, 0, v53
	v_add_u32_e32 v52, 8, v52
	s_or_b64 s[4:5], vcc, s[4:5]
	s_waitcnt vmcnt(0) lgkmcnt(0)
	v_fmac_f64_e32 v[48:49], v[54:55], v[56:57]
	s_andn2_b64 exec, exec, s[4:5]
	s_cbranch_execnz .LBB86_213
; %bb.214:
	s_or_b64 exec, exec, s[4:5]
.LBB86_215:
	s_or_b64 exec, exec, s[10:11]
	v_mov_b32_e32 v52, 0
	ds_read_b64 v[52:53], v52
	s_waitcnt lgkmcnt(0)
	v_mul_f64 v[48:49], v[48:49], v[52:53]
	buffer_store_dword v49, off, s[0:3], 0 offset:4
	buffer_store_dword v48, off, s[0:3], 0
.LBB86_216:
	s_or_b64 exec, exec, s[6:7]
	s_mov_b64 s[4:5], 0
.LBB86_217:
	s_and_b64 vcc, exec, s[4:5]
	s_cbranch_vccz .LBB86_431
; %bb.218:
	buffer_load_dword v48, off, s[0:3], 0 offset:8
	buffer_load_dword v49, off, s[0:3], 0 offset:12
	v_cmp_eq_u32_e64 s[6:7], 0, v0
	s_waitcnt vmcnt(0)
	ds_write_b64 v50, v[48:49]
	s_waitcnt lgkmcnt(0)
	; wave barrier
	s_waitcnt lgkmcnt(0)
	s_and_saveexec_b64 s[4:5], s[6:7]
	s_cbranch_execz .LBB86_224
; %bb.219:
	s_and_b64 vcc, exec, s[8:9]
	s_cbranch_vccz .LBB86_221
; %bb.220:
	buffer_load_dword v48, v51, s[0:3], 0 offen
	buffer_load_dword v49, v51, s[0:3], 0 offen offset:4
	ds_read_b64 v[52:53], v50
	s_waitcnt vmcnt(0) lgkmcnt(0)
	v_mul_f64 v[48:49], v[48:49], v[52:53]
	s_cbranch_execz .LBB86_222
	s_branch .LBB86_223
.LBB86_221:
                                        ; implicit-def: $vgpr48_vgpr49
.LBB86_222:
	ds_read_b64 v[48:49], v50
.LBB86_223:
	v_mov_b32_e32 v52, 0
	ds_read_b64 v[52:53], v52 offset:8
	s_waitcnt lgkmcnt(0)
	v_mul_f64 v[48:49], v[48:49], v[52:53]
	buffer_store_dword v49, off, s[0:3], 0 offset:12
	buffer_store_dword v48, off, s[0:3], 0 offset:8
.LBB86_224:
	s_or_b64 exec, exec, s[4:5]
	buffer_load_dword v48, off, s[0:3], 0 offset:16
	buffer_load_dword v49, off, s[0:3], 0 offset:20
	v_cndmask_b32_e64 v52, 0, 1, s[8:9]
	v_cmp_gt_u32_e32 vcc, 2, v0
	v_cmp_ne_u32_e64 s[4:5], 1, v52
	s_waitcnt vmcnt(0)
	ds_write_b64 v50, v[48:49]
	s_waitcnt lgkmcnt(0)
	; wave barrier
	s_waitcnt lgkmcnt(0)
	s_and_saveexec_b64 s[8:9], vcc
	s_cbranch_execz .LBB86_232
; %bb.225:
	s_and_b64 vcc, exec, s[4:5]
	s_cbranch_vccnz .LBB86_227
; %bb.226:
	buffer_load_dword v48, v51, s[0:3], 0 offen
	buffer_load_dword v49, v51, s[0:3], 0 offen offset:4
	ds_read_b64 v[52:53], v50
	s_waitcnt vmcnt(0) lgkmcnt(0)
	v_mul_f64 v[48:49], v[48:49], v[52:53]
	s_cbranch_execz .LBB86_228
	s_branch .LBB86_229
.LBB86_227:
                                        ; implicit-def: $vgpr48_vgpr49
.LBB86_228:
	ds_read_b64 v[48:49], v50
.LBB86_229:
	s_and_saveexec_b64 s[10:11], s[6:7]
	s_cbranch_execz .LBB86_231
; %bb.230:
	buffer_load_dword v52, v51, s[0:3], 0 offen offset:8
	buffer_load_dword v53, v51, s[0:3], 0 offen offset:12
	ds_read_b64 v[54:55], v50 offset:8
	s_waitcnt vmcnt(0) lgkmcnt(0)
	v_fmac_f64_e32 v[48:49], v[52:53], v[54:55]
.LBB86_231:
	s_or_b64 exec, exec, s[10:11]
	v_mov_b32_e32 v52, 0
	ds_read_b64 v[52:53], v52 offset:16
	s_waitcnt lgkmcnt(0)
	v_mul_f64 v[48:49], v[48:49], v[52:53]
	buffer_store_dword v49, off, s[0:3], 0 offset:20
	buffer_store_dword v48, off, s[0:3], 0 offset:16
.LBB86_232:
	s_or_b64 exec, exec, s[8:9]
	buffer_load_dword v48, off, s[0:3], 0 offset:24
	buffer_load_dword v49, off, s[0:3], 0 offset:28
	v_cmp_gt_u32_e32 vcc, 3, v0
	s_waitcnt vmcnt(0)
	ds_write_b64 v50, v[48:49]
	s_waitcnt lgkmcnt(0)
	; wave barrier
	s_waitcnt lgkmcnt(0)
	s_and_saveexec_b64 s[8:9], vcc
	s_cbranch_execz .LBB86_240
; %bb.233:
	s_and_b64 vcc, exec, s[4:5]
	s_cbranch_vccnz .LBB86_235
; %bb.234:
	buffer_load_dword v48, v51, s[0:3], 0 offen
	buffer_load_dword v49, v51, s[0:3], 0 offen offset:4
	ds_read_b64 v[52:53], v50
	s_waitcnt vmcnt(0) lgkmcnt(0)
	v_mul_f64 v[48:49], v[48:49], v[52:53]
	s_cbranch_execz .LBB86_236
	s_branch .LBB86_237
.LBB86_235:
                                        ; implicit-def: $vgpr48_vgpr49
.LBB86_236:
	ds_read_b64 v[48:49], v50
.LBB86_237:
	v_cmp_ne_u32_e32 vcc, 2, v0
	s_and_saveexec_b64 s[10:11], vcc
	s_cbranch_execz .LBB86_239
; %bb.238:
	buffer_load_dword v53, v51, s[0:3], 0 offen offset:12
	buffer_load_dword v54, off, s[0:3], 0 offset:16
	buffer_load_dword v52, v51, s[0:3], 0 offen offset:8
	buffer_load_dword v55, off, s[0:3], 0 offset:20
	v_mov_b32_e32 v58, 0
	ds_read_b64 v[56:57], v50 offset:8
	ds_read_b64 v[58:59], v58 offset:208
	s_waitcnt vmcnt(1) lgkmcnt(1)
	v_fmac_f64_e32 v[48:49], v[52:53], v[56:57]
	s_waitcnt vmcnt(0) lgkmcnt(0)
	v_fma_f64 v[52:53], v[54:55], v[58:59], v[48:49]
	v_cndmask_b32_e64 v49, v49, v53, s[6:7]
	v_cndmask_b32_e64 v48, v48, v52, s[6:7]
.LBB86_239:
	s_or_b64 exec, exec, s[10:11]
	v_mov_b32_e32 v52, 0
	ds_read_b64 v[52:53], v52 offset:24
	s_waitcnt lgkmcnt(0)
	v_mul_f64 v[48:49], v[48:49], v[52:53]
	buffer_store_dword v49, off, s[0:3], 0 offset:28
	buffer_store_dword v48, off, s[0:3], 0 offset:24
.LBB86_240:
	s_or_b64 exec, exec, s[8:9]
	buffer_load_dword v48, off, s[0:3], 0 offset:32
	buffer_load_dword v49, off, s[0:3], 0 offset:36
	v_cmp_gt_u32_e32 vcc, 4, v0
	s_waitcnt vmcnt(0)
	ds_write_b64 v50, v[48:49]
	s_waitcnt lgkmcnt(0)
	; wave barrier
	s_waitcnt lgkmcnt(0)
	s_and_saveexec_b64 s[6:7], vcc
	s_cbranch_execz .LBB86_250
; %bb.241:
	s_and_b64 vcc, exec, s[4:5]
	s_cbranch_vccnz .LBB86_243
; %bb.242:
	buffer_load_dword v48, v51, s[0:3], 0 offen
	buffer_load_dword v49, v51, s[0:3], 0 offen offset:4
	ds_read_b64 v[52:53], v50
	s_waitcnt vmcnt(0) lgkmcnt(0)
	v_mul_f64 v[48:49], v[48:49], v[52:53]
	s_cbranch_execz .LBB86_244
	s_branch .LBB86_245
.LBB86_243:
                                        ; implicit-def: $vgpr48_vgpr49
.LBB86_244:
	ds_read_b64 v[48:49], v50
.LBB86_245:
	v_cmp_ne_u32_e32 vcc, 3, v0
	s_and_saveexec_b64 s[8:9], vcc
	s_cbranch_execz .LBB86_249
; %bb.246:
	v_mov_b32_e32 v53, 0
	v_add_u32_e32 v52, 0xc8, v1
	v_add3_u32 v53, v1, v53, 8
	s_mov_b64 s[10:11], 0
	v_mov_b32_e32 v54, v0
.LBB86_247:                             ; =>This Inner Loop Header: Depth=1
	buffer_load_dword v56, v53, s[0:3], 0 offen
	buffer_load_dword v57, v53, s[0:3], 0 offen offset:4
	ds_read_b64 v[58:59], v52
	v_add_u32_e32 v54, 1, v54
	v_cmp_lt_u32_e32 vcc, 2, v54
	v_add_u32_e32 v52, 8, v52
	v_add_u32_e32 v53, 8, v53
	s_or_b64 s[10:11], vcc, s[10:11]
	s_waitcnt vmcnt(0) lgkmcnt(0)
	v_fmac_f64_e32 v[48:49], v[56:57], v[58:59]
	s_andn2_b64 exec, exec, s[10:11]
	s_cbranch_execnz .LBB86_247
; %bb.248:
	s_or_b64 exec, exec, s[10:11]
.LBB86_249:
	s_or_b64 exec, exec, s[8:9]
	v_mov_b32_e32 v52, 0
	ds_read_b64 v[52:53], v52 offset:32
	s_waitcnt lgkmcnt(0)
	v_mul_f64 v[48:49], v[48:49], v[52:53]
	buffer_store_dword v49, off, s[0:3], 0 offset:36
	buffer_store_dword v48, off, s[0:3], 0 offset:32
.LBB86_250:
	s_or_b64 exec, exec, s[6:7]
	buffer_load_dword v48, off, s[0:3], 0 offset:40
	buffer_load_dword v49, off, s[0:3], 0 offset:44
	v_cmp_gt_u32_e32 vcc, 5, v0
	s_waitcnt vmcnt(0)
	ds_write_b64 v50, v[48:49]
	s_waitcnt lgkmcnt(0)
	; wave barrier
	s_waitcnt lgkmcnt(0)
	s_and_saveexec_b64 s[6:7], vcc
	s_cbranch_execz .LBB86_260
; %bb.251:
	s_and_b64 vcc, exec, s[4:5]
	s_cbranch_vccnz .LBB86_253
; %bb.252:
	buffer_load_dword v48, v51, s[0:3], 0 offen
	buffer_load_dword v49, v51, s[0:3], 0 offen offset:4
	ds_read_b64 v[52:53], v50
	s_waitcnt vmcnt(0) lgkmcnt(0)
	v_mul_f64 v[48:49], v[48:49], v[52:53]
	s_cbranch_execz .LBB86_254
	s_branch .LBB86_255
.LBB86_253:
                                        ; implicit-def: $vgpr48_vgpr49
.LBB86_254:
	ds_read_b64 v[48:49], v50
.LBB86_255:
	v_cmp_ne_u32_e32 vcc, 4, v0
	s_and_saveexec_b64 s[8:9], vcc
	s_cbranch_execz .LBB86_259
; %bb.256:
	v_mov_b32_e32 v53, 0
	v_add_u32_e32 v52, 0xc8, v1
	v_add3_u32 v53, v1, v53, 8
	s_mov_b64 s[10:11], 0
	v_mov_b32_e32 v54, v0
.LBB86_257:                             ; =>This Inner Loop Header: Depth=1
	buffer_load_dword v56, v53, s[0:3], 0 offen
	buffer_load_dword v57, v53, s[0:3], 0 offen offset:4
	ds_read_b64 v[58:59], v52
	v_add_u32_e32 v54, 1, v54
	v_cmp_lt_u32_e32 vcc, 3, v54
	v_add_u32_e32 v52, 8, v52
	v_add_u32_e32 v53, 8, v53
	s_or_b64 s[10:11], vcc, s[10:11]
	s_waitcnt vmcnt(0) lgkmcnt(0)
	v_fmac_f64_e32 v[48:49], v[56:57], v[58:59]
	s_andn2_b64 exec, exec, s[10:11]
	s_cbranch_execnz .LBB86_257
; %bb.258:
	s_or_b64 exec, exec, s[10:11]
.LBB86_259:
	s_or_b64 exec, exec, s[8:9]
	v_mov_b32_e32 v52, 0
	ds_read_b64 v[52:53], v52 offset:40
	s_waitcnt lgkmcnt(0)
	v_mul_f64 v[48:49], v[48:49], v[52:53]
	buffer_store_dword v49, off, s[0:3], 0 offset:44
	buffer_store_dword v48, off, s[0:3], 0 offset:40
.LBB86_260:
	;; [unrolled: 60-line block ×17, first 2 shown]
	s_or_b64 exec, exec, s[6:7]
	buffer_load_dword v48, off, s[0:3], 0 offset:168
	buffer_load_dword v49, off, s[0:3], 0 offset:172
	v_cmp_gt_u32_e64 s[6:7], 21, v0
	s_waitcnt vmcnt(0)
	ds_write_b64 v50, v[48:49]
	s_waitcnt lgkmcnt(0)
	; wave barrier
	s_waitcnt lgkmcnt(0)
	s_and_saveexec_b64 s[8:9], s[6:7]
	s_cbranch_execz .LBB86_420
; %bb.411:
	s_and_b64 vcc, exec, s[4:5]
	s_cbranch_vccnz .LBB86_413
; %bb.412:
	buffer_load_dword v48, v51, s[0:3], 0 offen
	buffer_load_dword v49, v51, s[0:3], 0 offen offset:4
	ds_read_b64 v[52:53], v50
	s_waitcnt vmcnt(0) lgkmcnt(0)
	v_mul_f64 v[48:49], v[48:49], v[52:53]
	s_cbranch_execz .LBB86_414
	s_branch .LBB86_415
.LBB86_413:
                                        ; implicit-def: $vgpr48_vgpr49
.LBB86_414:
	ds_read_b64 v[48:49], v50
.LBB86_415:
	v_cmp_ne_u32_e32 vcc, 20, v0
	s_and_saveexec_b64 s[10:11], vcc
	s_cbranch_execz .LBB86_419
; %bb.416:
	v_mov_b32_e32 v53, 0
	v_add_u32_e32 v52, 0xc8, v1
	v_add3_u32 v53, v1, v53, 8
	s_mov_b64 s[12:13], 0
	v_mov_b32_e32 v54, v0
.LBB86_417:                             ; =>This Inner Loop Header: Depth=1
	buffer_load_dword v56, v53, s[0:3], 0 offen
	buffer_load_dword v57, v53, s[0:3], 0 offen offset:4
	ds_read_b64 v[58:59], v52
	v_add_u32_e32 v54, 1, v54
	v_cmp_lt_u32_e32 vcc, 19, v54
	v_add_u32_e32 v52, 8, v52
	v_add_u32_e32 v53, 8, v53
	s_or_b64 s[12:13], vcc, s[12:13]
	s_waitcnt vmcnt(0) lgkmcnt(0)
	v_fmac_f64_e32 v[48:49], v[56:57], v[58:59]
	s_andn2_b64 exec, exec, s[12:13]
	s_cbranch_execnz .LBB86_417
; %bb.418:
	s_or_b64 exec, exec, s[12:13]
.LBB86_419:
	s_or_b64 exec, exec, s[10:11]
	v_mov_b32_e32 v52, 0
	ds_read_b64 v[52:53], v52 offset:168
	s_waitcnt lgkmcnt(0)
	v_mul_f64 v[48:49], v[48:49], v[52:53]
	buffer_store_dword v49, off, s[0:3], 0 offset:172
	buffer_store_dword v48, off, s[0:3], 0 offset:168
.LBB86_420:
	s_or_b64 exec, exec, s[8:9]
	buffer_load_dword v48, off, s[0:3], 0 offset:176
	buffer_load_dword v49, off, s[0:3], 0 offset:180
	v_cmp_ne_u32_e32 vcc, 22, v0
	s_waitcnt vmcnt(0)
	ds_write_b64 v50, v[48:49]
	s_waitcnt lgkmcnt(0)
	; wave barrier
	s_waitcnt lgkmcnt(0)
	s_and_saveexec_b64 s[8:9], vcc
	s_cbranch_execz .LBB86_430
; %bb.421:
	s_and_b64 vcc, exec, s[4:5]
	s_cbranch_vccnz .LBB86_423
; %bb.422:
	buffer_load_dword v48, v51, s[0:3], 0 offen
	buffer_load_dword v49, v51, s[0:3], 0 offen offset:4
	ds_read_b64 v[52:53], v50
	s_waitcnt vmcnt(0) lgkmcnt(0)
	v_mul_f64 v[48:49], v[48:49], v[52:53]
	s_cbranch_execz .LBB86_424
	s_branch .LBB86_425
.LBB86_423:
                                        ; implicit-def: $vgpr48_vgpr49
.LBB86_424:
	ds_read_b64 v[48:49], v50
.LBB86_425:
	s_and_saveexec_b64 s[4:5], s[6:7]
	s_cbranch_execz .LBB86_429
; %bb.426:
	v_mov_b32_e32 v51, 0
	v_add_u32_e32 v50, 0xc8, v1
	v_add3_u32 v1, v1, v51, 8
	s_mov_b64 s[6:7], 0
.LBB86_427:                             ; =>This Inner Loop Header: Depth=1
	buffer_load_dword v52, v1, s[0:3], 0 offen
	buffer_load_dword v53, v1, s[0:3], 0 offen offset:4
	ds_read_b64 v[54:55], v50
	v_add_u32_e32 v0, 1, v0
	v_cmp_lt_u32_e32 vcc, 20, v0
	v_add_u32_e32 v50, 8, v50
	v_add_u32_e32 v1, 8, v1
	s_or_b64 s[6:7], vcc, s[6:7]
	s_waitcnt vmcnt(0) lgkmcnt(0)
	v_fmac_f64_e32 v[48:49], v[52:53], v[54:55]
	s_andn2_b64 exec, exec, s[6:7]
	s_cbranch_execnz .LBB86_427
; %bb.428:
	s_or_b64 exec, exec, s[6:7]
.LBB86_429:
	s_or_b64 exec, exec, s[4:5]
	v_mov_b32_e32 v0, 0
	ds_read_b64 v[0:1], v0 offset:176
	s_waitcnt lgkmcnt(0)
	v_mul_f64 v[0:1], v[48:49], v[0:1]
	buffer_store_dword v1, off, s[0:3], 0 offset:180
	buffer_store_dword v0, off, s[0:3], 0 offset:176
.LBB86_430:
	s_or_b64 exec, exec, s[8:9]
.LBB86_431:
	buffer_load_dword v0, off, s[0:3], 0
	buffer_load_dword v1, off, s[0:3], 0 offset:4
	buffer_load_dword v48, off, s[0:3], 0 offset:8
	buffer_load_dword v49, off, s[0:3], 0 offset:12
	buffer_load_dword v50, off, s[0:3], 0 offset:16
	buffer_load_dword v51, off, s[0:3], 0 offset:20
	buffer_load_dword v52, off, s[0:3], 0 offset:24
	buffer_load_dword v53, off, s[0:3], 0 offset:28
	buffer_load_dword v54, off, s[0:3], 0 offset:32
	buffer_load_dword v55, off, s[0:3], 0 offset:36
	buffer_load_dword v56, off, s[0:3], 0 offset:40
	buffer_load_dword v57, off, s[0:3], 0 offset:44
	buffer_load_dword v58, off, s[0:3], 0 offset:48
	buffer_load_dword v59, off, s[0:3], 0 offset:52
	buffer_load_dword v60, off, s[0:3], 0 offset:56
	buffer_load_dword v61, off, s[0:3], 0 offset:60
	buffer_load_dword v62, off, s[0:3], 0 offset:72
	buffer_load_dword v63, off, s[0:3], 0 offset:76
	buffer_load_dword v64, off, s[0:3], 0 offset:80
	buffer_load_dword v65, off, s[0:3], 0 offset:84
	buffer_load_dword v66, off, s[0:3], 0 offset:88
	buffer_load_dword v67, off, s[0:3], 0 offset:92
	buffer_load_dword v69, off, s[0:3], 0 offset:68
	buffer_load_dword v68, off, s[0:3], 0 offset:64
	buffer_load_dword v70, off, s[0:3], 0 offset:96
	buffer_load_dword v71, off, s[0:3], 0 offset:100
	buffer_load_dword v72, off, s[0:3], 0 offset:104
	buffer_load_dword v73, off, s[0:3], 0 offset:108
	buffer_load_dword v74, off, s[0:3], 0 offset:112
	buffer_load_dword v75, off, s[0:3], 0 offset:116
	buffer_load_dword v76, off, s[0:3], 0 offset:120
	buffer_load_dword v77, off, s[0:3], 0 offset:124
	buffer_load_dword v78, off, s[0:3], 0 offset:128
	buffer_load_dword v79, off, s[0:3], 0 offset:132
	buffer_load_dword v80, off, s[0:3], 0 offset:136
	buffer_load_dword v81, off, s[0:3], 0 offset:140
	buffer_load_dword v82, off, s[0:3], 0 offset:144
	buffer_load_dword v83, off, s[0:3], 0 offset:148
	buffer_load_dword v84, off, s[0:3], 0 offset:152
	buffer_load_dword v85, off, s[0:3], 0 offset:156
	buffer_load_dword v86, off, s[0:3], 0 offset:160
	buffer_load_dword v87, off, s[0:3], 0 offset:164
	buffer_load_dword v88, off, s[0:3], 0 offset:168
	buffer_load_dword v89, off, s[0:3], 0 offset:172
	buffer_load_dword v90, off, s[0:3], 0 offset:176
	buffer_load_dword v91, off, s[0:3], 0 offset:180
	s_waitcnt vmcnt(44)
	global_store_dwordx2 v[2:3], v[0:1], off
	s_waitcnt vmcnt(43)
	global_store_dwordx2 v[4:5], v[48:49], off
	;; [unrolled: 2-line block ×9, first 2 shown]
	global_store_dwordx2 v[22:23], v[62:63], off
	global_store_dwordx2 v[24:25], v[64:65], off
	;; [unrolled: 1-line block ×3, first 2 shown]
	s_waitcnt vmcnt(32)
	global_store_dwordx2 v[28:29], v[70:71], off
	s_waitcnt vmcnt(31)
	global_store_dwordx2 v[30:31], v[72:73], off
	;; [unrolled: 2-line block ×11, first 2 shown]
.LBB86_432:
	s_endpgm
	.section	.rodata,"a",@progbits
	.p2align	6, 0x0
	.amdhsa_kernel _ZN9rocsolver6v33100L18trti2_kernel_smallILi23EdPKPdEEv13rocblas_fill_17rocblas_diagonal_T1_iil
		.amdhsa_group_segment_fixed_size 376
		.amdhsa_private_segment_fixed_size 192
		.amdhsa_kernarg_size 32
		.amdhsa_user_sgpr_count 8
		.amdhsa_user_sgpr_private_segment_buffer 1
		.amdhsa_user_sgpr_dispatch_ptr 0
		.amdhsa_user_sgpr_queue_ptr 0
		.amdhsa_user_sgpr_kernarg_segment_ptr 1
		.amdhsa_user_sgpr_dispatch_id 0
		.amdhsa_user_sgpr_flat_scratch_init 1
		.amdhsa_user_sgpr_kernarg_preload_length 0
		.amdhsa_user_sgpr_kernarg_preload_offset 0
		.amdhsa_user_sgpr_private_segment_size 0
		.amdhsa_uses_dynamic_stack 0
		.amdhsa_system_sgpr_private_segment_wavefront_offset 1
		.amdhsa_system_sgpr_workgroup_id_x 1
		.amdhsa_system_sgpr_workgroup_id_y 0
		.amdhsa_system_sgpr_workgroup_id_z 0
		.amdhsa_system_sgpr_workgroup_info 0
		.amdhsa_system_vgpr_workitem_id 0
		.amdhsa_next_free_vgpr 92
		.amdhsa_next_free_sgpr 16
		.amdhsa_accum_offset 92
		.amdhsa_reserve_vcc 1
		.amdhsa_reserve_flat_scratch 0
		.amdhsa_float_round_mode_32 0
		.amdhsa_float_round_mode_16_64 0
		.amdhsa_float_denorm_mode_32 3
		.amdhsa_float_denorm_mode_16_64 3
		.amdhsa_dx10_clamp 1
		.amdhsa_ieee_mode 1
		.amdhsa_fp16_overflow 0
		.amdhsa_tg_split 0
		.amdhsa_exception_fp_ieee_invalid_op 0
		.amdhsa_exception_fp_denorm_src 0
		.amdhsa_exception_fp_ieee_div_zero 0
		.amdhsa_exception_fp_ieee_overflow 0
		.amdhsa_exception_fp_ieee_underflow 0
		.amdhsa_exception_fp_ieee_inexact 0
		.amdhsa_exception_int_div_zero 0
	.end_amdhsa_kernel
	.section	.text._ZN9rocsolver6v33100L18trti2_kernel_smallILi23EdPKPdEEv13rocblas_fill_17rocblas_diagonal_T1_iil,"axG",@progbits,_ZN9rocsolver6v33100L18trti2_kernel_smallILi23EdPKPdEEv13rocblas_fill_17rocblas_diagonal_T1_iil,comdat
.Lfunc_end86:
	.size	_ZN9rocsolver6v33100L18trti2_kernel_smallILi23EdPKPdEEv13rocblas_fill_17rocblas_diagonal_T1_iil, .Lfunc_end86-_ZN9rocsolver6v33100L18trti2_kernel_smallILi23EdPKPdEEv13rocblas_fill_17rocblas_diagonal_T1_iil
                                        ; -- End function
	.section	.AMDGPU.csdata,"",@progbits
; Kernel info:
; codeLenInByte = 13184
; NumSgprs: 20
; NumVgprs: 92
; NumAgprs: 0
; TotalNumVgprs: 92
; ScratchSize: 192
; MemoryBound: 0
; FloatMode: 240
; IeeeMode: 1
; LDSByteSize: 376 bytes/workgroup (compile time only)
; SGPRBlocks: 2
; VGPRBlocks: 11
; NumSGPRsForWavesPerEU: 20
; NumVGPRsForWavesPerEU: 92
; AccumOffset: 92
; Occupancy: 5
; WaveLimiterHint : 1
; COMPUTE_PGM_RSRC2:SCRATCH_EN: 1
; COMPUTE_PGM_RSRC2:USER_SGPR: 8
; COMPUTE_PGM_RSRC2:TRAP_HANDLER: 0
; COMPUTE_PGM_RSRC2:TGID_X_EN: 1
; COMPUTE_PGM_RSRC2:TGID_Y_EN: 0
; COMPUTE_PGM_RSRC2:TGID_Z_EN: 0
; COMPUTE_PGM_RSRC2:TIDIG_COMP_CNT: 0
; COMPUTE_PGM_RSRC3_GFX90A:ACCUM_OFFSET: 22
; COMPUTE_PGM_RSRC3_GFX90A:TG_SPLIT: 0
	.section	.text._ZN9rocsolver6v33100L18trti2_kernel_smallILi24EdPKPdEEv13rocblas_fill_17rocblas_diagonal_T1_iil,"axG",@progbits,_ZN9rocsolver6v33100L18trti2_kernel_smallILi24EdPKPdEEv13rocblas_fill_17rocblas_diagonal_T1_iil,comdat
	.globl	_ZN9rocsolver6v33100L18trti2_kernel_smallILi24EdPKPdEEv13rocblas_fill_17rocblas_diagonal_T1_iil ; -- Begin function _ZN9rocsolver6v33100L18trti2_kernel_smallILi24EdPKPdEEv13rocblas_fill_17rocblas_diagonal_T1_iil
	.p2align	8
	.type	_ZN9rocsolver6v33100L18trti2_kernel_smallILi24EdPKPdEEv13rocblas_fill_17rocblas_diagonal_T1_iil,@function
_ZN9rocsolver6v33100L18trti2_kernel_smallILi24EdPKPdEEv13rocblas_fill_17rocblas_diagonal_T1_iil: ; @_ZN9rocsolver6v33100L18trti2_kernel_smallILi24EdPKPdEEv13rocblas_fill_17rocblas_diagonal_T1_iil
; %bb.0:
	s_add_u32 s0, s0, s9
	s_addc_u32 s1, s1, 0
	v_cmp_gt_u32_e32 vcc, 24, v0
	s_and_saveexec_b64 s[6:7], vcc
	s_cbranch_execz .LBB87_452
; %bb.1:
	s_load_dwordx2 s[6:7], s[4:5], 0x10
	s_load_dwordx4 s[12:15], s[4:5], 0x0
	s_ashr_i32 s9, s8, 31
	s_lshl_b64 s[4:5], s[8:9], 3
	v_lshlrev_b32_e32 v1, 3, v0
	s_waitcnt lgkmcnt(0)
	s_ashr_i32 s9, s6, 31
	s_add_u32 s4, s14, s4
	s_addc_u32 s5, s15, s5
	s_load_dwordx2 s[4:5], s[4:5], 0x0
	s_mov_b32 s8, s6
	s_lshl_b64 s[8:9], s[8:9], 3
	s_waitcnt lgkmcnt(0)
	s_add_u32 s4, s4, s8
	s_addc_u32 s5, s5, s9
	v_mov_b32_e32 v3, s5
	v_add_co_u32_e32 v2, vcc, s4, v1
	s_ashr_i32 s9, s7, 31
	s_mov_b32 s8, s7
	s_add_i32 s6, s7, s7
	v_addc_co_u32_e32 v3, vcc, 0, v3, vcc
	s_lshl_b64 s[8:9], s[8:9], 3
	v_add_u32_e32 v8, s6, v0
	v_mov_b32_e32 v5, s9
	v_add_co_u32_e32 v4, vcc, s8, v2
	v_ashrrev_i32_e32 v9, 31, v8
	global_load_dwordx2 v[42:43], v1, s[4:5]
	v_addc_co_u32_e32 v5, vcc, v3, v5, vcc
	v_lshlrev_b64 v[6:7], 3, v[8:9]
	v_mov_b32_e32 v9, s5
	v_add_co_u32_e32 v6, vcc, s4, v6
	v_addc_co_u32_e32 v7, vcc, v9, v7, vcc
	global_load_dwordx2 v[44:45], v[4:5], off
	global_load_dwordx2 v[50:51], v[6:7], off
	v_add_u32_e32 v10, s7, v8
	v_ashrrev_i32_e32 v11, 31, v10
	v_lshlrev_b64 v[8:9], 3, v[10:11]
	v_add_u32_e32 v12, s7, v10
	v_mov_b32_e32 v11, s5
	v_add_co_u32_e32 v8, vcc, s4, v8
	v_ashrrev_i32_e32 v13, 31, v12
	v_addc_co_u32_e32 v9, vcc, v11, v9, vcc
	v_lshlrev_b64 v[10:11], 3, v[12:13]
	v_add_u32_e32 v14, s7, v12
	v_mov_b32_e32 v13, s5
	v_add_co_u32_e32 v10, vcc, s4, v10
	v_ashrrev_i32_e32 v15, 31, v14
	v_addc_co_u32_e32 v11, vcc, v13, v11, vcc
	;; [unrolled: 6-line block ×12, first 2 shown]
	v_lshlrev_b64 v[32:33], 3, v[34:35]
	v_add_u32_e32 v36, s7, v34
	v_mov_b32_e32 v35, s5
	v_add_co_u32_e32 v32, vcc, s4, v32
	v_ashrrev_i32_e32 v37, 31, v36
	v_add_u32_e32 v38, s7, v36
	v_addc_co_u32_e32 v33, vcc, v35, v33, vcc
	v_lshlrev_b64 v[34:35], 3, v[36:37]
	v_add_u32_e32 v40, s7, v38
	v_mov_b32_e32 v37, s5
	v_add_co_u32_e32 v34, vcc, s4, v34
	v_ashrrev_i32_e32 v39, 31, v38
	v_add_u32_e32 v46, s7, v40
	v_addc_co_u32_e32 v35, vcc, v37, v35, vcc
	;; [unrolled: 7-line block ×3, first 2 shown]
	v_lshlrev_b64 v[38:39], 3, v[40:41]
	v_add_u32_e32 v54, s7, v52
	v_mov_b32_e32 v41, s5
	v_add_co_u32_e32 v38, vcc, s4, v38
	v_add_u32_e32 v40, s7, v54
	v_addc_co_u32_e32 v39, vcc, v41, v39, vcc
	v_ashrrev_i32_e32 v41, 31, v40
	v_lshlrev_b64 v[40:41], 3, v[40:41]
	v_mov_b32_e32 v47, s5
	v_add_co_u32_e32 v40, vcc, s4, v40
	v_addc_co_u32_e32 v41, vcc, v47, v41, vcc
	v_ashrrev_i32_e32 v47, 31, v46
	global_load_dwordx2 v[56:57], v[40:41], off
	s_waitcnt vmcnt(3)
	buffer_store_dword v43, off, s[0:3], 0 offset:4
	buffer_store_dword v42, off, s[0:3], 0
	v_lshlrev_b64 v[42:43], 3, v[46:47]
	global_load_dwordx2 v[58:59], v[8:9], off
	global_load_dwordx2 v[60:61], v[10:11], off
	s_waitcnt vmcnt(6)
	buffer_store_dword v45, off, s[0:3], 0 offset:12
	buffer_store_dword v44, off, s[0:3], 0 offset:8
	v_mov_b32_e32 v44, s5
	v_add_co_u32_e32 v42, vcc, s4, v42
	v_ashrrev_i32_e32 v49, 31, v48
	v_addc_co_u32_e32 v43, vcc, v44, v43, vcc
	v_lshlrev_b64 v[44:45], 3, v[48:49]
	v_mov_b32_e32 v46, s5
	v_add_co_u32_e32 v44, vcc, s4, v44
	v_ashrrev_i32_e32 v53, 31, v52
	v_addc_co_u32_e32 v45, vcc, v46, v45, vcc
	v_lshlrev_b64 v[46:47], 3, v[52:53]
	;; [unrolled: 5-line block ×3, first 2 shown]
	v_mov_b32_e32 v88, s5
	v_add_co_u32_e32 v48, vcc, s4, v48
	global_load_dwordx2 v[62:63], v[12:13], off
	global_load_dwordx2 v[64:65], v[14:15], off
	;; [unrolled: 1-line block ×15, first 2 shown]
	v_addc_co_u32_e32 v49, vcc, v88, v49, vcc
	global_load_dwordx2 v[88:89], v[44:45], off
	global_load_dwordx2 v[90:91], v[46:47], off
	s_cmpk_lg_i32 s13, 0x84
	s_waitcnt vmcnt(24)
	buffer_store_dword v51, off, s[0:3], 0 offset:20
	buffer_store_dword v50, off, s[0:3], 0 offset:16
	global_load_dwordx2 v[50:51], v[48:49], off
	s_waitcnt vmcnt(23)
	buffer_store_dword v59, off, s[0:3], 0 offset:28
	buffer_store_dword v58, off, s[0:3], 0 offset:24
	s_waitcnt vmcnt(24)
	buffer_store_dword v61, off, s[0:3], 0 offset:36
	buffer_store_dword v60, off, s[0:3], 0 offset:32
	;; [unrolled: 3-line block ×20, first 2 shown]
	buffer_store_dword v56, off, s[0:3], 0 offset:184
	buffer_store_dword v57, off, s[0:3], 0 offset:188
	v_mov_b32_e32 v50, 0
	v_mov_b32_e32 v74, 0
	s_cselect_b64 s[8:9], -1, 0
	s_cmpk_eq_i32 s13, 0x84
	v_mov_b32_e32 v51, 0xbff00000
	s_cbranch_scc1 .LBB87_3
; %bb.2:
	v_lshl_add_u32 v60, v0, 3, v74
	buffer_load_dword v50, v60, s[0:3], 0 offen
	buffer_load_dword v51, v60, s[0:3], 0 offen offset:4
	s_waitcnt vmcnt(0)
	v_div_scale_f64 v[52:53], s[4:5], v[50:51], v[50:51], 1.0
	v_rcp_f64_e32 v[54:55], v[52:53]
	v_div_scale_f64 v[56:57], vcc, 1.0, v[50:51], 1.0
	v_fma_f64 v[58:59], -v[52:53], v[54:55], 1.0
	v_fmac_f64_e32 v[54:55], v[54:55], v[58:59]
	v_fma_f64 v[58:59], -v[52:53], v[54:55], 1.0
	v_fmac_f64_e32 v[54:55], v[54:55], v[58:59]
	v_mul_f64 v[58:59], v[56:57], v[54:55]
	v_fma_f64 v[52:53], -v[52:53], v[58:59], v[56:57]
	v_div_fmas_f64 v[52:53], v[52:53], v[54:55], v[58:59]
	v_div_fixup_f64 v[50:51], v[52:53], v[50:51], 1.0
	buffer_store_dword v50, v60, s[0:3], 0 offen
	buffer_store_dword v51, v60, s[0:3], 0 offen offset:4
	v_xor_b32_e32 v51, 0x80000000, v51
.LBB87_3:
	s_cmpk_eq_i32 s12, 0x79
	v_add_u32_e32 v52, 0xc0, v1
	v_add_u32_e32 v53, 0, v1
	s_mov_b64 s[4:5], -1
	ds_write_b64 v1, v[50:51]
	s_cbranch_scc1 .LBB87_227
; %bb.4:
	buffer_load_dword v50, off, s[0:3], 0 offset:176
	buffer_load_dword v51, off, s[0:3], 0 offset:180
	v_cmp_eq_u32_e64 s[4:5], 23, v0
	s_waitcnt vmcnt(0)
	ds_write_b64 v52, v[50:51]
	s_waitcnt lgkmcnt(0)
	; wave barrier
	s_waitcnt lgkmcnt(0)
	s_and_saveexec_b64 s[6:7], s[4:5]
	s_cbranch_execz .LBB87_10
; %bb.5:
	s_and_b64 vcc, exec, s[8:9]
	s_cbranch_vccz .LBB87_7
; %bb.6:
	buffer_load_dword v50, v53, s[0:3], 0 offen
	buffer_load_dword v51, v53, s[0:3], 0 offen offset:4
	ds_read_b64 v[54:55], v52
	s_waitcnt vmcnt(0) lgkmcnt(0)
	v_mul_f64 v[50:51], v[50:51], v[54:55]
	s_cbranch_execz .LBB87_8
	s_branch .LBB87_9
.LBB87_7:
                                        ; implicit-def: $vgpr50_vgpr51
.LBB87_8:
	ds_read_b64 v[50:51], v52
.LBB87_9:
	v_mov_b32_e32 v54, 0
	ds_read_b64 v[54:55], v54 offset:176
	s_waitcnt lgkmcnt(0)
	v_mul_f64 v[50:51], v[50:51], v[54:55]
	buffer_store_dword v51, off, s[0:3], 0 offset:180
	buffer_store_dword v50, off, s[0:3], 0 offset:176
.LBB87_10:
	s_or_b64 exec, exec, s[6:7]
	buffer_load_dword v50, off, s[0:3], 0 offset:168
	buffer_load_dword v51, off, s[0:3], 0 offset:172
	v_or_b32_e32 v54, 8, v74
	v_add_u32_e32 v55, 16, v74
	v_add_u32_e32 v56, 24, v74
	;; [unrolled: 1-line block ×20, first 2 shown]
	v_cmp_lt_u32_e64 s[6:7], 21, v0
	s_waitcnt vmcnt(0)
	ds_write_b64 v52, v[50:51]
	s_waitcnt lgkmcnt(0)
	; wave barrier
	s_waitcnt lgkmcnt(0)
	s_and_saveexec_b64 s[10:11], s[6:7]
	s_cbranch_execz .LBB87_16
; %bb.11:
	s_andn2_b64 vcc, exec, s[8:9]
	s_cbranch_vccnz .LBB87_13
; %bb.12:
	buffer_load_dword v50, v53, s[0:3], 0 offen
	buffer_load_dword v51, v53, s[0:3], 0 offen offset:4
	ds_read_b64 v[76:77], v52
	s_waitcnt vmcnt(0) lgkmcnt(0)
	v_mul_f64 v[50:51], v[50:51], v[76:77]
	s_cbranch_execz .LBB87_14
	s_branch .LBB87_15
.LBB87_13:
                                        ; implicit-def: $vgpr50_vgpr51
.LBB87_14:
	ds_read_b64 v[50:51], v52
.LBB87_15:
	buffer_load_dword v80, off, s[0:3], 0 offset:176
	buffer_load_dword v81, off, s[0:3], 0 offset:180
	v_mov_b32_e32 v75, 0
	ds_read2_b64 v[76:79], v75 offset0:21 offset1:46
	s_waitcnt vmcnt(0) lgkmcnt(0)
	v_fma_f64 v[78:79], v[80:81], v[78:79], v[50:51]
	v_cndmask_b32_e64 v51, v51, v79, s[4:5]
	v_cndmask_b32_e64 v50, v50, v78, s[4:5]
	v_mul_f64 v[50:51], v[50:51], v[76:77]
	buffer_store_dword v51, off, s[0:3], 0 offset:172
	buffer_store_dword v50, off, s[0:3], 0 offset:168
.LBB87_16:
	s_or_b64 exec, exec, s[10:11]
	buffer_load_dword v50, off, s[0:3], 0 offset:160
	buffer_load_dword v51, off, s[0:3], 0 offset:164
	v_cmp_lt_u32_e64 s[4:5], 20, v0
	s_waitcnt vmcnt(0)
	ds_write_b64 v52, v[50:51]
	s_waitcnt lgkmcnt(0)
	; wave barrier
	s_waitcnt lgkmcnt(0)
	s_and_saveexec_b64 s[10:11], s[4:5]
	s_cbranch_execz .LBB87_26
; %bb.17:
	s_andn2_b64 vcc, exec, s[8:9]
	s_cbranch_vccnz .LBB87_19
; %bb.18:
	buffer_load_dword v50, v53, s[0:3], 0 offen
	buffer_load_dword v51, v53, s[0:3], 0 offen offset:4
	ds_read_b64 v[76:77], v52
	s_waitcnt vmcnt(0) lgkmcnt(0)
	v_mul_f64 v[50:51], v[50:51], v[76:77]
	s_cbranch_execz .LBB87_20
	s_branch .LBB87_21
.LBB87_19:
                                        ; implicit-def: $vgpr50_vgpr51
.LBB87_20:
	ds_read_b64 v[50:51], v52
.LBB87_21:
	s_and_saveexec_b64 s[12:13], s[6:7]
	s_cbranch_execz .LBB87_25
; %bb.22:
	v_subrev_u32_e32 v75, 21, v0
	s_movk_i32 s14, 0x168
	s_mov_b64 s[6:7], 0
.LBB87_23:                              ; =>This Inner Loop Header: Depth=1
	buffer_load_dword v76, v74, s[0:3], 0 offen
	buffer_load_dword v77, v74, s[0:3], 0 offen offset:4
	v_mov_b32_e32 v78, s14
	ds_read_b64 v[78:79], v78
	v_add_u32_e32 v75, -1, v75
	s_add_i32 s14, s14, 8
	v_cmp_eq_u32_e32 vcc, 0, v75
	v_add_u32_e32 v74, 8, v74
	s_or_b64 s[6:7], vcc, s[6:7]
	s_waitcnt vmcnt(0) lgkmcnt(0)
	v_fmac_f64_e32 v[50:51], v[76:77], v[78:79]
	s_andn2_b64 exec, exec, s[6:7]
	s_cbranch_execnz .LBB87_23
; %bb.24:
	s_or_b64 exec, exec, s[6:7]
.LBB87_25:
	s_or_b64 exec, exec, s[12:13]
	v_mov_b32_e32 v74, 0
	ds_read_b64 v[74:75], v74 offset:160
	s_waitcnt lgkmcnt(0)
	v_mul_f64 v[50:51], v[50:51], v[74:75]
	buffer_store_dword v51, off, s[0:3], 0 offset:164
	buffer_store_dword v50, off, s[0:3], 0 offset:160
.LBB87_26:
	s_or_b64 exec, exec, s[10:11]
	buffer_load_dword v50, off, s[0:3], 0 offset:152
	buffer_load_dword v51, off, s[0:3], 0 offset:156
	v_cmp_lt_u32_e64 s[6:7], 19, v0
	s_waitcnt vmcnt(0)
	ds_write_b64 v52, v[50:51]
	s_waitcnt lgkmcnt(0)
	; wave barrier
	s_waitcnt lgkmcnt(0)
	s_and_saveexec_b64 s[10:11], s[6:7]
	s_cbranch_execz .LBB87_36
; %bb.27:
	s_andn2_b64 vcc, exec, s[8:9]
	s_cbranch_vccnz .LBB87_29
; %bb.28:
	buffer_load_dword v50, v53, s[0:3], 0 offen
	buffer_load_dword v51, v53, s[0:3], 0 offen offset:4
	ds_read_b64 v[74:75], v52
	s_waitcnt vmcnt(0) lgkmcnt(0)
	v_mul_f64 v[50:51], v[50:51], v[74:75]
	s_cbranch_execz .LBB87_30
	s_branch .LBB87_31
.LBB87_29:
                                        ; implicit-def: $vgpr50_vgpr51
.LBB87_30:
	ds_read_b64 v[50:51], v52
.LBB87_31:
	s_and_saveexec_b64 s[12:13], s[4:5]
	s_cbranch_execz .LBB87_35
; %bb.32:
	v_subrev_u32_e32 v74, 20, v0
	s_movk_i32 s14, 0x160
	s_mov_b64 s[4:5], 0
.LBB87_33:                              ; =>This Inner Loop Header: Depth=1
	buffer_load_dword v76, v73, s[0:3], 0 offen
	buffer_load_dword v77, v73, s[0:3], 0 offen offset:4
	v_mov_b32_e32 v75, s14
	ds_read_b64 v[78:79], v75
	v_add_u32_e32 v74, -1, v74
	s_add_i32 s14, s14, 8
	v_cmp_eq_u32_e32 vcc, 0, v74
	v_add_u32_e32 v73, 8, v73
	s_or_b64 s[4:5], vcc, s[4:5]
	s_waitcnt vmcnt(0) lgkmcnt(0)
	v_fmac_f64_e32 v[50:51], v[76:77], v[78:79]
	s_andn2_b64 exec, exec, s[4:5]
	s_cbranch_execnz .LBB87_33
; %bb.34:
	s_or_b64 exec, exec, s[4:5]
.LBB87_35:
	s_or_b64 exec, exec, s[12:13]
	v_mov_b32_e32 v73, 0
	ds_read_b64 v[74:75], v73 offset:152
	s_waitcnt lgkmcnt(0)
	v_mul_f64 v[50:51], v[50:51], v[74:75]
	buffer_store_dword v51, off, s[0:3], 0 offset:156
	buffer_store_dword v50, off, s[0:3], 0 offset:152
.LBB87_36:
	s_or_b64 exec, exec, s[10:11]
	buffer_load_dword v50, off, s[0:3], 0 offset:144
	buffer_load_dword v51, off, s[0:3], 0 offset:148
	v_cmp_lt_u32_e64 s[4:5], 18, v0
	s_waitcnt vmcnt(0)
	ds_write_b64 v52, v[50:51]
	s_waitcnt lgkmcnt(0)
	; wave barrier
	s_waitcnt lgkmcnt(0)
	s_and_saveexec_b64 s[10:11], s[4:5]
	s_cbranch_execz .LBB87_46
; %bb.37:
	s_andn2_b64 vcc, exec, s[8:9]
	s_cbranch_vccnz .LBB87_39
; %bb.38:
	buffer_load_dword v50, v53, s[0:3], 0 offen
	buffer_load_dword v51, v53, s[0:3], 0 offen offset:4
	ds_read_b64 v[74:75], v52
	s_waitcnt vmcnt(0) lgkmcnt(0)
	v_mul_f64 v[50:51], v[50:51], v[74:75]
	s_cbranch_execz .LBB87_40
	s_branch .LBB87_41
.LBB87_39:
                                        ; implicit-def: $vgpr50_vgpr51
.LBB87_40:
	ds_read_b64 v[50:51], v52
.LBB87_41:
	s_and_saveexec_b64 s[12:13], s[6:7]
	s_cbranch_execz .LBB87_45
; %bb.42:
	v_subrev_u32_e32 v73, 19, v0
	s_movk_i32 s14, 0x158
	s_mov_b64 s[6:7], 0
.LBB87_43:                              ; =>This Inner Loop Header: Depth=1
	buffer_load_dword v74, v72, s[0:3], 0 offen
	buffer_load_dword v75, v72, s[0:3], 0 offen offset:4
	v_mov_b32_e32 v76, s14
	ds_read_b64 v[76:77], v76
	v_add_u32_e32 v73, -1, v73
	s_add_i32 s14, s14, 8
	v_cmp_eq_u32_e32 vcc, 0, v73
	v_add_u32_e32 v72, 8, v72
	s_or_b64 s[6:7], vcc, s[6:7]
	s_waitcnt vmcnt(0) lgkmcnt(0)
	v_fmac_f64_e32 v[50:51], v[74:75], v[76:77]
	s_andn2_b64 exec, exec, s[6:7]
	s_cbranch_execnz .LBB87_43
; %bb.44:
	s_or_b64 exec, exec, s[6:7]
.LBB87_45:
	s_or_b64 exec, exec, s[12:13]
	v_mov_b32_e32 v72, 0
	ds_read_b64 v[72:73], v72 offset:144
	s_waitcnt lgkmcnt(0)
	v_mul_f64 v[50:51], v[50:51], v[72:73]
	buffer_store_dword v51, off, s[0:3], 0 offset:148
	buffer_store_dword v50, off, s[0:3], 0 offset:144
.LBB87_46:
	s_or_b64 exec, exec, s[10:11]
	buffer_load_dword v50, off, s[0:3], 0 offset:136
	buffer_load_dword v51, off, s[0:3], 0 offset:140
	v_cmp_lt_u32_e64 s[6:7], 17, v0
	s_waitcnt vmcnt(0)
	ds_write_b64 v52, v[50:51]
	s_waitcnt lgkmcnt(0)
	; wave barrier
	s_waitcnt lgkmcnt(0)
	s_and_saveexec_b64 s[10:11], s[6:7]
	s_cbranch_execz .LBB87_56
; %bb.47:
	s_andn2_b64 vcc, exec, s[8:9]
	s_cbranch_vccnz .LBB87_49
; %bb.48:
	buffer_load_dword v50, v53, s[0:3], 0 offen
	buffer_load_dword v51, v53, s[0:3], 0 offen offset:4
	ds_read_b64 v[72:73], v52
	s_waitcnt vmcnt(0) lgkmcnt(0)
	v_mul_f64 v[50:51], v[50:51], v[72:73]
	s_cbranch_execz .LBB87_50
	s_branch .LBB87_51
.LBB87_49:
                                        ; implicit-def: $vgpr50_vgpr51
.LBB87_50:
	ds_read_b64 v[50:51], v52
.LBB87_51:
	s_and_saveexec_b64 s[12:13], s[4:5]
	s_cbranch_execz .LBB87_55
; %bb.52:
	v_subrev_u32_e32 v72, 18, v0
	s_movk_i32 s14, 0x150
	s_mov_b64 s[4:5], 0
.LBB87_53:                              ; =>This Inner Loop Header: Depth=1
	buffer_load_dword v74, v71, s[0:3], 0 offen
	buffer_load_dword v75, v71, s[0:3], 0 offen offset:4
	v_mov_b32_e32 v73, s14
	ds_read_b64 v[76:77], v73
	v_add_u32_e32 v72, -1, v72
	s_add_i32 s14, s14, 8
	v_cmp_eq_u32_e32 vcc, 0, v72
	v_add_u32_e32 v71, 8, v71
	s_or_b64 s[4:5], vcc, s[4:5]
	s_waitcnt vmcnt(0) lgkmcnt(0)
	v_fmac_f64_e32 v[50:51], v[74:75], v[76:77]
	s_andn2_b64 exec, exec, s[4:5]
	s_cbranch_execnz .LBB87_53
; %bb.54:
	s_or_b64 exec, exec, s[4:5]
.LBB87_55:
	s_or_b64 exec, exec, s[12:13]
	v_mov_b32_e32 v71, 0
	ds_read_b64 v[72:73], v71 offset:136
	s_waitcnt lgkmcnt(0)
	v_mul_f64 v[50:51], v[50:51], v[72:73]
	buffer_store_dword v51, off, s[0:3], 0 offset:140
	buffer_store_dword v50, off, s[0:3], 0 offset:136
.LBB87_56:
	s_or_b64 exec, exec, s[10:11]
	buffer_load_dword v50, off, s[0:3], 0 offset:128
	buffer_load_dword v51, off, s[0:3], 0 offset:132
	v_cmp_lt_u32_e64 s[4:5], 16, v0
	s_waitcnt vmcnt(0)
	ds_write_b64 v52, v[50:51]
	s_waitcnt lgkmcnt(0)
	; wave barrier
	s_waitcnt lgkmcnt(0)
	s_and_saveexec_b64 s[10:11], s[4:5]
	s_cbranch_execz .LBB87_66
; %bb.57:
	s_andn2_b64 vcc, exec, s[8:9]
	s_cbranch_vccnz .LBB87_59
; %bb.58:
	buffer_load_dword v50, v53, s[0:3], 0 offen
	buffer_load_dword v51, v53, s[0:3], 0 offen offset:4
	ds_read_b64 v[72:73], v52
	s_waitcnt vmcnt(0) lgkmcnt(0)
	v_mul_f64 v[50:51], v[50:51], v[72:73]
	s_cbranch_execz .LBB87_60
	s_branch .LBB87_61
.LBB87_59:
                                        ; implicit-def: $vgpr50_vgpr51
.LBB87_60:
	ds_read_b64 v[50:51], v52
.LBB87_61:
	s_and_saveexec_b64 s[12:13], s[6:7]
	s_cbranch_execz .LBB87_65
; %bb.62:
	v_subrev_u32_e32 v71, 17, v0
	s_movk_i32 s14, 0x148
	s_mov_b64 s[6:7], 0
.LBB87_63:                              ; =>This Inner Loop Header: Depth=1
	buffer_load_dword v72, v70, s[0:3], 0 offen
	buffer_load_dword v73, v70, s[0:3], 0 offen offset:4
	v_mov_b32_e32 v74, s14
	ds_read_b64 v[74:75], v74
	v_add_u32_e32 v71, -1, v71
	s_add_i32 s14, s14, 8
	v_cmp_eq_u32_e32 vcc, 0, v71
	v_add_u32_e32 v70, 8, v70
	s_or_b64 s[6:7], vcc, s[6:7]
	s_waitcnt vmcnt(0) lgkmcnt(0)
	v_fmac_f64_e32 v[50:51], v[72:73], v[74:75]
	s_andn2_b64 exec, exec, s[6:7]
	s_cbranch_execnz .LBB87_63
; %bb.64:
	s_or_b64 exec, exec, s[6:7]
.LBB87_65:
	s_or_b64 exec, exec, s[12:13]
	v_mov_b32_e32 v70, 0
	ds_read_b64 v[70:71], v70 offset:128
	s_waitcnt lgkmcnt(0)
	v_mul_f64 v[50:51], v[50:51], v[70:71]
	buffer_store_dword v51, off, s[0:3], 0 offset:132
	buffer_store_dword v50, off, s[0:3], 0 offset:128
.LBB87_66:
	s_or_b64 exec, exec, s[10:11]
	buffer_load_dword v50, off, s[0:3], 0 offset:120
	buffer_load_dword v51, off, s[0:3], 0 offset:124
	v_cmp_lt_u32_e64 s[6:7], 15, v0
	s_waitcnt vmcnt(0)
	ds_write_b64 v52, v[50:51]
	s_waitcnt lgkmcnt(0)
	; wave barrier
	s_waitcnt lgkmcnt(0)
	s_and_saveexec_b64 s[10:11], s[6:7]
	s_cbranch_execz .LBB87_76
; %bb.67:
	s_andn2_b64 vcc, exec, s[8:9]
	s_cbranch_vccnz .LBB87_69
; %bb.68:
	buffer_load_dword v50, v53, s[0:3], 0 offen
	buffer_load_dword v51, v53, s[0:3], 0 offen offset:4
	ds_read_b64 v[70:71], v52
	s_waitcnt vmcnt(0) lgkmcnt(0)
	v_mul_f64 v[50:51], v[50:51], v[70:71]
	s_cbranch_execz .LBB87_70
	s_branch .LBB87_71
.LBB87_69:
                                        ; implicit-def: $vgpr50_vgpr51
.LBB87_70:
	ds_read_b64 v[50:51], v52
.LBB87_71:
	s_and_saveexec_b64 s[12:13], s[4:5]
	s_cbranch_execz .LBB87_75
; %bb.72:
	v_add_u32_e32 v70, -16, v0
	s_movk_i32 s14, 0x140
	s_mov_b64 s[4:5], 0
.LBB87_73:                              ; =>This Inner Loop Header: Depth=1
	buffer_load_dword v72, v69, s[0:3], 0 offen
	buffer_load_dword v73, v69, s[0:3], 0 offen offset:4
	v_mov_b32_e32 v71, s14
	ds_read_b64 v[74:75], v71
	v_add_u32_e32 v70, -1, v70
	s_add_i32 s14, s14, 8
	v_cmp_eq_u32_e32 vcc, 0, v70
	v_add_u32_e32 v69, 8, v69
	s_or_b64 s[4:5], vcc, s[4:5]
	s_waitcnt vmcnt(0) lgkmcnt(0)
	v_fmac_f64_e32 v[50:51], v[72:73], v[74:75]
	s_andn2_b64 exec, exec, s[4:5]
	s_cbranch_execnz .LBB87_73
; %bb.74:
	s_or_b64 exec, exec, s[4:5]
.LBB87_75:
	s_or_b64 exec, exec, s[12:13]
	v_mov_b32_e32 v69, 0
	ds_read_b64 v[70:71], v69 offset:120
	s_waitcnt lgkmcnt(0)
	v_mul_f64 v[50:51], v[50:51], v[70:71]
	buffer_store_dword v51, off, s[0:3], 0 offset:124
	buffer_store_dword v50, off, s[0:3], 0 offset:120
.LBB87_76:
	s_or_b64 exec, exec, s[10:11]
	buffer_load_dword v50, off, s[0:3], 0 offset:112
	buffer_load_dword v51, off, s[0:3], 0 offset:116
	v_cmp_lt_u32_e64 s[4:5], 14, v0
	s_waitcnt vmcnt(0)
	ds_write_b64 v52, v[50:51]
	s_waitcnt lgkmcnt(0)
	; wave barrier
	s_waitcnt lgkmcnt(0)
	s_and_saveexec_b64 s[10:11], s[4:5]
	s_cbranch_execz .LBB87_86
; %bb.77:
	s_andn2_b64 vcc, exec, s[8:9]
	s_cbranch_vccnz .LBB87_79
; %bb.78:
	buffer_load_dword v50, v53, s[0:3], 0 offen
	buffer_load_dword v51, v53, s[0:3], 0 offen offset:4
	ds_read_b64 v[70:71], v52
	s_waitcnt vmcnt(0) lgkmcnt(0)
	v_mul_f64 v[50:51], v[50:51], v[70:71]
	s_cbranch_execz .LBB87_80
	s_branch .LBB87_81
.LBB87_79:
                                        ; implicit-def: $vgpr50_vgpr51
.LBB87_80:
	ds_read_b64 v[50:51], v52
.LBB87_81:
	s_and_saveexec_b64 s[12:13], s[6:7]
	s_cbranch_execz .LBB87_85
; %bb.82:
	v_add_u32_e32 v69, -15, v0
	s_movk_i32 s14, 0x138
	s_mov_b64 s[6:7], 0
.LBB87_83:                              ; =>This Inner Loop Header: Depth=1
	buffer_load_dword v70, v68, s[0:3], 0 offen
	buffer_load_dword v71, v68, s[0:3], 0 offen offset:4
	v_mov_b32_e32 v72, s14
	ds_read_b64 v[72:73], v72
	v_add_u32_e32 v69, -1, v69
	s_add_i32 s14, s14, 8
	v_cmp_eq_u32_e32 vcc, 0, v69
	v_add_u32_e32 v68, 8, v68
	s_or_b64 s[6:7], vcc, s[6:7]
	s_waitcnt vmcnt(0) lgkmcnt(0)
	v_fmac_f64_e32 v[50:51], v[70:71], v[72:73]
	s_andn2_b64 exec, exec, s[6:7]
	s_cbranch_execnz .LBB87_83
; %bb.84:
	s_or_b64 exec, exec, s[6:7]
.LBB87_85:
	s_or_b64 exec, exec, s[12:13]
	v_mov_b32_e32 v68, 0
	ds_read_b64 v[68:69], v68 offset:112
	s_waitcnt lgkmcnt(0)
	v_mul_f64 v[50:51], v[50:51], v[68:69]
	buffer_store_dword v51, off, s[0:3], 0 offset:116
	buffer_store_dword v50, off, s[0:3], 0 offset:112
.LBB87_86:
	;; [unrolled: 58-line block ×3, first 2 shown]
	s_or_b64 exec, exec, s[10:11]
	buffer_load_dword v50, off, s[0:3], 0 offset:96
	buffer_load_dword v51, off, s[0:3], 0 offset:100
	v_cmp_lt_u32_e64 s[4:5], 12, v0
	s_waitcnt vmcnt(0)
	ds_write_b64 v52, v[50:51]
	s_waitcnt lgkmcnt(0)
	; wave barrier
	s_waitcnt lgkmcnt(0)
	s_and_saveexec_b64 s[10:11], s[4:5]
	s_cbranch_execz .LBB87_106
; %bb.97:
	s_andn2_b64 vcc, exec, s[8:9]
	s_cbranch_vccnz .LBB87_99
; %bb.98:
	buffer_load_dword v50, v53, s[0:3], 0 offen
	buffer_load_dword v51, v53, s[0:3], 0 offen offset:4
	ds_read_b64 v[68:69], v52
	s_waitcnt vmcnt(0) lgkmcnt(0)
	v_mul_f64 v[50:51], v[50:51], v[68:69]
	s_cbranch_execz .LBB87_100
	s_branch .LBB87_101
.LBB87_99:
                                        ; implicit-def: $vgpr50_vgpr51
.LBB87_100:
	ds_read_b64 v[50:51], v52
.LBB87_101:
	s_and_saveexec_b64 s[12:13], s[6:7]
	s_cbranch_execz .LBB87_105
; %bb.102:
	v_add_u32_e32 v67, -13, v0
	s_movk_i32 s14, 0x128
	s_mov_b64 s[6:7], 0
.LBB87_103:                             ; =>This Inner Loop Header: Depth=1
	buffer_load_dword v68, v66, s[0:3], 0 offen
	buffer_load_dword v69, v66, s[0:3], 0 offen offset:4
	v_mov_b32_e32 v70, s14
	ds_read_b64 v[70:71], v70
	v_add_u32_e32 v67, -1, v67
	s_add_i32 s14, s14, 8
	v_cmp_eq_u32_e32 vcc, 0, v67
	v_add_u32_e32 v66, 8, v66
	s_or_b64 s[6:7], vcc, s[6:7]
	s_waitcnt vmcnt(0) lgkmcnt(0)
	v_fmac_f64_e32 v[50:51], v[68:69], v[70:71]
	s_andn2_b64 exec, exec, s[6:7]
	s_cbranch_execnz .LBB87_103
; %bb.104:
	s_or_b64 exec, exec, s[6:7]
.LBB87_105:
	s_or_b64 exec, exec, s[12:13]
	v_mov_b32_e32 v66, 0
	ds_read_b64 v[66:67], v66 offset:96
	s_waitcnt lgkmcnt(0)
	v_mul_f64 v[50:51], v[50:51], v[66:67]
	buffer_store_dword v51, off, s[0:3], 0 offset:100
	buffer_store_dword v50, off, s[0:3], 0 offset:96
.LBB87_106:
	s_or_b64 exec, exec, s[10:11]
	buffer_load_dword v50, off, s[0:3], 0 offset:88
	buffer_load_dword v51, off, s[0:3], 0 offset:92
	v_cmp_lt_u32_e64 s[6:7], 11, v0
	s_waitcnt vmcnt(0)
	ds_write_b64 v52, v[50:51]
	s_waitcnt lgkmcnt(0)
	; wave barrier
	s_waitcnt lgkmcnt(0)
	s_and_saveexec_b64 s[10:11], s[6:7]
	s_cbranch_execz .LBB87_116
; %bb.107:
	s_andn2_b64 vcc, exec, s[8:9]
	s_cbranch_vccnz .LBB87_109
; %bb.108:
	buffer_load_dword v50, v53, s[0:3], 0 offen
	buffer_load_dword v51, v53, s[0:3], 0 offen offset:4
	ds_read_b64 v[66:67], v52
	s_waitcnt vmcnt(0) lgkmcnt(0)
	v_mul_f64 v[50:51], v[50:51], v[66:67]
	s_cbranch_execz .LBB87_110
	s_branch .LBB87_111
.LBB87_109:
                                        ; implicit-def: $vgpr50_vgpr51
.LBB87_110:
	ds_read_b64 v[50:51], v52
.LBB87_111:
	s_and_saveexec_b64 s[12:13], s[4:5]
	s_cbranch_execz .LBB87_115
; %bb.112:
	v_add_u32_e32 v66, -12, v0
	s_movk_i32 s14, 0x120
	s_mov_b64 s[4:5], 0
.LBB87_113:                             ; =>This Inner Loop Header: Depth=1
	buffer_load_dword v68, v65, s[0:3], 0 offen
	buffer_load_dword v69, v65, s[0:3], 0 offen offset:4
	v_mov_b32_e32 v67, s14
	ds_read_b64 v[70:71], v67
	v_add_u32_e32 v66, -1, v66
	s_add_i32 s14, s14, 8
	v_cmp_eq_u32_e32 vcc, 0, v66
	v_add_u32_e32 v65, 8, v65
	s_or_b64 s[4:5], vcc, s[4:5]
	s_waitcnt vmcnt(0) lgkmcnt(0)
	v_fmac_f64_e32 v[50:51], v[68:69], v[70:71]
	s_andn2_b64 exec, exec, s[4:5]
	s_cbranch_execnz .LBB87_113
; %bb.114:
	s_or_b64 exec, exec, s[4:5]
.LBB87_115:
	s_or_b64 exec, exec, s[12:13]
	v_mov_b32_e32 v65, 0
	ds_read_b64 v[66:67], v65 offset:88
	s_waitcnt lgkmcnt(0)
	v_mul_f64 v[50:51], v[50:51], v[66:67]
	buffer_store_dword v51, off, s[0:3], 0 offset:92
	buffer_store_dword v50, off, s[0:3], 0 offset:88
.LBB87_116:
	;; [unrolled: 58-line block ×12, first 2 shown]
	s_or_b64 exec, exec, s[10:11]
	buffer_load_dword v50, off, s[0:3], 0
	buffer_load_dword v51, off, s[0:3], 0 offset:4
	v_cmp_ne_u32_e32 vcc, 0, v0
	s_waitcnt vmcnt(0)
	ds_write_b64 v52, v[50:51]
	s_waitcnt lgkmcnt(0)
	; wave barrier
	s_waitcnt lgkmcnt(0)
	s_and_saveexec_b64 s[4:5], vcc
	s_cbranch_execz .LBB87_226
; %bb.217:
	s_andn2_b64 vcc, exec, s[8:9]
	s_cbranch_vccnz .LBB87_219
; %bb.218:
	buffer_load_dword v50, v53, s[0:3], 0 offen
	buffer_load_dword v51, v53, s[0:3], 0 offen offset:4
	ds_read_b64 v[56:57], v52
	s_waitcnt vmcnt(0) lgkmcnt(0)
	v_mul_f64 v[50:51], v[50:51], v[56:57]
	s_cbranch_execz .LBB87_220
	s_branch .LBB87_221
.LBB87_219:
                                        ; implicit-def: $vgpr50_vgpr51
.LBB87_220:
	ds_read_b64 v[50:51], v52
.LBB87_221:
	s_and_saveexec_b64 s[10:11], s[6:7]
	s_cbranch_execz .LBB87_225
; %bb.222:
	v_add_u32_e32 v55, -1, v0
	s_movk_i32 s12, 0xc8
	s_mov_b64 s[6:7], 0
.LBB87_223:                             ; =>This Inner Loop Header: Depth=1
	buffer_load_dword v56, v54, s[0:3], 0 offen
	buffer_load_dword v57, v54, s[0:3], 0 offen offset:4
	v_mov_b32_e32 v58, s12
	ds_read_b64 v[58:59], v58
	v_add_u32_e32 v55, -1, v55
	s_add_i32 s12, s12, 8
	v_cmp_eq_u32_e32 vcc, 0, v55
	v_add_u32_e32 v54, 8, v54
	s_or_b64 s[6:7], vcc, s[6:7]
	s_waitcnt vmcnt(0) lgkmcnt(0)
	v_fmac_f64_e32 v[50:51], v[56:57], v[58:59]
	s_andn2_b64 exec, exec, s[6:7]
	s_cbranch_execnz .LBB87_223
; %bb.224:
	s_or_b64 exec, exec, s[6:7]
.LBB87_225:
	s_or_b64 exec, exec, s[10:11]
	v_mov_b32_e32 v54, 0
	ds_read_b64 v[54:55], v54
	s_waitcnt lgkmcnt(0)
	v_mul_f64 v[50:51], v[50:51], v[54:55]
	buffer_store_dword v51, off, s[0:3], 0 offset:4
	buffer_store_dword v50, off, s[0:3], 0
.LBB87_226:
	s_or_b64 exec, exec, s[4:5]
	s_mov_b64 s[4:5], 0
.LBB87_227:
	s_and_b64 vcc, exec, s[4:5]
	s_cbranch_vccz .LBB87_451
; %bb.228:
	buffer_load_dword v50, off, s[0:3], 0 offset:8
	buffer_load_dword v51, off, s[0:3], 0 offset:12
	v_cmp_eq_u32_e64 s[6:7], 0, v0
	s_waitcnt vmcnt(0)
	ds_write_b64 v52, v[50:51]
	s_waitcnt lgkmcnt(0)
	; wave barrier
	s_waitcnt lgkmcnt(0)
	s_and_saveexec_b64 s[4:5], s[6:7]
	s_cbranch_execz .LBB87_234
; %bb.229:
	s_and_b64 vcc, exec, s[8:9]
	s_cbranch_vccz .LBB87_231
; %bb.230:
	buffer_load_dword v50, v53, s[0:3], 0 offen
	buffer_load_dword v51, v53, s[0:3], 0 offen offset:4
	ds_read_b64 v[54:55], v52
	s_waitcnt vmcnt(0) lgkmcnt(0)
	v_mul_f64 v[50:51], v[50:51], v[54:55]
	s_cbranch_execz .LBB87_232
	s_branch .LBB87_233
.LBB87_231:
                                        ; implicit-def: $vgpr50_vgpr51
.LBB87_232:
	ds_read_b64 v[50:51], v52
.LBB87_233:
	v_mov_b32_e32 v54, 0
	ds_read_b64 v[54:55], v54 offset:8
	s_waitcnt lgkmcnt(0)
	v_mul_f64 v[50:51], v[50:51], v[54:55]
	buffer_store_dword v51, off, s[0:3], 0 offset:12
	buffer_store_dword v50, off, s[0:3], 0 offset:8
.LBB87_234:
	s_or_b64 exec, exec, s[4:5]
	buffer_load_dword v50, off, s[0:3], 0 offset:16
	buffer_load_dword v51, off, s[0:3], 0 offset:20
	v_cndmask_b32_e64 v54, 0, 1, s[8:9]
	v_cmp_gt_u32_e32 vcc, 2, v0
	v_cmp_ne_u32_e64 s[4:5], 1, v54
	s_waitcnt vmcnt(0)
	ds_write_b64 v52, v[50:51]
	s_waitcnt lgkmcnt(0)
	; wave barrier
	s_waitcnt lgkmcnt(0)
	s_and_saveexec_b64 s[8:9], vcc
	s_cbranch_execz .LBB87_242
; %bb.235:
	s_and_b64 vcc, exec, s[4:5]
	s_cbranch_vccnz .LBB87_237
; %bb.236:
	buffer_load_dword v50, v53, s[0:3], 0 offen
	buffer_load_dword v51, v53, s[0:3], 0 offen offset:4
	ds_read_b64 v[54:55], v52
	s_waitcnt vmcnt(0) lgkmcnt(0)
	v_mul_f64 v[50:51], v[50:51], v[54:55]
	s_cbranch_execz .LBB87_238
	s_branch .LBB87_239
.LBB87_237:
                                        ; implicit-def: $vgpr50_vgpr51
.LBB87_238:
	ds_read_b64 v[50:51], v52
.LBB87_239:
	s_and_saveexec_b64 s[10:11], s[6:7]
	s_cbranch_execz .LBB87_241
; %bb.240:
	buffer_load_dword v54, v53, s[0:3], 0 offen offset:8
	buffer_load_dword v55, v53, s[0:3], 0 offen offset:12
	ds_read_b64 v[56:57], v52 offset:8
	s_waitcnt vmcnt(0) lgkmcnt(0)
	v_fmac_f64_e32 v[50:51], v[54:55], v[56:57]
.LBB87_241:
	s_or_b64 exec, exec, s[10:11]
	v_mov_b32_e32 v54, 0
	ds_read_b64 v[54:55], v54 offset:16
	s_waitcnt lgkmcnt(0)
	v_mul_f64 v[50:51], v[50:51], v[54:55]
	buffer_store_dword v51, off, s[0:3], 0 offset:20
	buffer_store_dword v50, off, s[0:3], 0 offset:16
.LBB87_242:
	s_or_b64 exec, exec, s[8:9]
	buffer_load_dword v50, off, s[0:3], 0 offset:24
	buffer_load_dword v51, off, s[0:3], 0 offset:28
	v_cmp_gt_u32_e32 vcc, 3, v0
	s_waitcnt vmcnt(0)
	ds_write_b64 v52, v[50:51]
	s_waitcnt lgkmcnt(0)
	; wave barrier
	s_waitcnt lgkmcnt(0)
	s_and_saveexec_b64 s[8:9], vcc
	s_cbranch_execz .LBB87_250
; %bb.243:
	s_and_b64 vcc, exec, s[4:5]
	s_cbranch_vccnz .LBB87_245
; %bb.244:
	buffer_load_dword v50, v53, s[0:3], 0 offen
	buffer_load_dword v51, v53, s[0:3], 0 offen offset:4
	ds_read_b64 v[54:55], v52
	s_waitcnt vmcnt(0) lgkmcnt(0)
	v_mul_f64 v[50:51], v[50:51], v[54:55]
	s_cbranch_execz .LBB87_246
	s_branch .LBB87_247
.LBB87_245:
                                        ; implicit-def: $vgpr50_vgpr51
.LBB87_246:
	ds_read_b64 v[50:51], v52
.LBB87_247:
	v_cmp_ne_u32_e32 vcc, 2, v0
	s_and_saveexec_b64 s[10:11], vcc
	s_cbranch_execz .LBB87_249
; %bb.248:
	buffer_load_dword v55, v53, s[0:3], 0 offen offset:12
	buffer_load_dword v56, off, s[0:3], 0 offset:16
	buffer_load_dword v54, v53, s[0:3], 0 offen offset:8
	buffer_load_dword v57, off, s[0:3], 0 offset:20
	v_mov_b32_e32 v60, 0
	ds_read_b64 v[58:59], v52 offset:8
	ds_read_b64 v[60:61], v60 offset:208
	s_waitcnt vmcnt(1) lgkmcnt(1)
	v_fmac_f64_e32 v[50:51], v[54:55], v[58:59]
	s_waitcnt vmcnt(0) lgkmcnt(0)
	v_fma_f64 v[54:55], v[56:57], v[60:61], v[50:51]
	v_cndmask_b32_e64 v51, v51, v55, s[6:7]
	v_cndmask_b32_e64 v50, v50, v54, s[6:7]
.LBB87_249:
	s_or_b64 exec, exec, s[10:11]
	v_mov_b32_e32 v54, 0
	ds_read_b64 v[54:55], v54 offset:24
	s_waitcnt lgkmcnt(0)
	v_mul_f64 v[50:51], v[50:51], v[54:55]
	buffer_store_dword v51, off, s[0:3], 0 offset:28
	buffer_store_dword v50, off, s[0:3], 0 offset:24
.LBB87_250:
	s_or_b64 exec, exec, s[8:9]
	buffer_load_dword v50, off, s[0:3], 0 offset:32
	buffer_load_dword v51, off, s[0:3], 0 offset:36
	v_cmp_gt_u32_e32 vcc, 4, v0
	s_waitcnt vmcnt(0)
	ds_write_b64 v52, v[50:51]
	s_waitcnt lgkmcnt(0)
	; wave barrier
	s_waitcnt lgkmcnt(0)
	s_and_saveexec_b64 s[6:7], vcc
	s_cbranch_execz .LBB87_260
; %bb.251:
	s_and_b64 vcc, exec, s[4:5]
	s_cbranch_vccnz .LBB87_253
; %bb.252:
	buffer_load_dword v50, v53, s[0:3], 0 offen
	buffer_load_dword v51, v53, s[0:3], 0 offen offset:4
	ds_read_b64 v[54:55], v52
	s_waitcnt vmcnt(0) lgkmcnt(0)
	v_mul_f64 v[50:51], v[50:51], v[54:55]
	s_cbranch_execz .LBB87_254
	s_branch .LBB87_255
.LBB87_253:
                                        ; implicit-def: $vgpr50_vgpr51
.LBB87_254:
	ds_read_b64 v[50:51], v52
.LBB87_255:
	v_cmp_ne_u32_e32 vcc, 3, v0
	s_and_saveexec_b64 s[8:9], vcc
	s_cbranch_execz .LBB87_259
; %bb.256:
	v_mov_b32_e32 v55, 0
	v_add_u32_e32 v54, 0xc8, v1
	v_add3_u32 v55, v1, v55, 8
	s_mov_b64 s[10:11], 0
	v_mov_b32_e32 v56, v0
.LBB87_257:                             ; =>This Inner Loop Header: Depth=1
	buffer_load_dword v58, v55, s[0:3], 0 offen
	buffer_load_dword v59, v55, s[0:3], 0 offen offset:4
	ds_read_b64 v[60:61], v54
	v_add_u32_e32 v56, 1, v56
	v_cmp_lt_u32_e32 vcc, 2, v56
	v_add_u32_e32 v54, 8, v54
	v_add_u32_e32 v55, 8, v55
	s_or_b64 s[10:11], vcc, s[10:11]
	s_waitcnt vmcnt(0) lgkmcnt(0)
	v_fmac_f64_e32 v[50:51], v[58:59], v[60:61]
	s_andn2_b64 exec, exec, s[10:11]
	s_cbranch_execnz .LBB87_257
; %bb.258:
	s_or_b64 exec, exec, s[10:11]
.LBB87_259:
	s_or_b64 exec, exec, s[8:9]
	v_mov_b32_e32 v54, 0
	ds_read_b64 v[54:55], v54 offset:32
	s_waitcnt lgkmcnt(0)
	v_mul_f64 v[50:51], v[50:51], v[54:55]
	buffer_store_dword v51, off, s[0:3], 0 offset:36
	buffer_store_dword v50, off, s[0:3], 0 offset:32
.LBB87_260:
	s_or_b64 exec, exec, s[6:7]
	buffer_load_dword v50, off, s[0:3], 0 offset:40
	buffer_load_dword v51, off, s[0:3], 0 offset:44
	v_cmp_gt_u32_e32 vcc, 5, v0
	s_waitcnt vmcnt(0)
	ds_write_b64 v52, v[50:51]
	s_waitcnt lgkmcnt(0)
	; wave barrier
	s_waitcnt lgkmcnt(0)
	s_and_saveexec_b64 s[6:7], vcc
	s_cbranch_execz .LBB87_270
; %bb.261:
	s_and_b64 vcc, exec, s[4:5]
	s_cbranch_vccnz .LBB87_263
; %bb.262:
	buffer_load_dword v50, v53, s[0:3], 0 offen
	buffer_load_dword v51, v53, s[0:3], 0 offen offset:4
	ds_read_b64 v[54:55], v52
	s_waitcnt vmcnt(0) lgkmcnt(0)
	v_mul_f64 v[50:51], v[50:51], v[54:55]
	s_cbranch_execz .LBB87_264
	s_branch .LBB87_265
.LBB87_263:
                                        ; implicit-def: $vgpr50_vgpr51
.LBB87_264:
	ds_read_b64 v[50:51], v52
.LBB87_265:
	v_cmp_ne_u32_e32 vcc, 4, v0
	s_and_saveexec_b64 s[8:9], vcc
	s_cbranch_execz .LBB87_269
; %bb.266:
	v_mov_b32_e32 v55, 0
	v_add_u32_e32 v54, 0xc8, v1
	v_add3_u32 v55, v1, v55, 8
	s_mov_b64 s[10:11], 0
	v_mov_b32_e32 v56, v0
.LBB87_267:                             ; =>This Inner Loop Header: Depth=1
	buffer_load_dword v58, v55, s[0:3], 0 offen
	buffer_load_dword v59, v55, s[0:3], 0 offen offset:4
	ds_read_b64 v[60:61], v54
	v_add_u32_e32 v56, 1, v56
	v_cmp_lt_u32_e32 vcc, 3, v56
	v_add_u32_e32 v54, 8, v54
	v_add_u32_e32 v55, 8, v55
	s_or_b64 s[10:11], vcc, s[10:11]
	s_waitcnt vmcnt(0) lgkmcnt(0)
	v_fmac_f64_e32 v[50:51], v[58:59], v[60:61]
	s_andn2_b64 exec, exec, s[10:11]
	s_cbranch_execnz .LBB87_267
; %bb.268:
	s_or_b64 exec, exec, s[10:11]
.LBB87_269:
	s_or_b64 exec, exec, s[8:9]
	v_mov_b32_e32 v54, 0
	ds_read_b64 v[54:55], v54 offset:40
	s_waitcnt lgkmcnt(0)
	v_mul_f64 v[50:51], v[50:51], v[54:55]
	buffer_store_dword v51, off, s[0:3], 0 offset:44
	buffer_store_dword v50, off, s[0:3], 0 offset:40
.LBB87_270:
	;; [unrolled: 60-line block ×18, first 2 shown]
	s_or_b64 exec, exec, s[6:7]
	buffer_load_dword v50, off, s[0:3], 0 offset:176
	buffer_load_dword v51, off, s[0:3], 0 offset:180
	v_cmp_gt_u32_e64 s[6:7], 22, v0
	s_waitcnt vmcnt(0)
	ds_write_b64 v52, v[50:51]
	s_waitcnt lgkmcnt(0)
	; wave barrier
	s_waitcnt lgkmcnt(0)
	s_and_saveexec_b64 s[8:9], s[6:7]
	s_cbranch_execz .LBB87_440
; %bb.431:
	s_and_b64 vcc, exec, s[4:5]
	s_cbranch_vccnz .LBB87_433
; %bb.432:
	buffer_load_dword v50, v53, s[0:3], 0 offen
	buffer_load_dword v51, v53, s[0:3], 0 offen offset:4
	ds_read_b64 v[54:55], v52
	s_waitcnt vmcnt(0) lgkmcnt(0)
	v_mul_f64 v[50:51], v[50:51], v[54:55]
	s_cbranch_execz .LBB87_434
	s_branch .LBB87_435
.LBB87_433:
                                        ; implicit-def: $vgpr50_vgpr51
.LBB87_434:
	ds_read_b64 v[50:51], v52
.LBB87_435:
	v_cmp_ne_u32_e32 vcc, 21, v0
	s_and_saveexec_b64 s[10:11], vcc
	s_cbranch_execz .LBB87_439
; %bb.436:
	v_mov_b32_e32 v55, 0
	v_add_u32_e32 v54, 0xc8, v1
	v_add3_u32 v55, v1, v55, 8
	s_mov_b64 s[12:13], 0
	v_mov_b32_e32 v56, v0
.LBB87_437:                             ; =>This Inner Loop Header: Depth=1
	buffer_load_dword v58, v55, s[0:3], 0 offen
	buffer_load_dword v59, v55, s[0:3], 0 offen offset:4
	ds_read_b64 v[60:61], v54
	v_add_u32_e32 v56, 1, v56
	v_cmp_lt_u32_e32 vcc, 20, v56
	v_add_u32_e32 v54, 8, v54
	v_add_u32_e32 v55, 8, v55
	s_or_b64 s[12:13], vcc, s[12:13]
	s_waitcnt vmcnt(0) lgkmcnt(0)
	v_fmac_f64_e32 v[50:51], v[58:59], v[60:61]
	s_andn2_b64 exec, exec, s[12:13]
	s_cbranch_execnz .LBB87_437
; %bb.438:
	s_or_b64 exec, exec, s[12:13]
.LBB87_439:
	s_or_b64 exec, exec, s[10:11]
	v_mov_b32_e32 v54, 0
	ds_read_b64 v[54:55], v54 offset:176
	s_waitcnt lgkmcnt(0)
	v_mul_f64 v[50:51], v[50:51], v[54:55]
	buffer_store_dword v51, off, s[0:3], 0 offset:180
	buffer_store_dword v50, off, s[0:3], 0 offset:176
.LBB87_440:
	s_or_b64 exec, exec, s[8:9]
	buffer_load_dword v50, off, s[0:3], 0 offset:184
	buffer_load_dword v51, off, s[0:3], 0 offset:188
	v_cmp_ne_u32_e32 vcc, 23, v0
	s_waitcnt vmcnt(0)
	ds_write_b64 v52, v[50:51]
	s_waitcnt lgkmcnt(0)
	; wave barrier
	s_waitcnt lgkmcnt(0)
	s_and_saveexec_b64 s[8:9], vcc
	s_cbranch_execz .LBB87_450
; %bb.441:
	s_and_b64 vcc, exec, s[4:5]
	s_cbranch_vccnz .LBB87_443
; %bb.442:
	buffer_load_dword v50, v53, s[0:3], 0 offen
	buffer_load_dword v51, v53, s[0:3], 0 offen offset:4
	ds_read_b64 v[54:55], v52
	s_waitcnt vmcnt(0) lgkmcnt(0)
	v_mul_f64 v[50:51], v[50:51], v[54:55]
	s_cbranch_execz .LBB87_444
	s_branch .LBB87_445
.LBB87_443:
                                        ; implicit-def: $vgpr50_vgpr51
.LBB87_444:
	ds_read_b64 v[50:51], v52
.LBB87_445:
	s_and_saveexec_b64 s[4:5], s[6:7]
	s_cbranch_execz .LBB87_449
; %bb.446:
	v_mov_b32_e32 v53, 0
	v_add_u32_e32 v52, 0xc8, v1
	v_add3_u32 v1, v1, v53, 8
	s_mov_b64 s[6:7], 0
.LBB87_447:                             ; =>This Inner Loop Header: Depth=1
	buffer_load_dword v54, v1, s[0:3], 0 offen
	buffer_load_dword v55, v1, s[0:3], 0 offen offset:4
	ds_read_b64 v[56:57], v52
	v_add_u32_e32 v0, 1, v0
	v_cmp_lt_u32_e32 vcc, 21, v0
	v_add_u32_e32 v52, 8, v52
	v_add_u32_e32 v1, 8, v1
	s_or_b64 s[6:7], vcc, s[6:7]
	s_waitcnt vmcnt(0) lgkmcnt(0)
	v_fmac_f64_e32 v[50:51], v[54:55], v[56:57]
	s_andn2_b64 exec, exec, s[6:7]
	s_cbranch_execnz .LBB87_447
; %bb.448:
	s_or_b64 exec, exec, s[6:7]
.LBB87_449:
	s_or_b64 exec, exec, s[4:5]
	v_mov_b32_e32 v0, 0
	ds_read_b64 v[0:1], v0 offset:184
	s_waitcnt lgkmcnt(0)
	v_mul_f64 v[0:1], v[50:51], v[0:1]
	buffer_store_dword v1, off, s[0:3], 0 offset:188
	buffer_store_dword v0, off, s[0:3], 0 offset:184
.LBB87_450:
	s_or_b64 exec, exec, s[8:9]
.LBB87_451:
	buffer_load_dword v0, off, s[0:3], 0
	buffer_load_dword v1, off, s[0:3], 0 offset:4
	buffer_load_dword v50, off, s[0:3], 0 offset:8
	;; [unrolled: 1-line block ×47, first 2 shown]
	s_waitcnt vmcnt(46)
	global_store_dwordx2 v[2:3], v[0:1], off
	s_waitcnt vmcnt(45)
	global_store_dwordx2 v[4:5], v[50:51], off
	;; [unrolled: 2-line block ×9, first 2 shown]
	global_store_dwordx2 v[20:21], v[64:65], off
	global_store_dwordx2 v[22:23], v[66:67], off
	;; [unrolled: 1-line block ×3, first 2 shown]
	s_waitcnt vmcnt(34)
	global_store_dwordx2 v[26:27], v[72:73], off
	s_waitcnt vmcnt(33)
	global_store_dwordx2 v[28:29], v[74:75], off
	;; [unrolled: 2-line block ×12, first 2 shown]
.LBB87_452:
	s_endpgm
	.section	.rodata,"a",@progbits
	.p2align	6, 0x0
	.amdhsa_kernel _ZN9rocsolver6v33100L18trti2_kernel_smallILi24EdPKPdEEv13rocblas_fill_17rocblas_diagonal_T1_iil
		.amdhsa_group_segment_fixed_size 384
		.amdhsa_private_segment_fixed_size 208
		.amdhsa_kernarg_size 32
		.amdhsa_user_sgpr_count 8
		.amdhsa_user_sgpr_private_segment_buffer 1
		.amdhsa_user_sgpr_dispatch_ptr 0
		.amdhsa_user_sgpr_queue_ptr 0
		.amdhsa_user_sgpr_kernarg_segment_ptr 1
		.amdhsa_user_sgpr_dispatch_id 0
		.amdhsa_user_sgpr_flat_scratch_init 1
		.amdhsa_user_sgpr_kernarg_preload_length 0
		.amdhsa_user_sgpr_kernarg_preload_offset 0
		.amdhsa_user_sgpr_private_segment_size 0
		.amdhsa_uses_dynamic_stack 0
		.amdhsa_system_sgpr_private_segment_wavefront_offset 1
		.amdhsa_system_sgpr_workgroup_id_x 1
		.amdhsa_system_sgpr_workgroup_id_y 0
		.amdhsa_system_sgpr_workgroup_id_z 0
		.amdhsa_system_sgpr_workgroup_info 0
		.amdhsa_system_vgpr_workitem_id 0
		.amdhsa_next_free_vgpr 96
		.amdhsa_next_free_sgpr 16
		.amdhsa_accum_offset 96
		.amdhsa_reserve_vcc 1
		.amdhsa_reserve_flat_scratch 0
		.amdhsa_float_round_mode_32 0
		.amdhsa_float_round_mode_16_64 0
		.amdhsa_float_denorm_mode_32 3
		.amdhsa_float_denorm_mode_16_64 3
		.amdhsa_dx10_clamp 1
		.amdhsa_ieee_mode 1
		.amdhsa_fp16_overflow 0
		.amdhsa_tg_split 0
		.amdhsa_exception_fp_ieee_invalid_op 0
		.amdhsa_exception_fp_denorm_src 0
		.amdhsa_exception_fp_ieee_div_zero 0
		.amdhsa_exception_fp_ieee_overflow 0
		.amdhsa_exception_fp_ieee_underflow 0
		.amdhsa_exception_fp_ieee_inexact 0
		.amdhsa_exception_int_div_zero 0
	.end_amdhsa_kernel
	.section	.text._ZN9rocsolver6v33100L18trti2_kernel_smallILi24EdPKPdEEv13rocblas_fill_17rocblas_diagonal_T1_iil,"axG",@progbits,_ZN9rocsolver6v33100L18trti2_kernel_smallILi24EdPKPdEEv13rocblas_fill_17rocblas_diagonal_T1_iil,comdat
.Lfunc_end87:
	.size	_ZN9rocsolver6v33100L18trti2_kernel_smallILi24EdPKPdEEv13rocblas_fill_17rocblas_diagonal_T1_iil, .Lfunc_end87-_ZN9rocsolver6v33100L18trti2_kernel_smallILi24EdPKPdEEv13rocblas_fill_17rocblas_diagonal_T1_iil
                                        ; -- End function
	.section	.AMDGPU.csdata,"",@progbits
; Kernel info:
; codeLenInByte = 13796
; NumSgprs: 20
; NumVgprs: 96
; NumAgprs: 0
; TotalNumVgprs: 96
; ScratchSize: 208
; MemoryBound: 0
; FloatMode: 240
; IeeeMode: 1
; LDSByteSize: 384 bytes/workgroup (compile time only)
; SGPRBlocks: 2
; VGPRBlocks: 11
; NumSGPRsForWavesPerEU: 20
; NumVGPRsForWavesPerEU: 96
; AccumOffset: 96
; Occupancy: 5
; WaveLimiterHint : 1
; COMPUTE_PGM_RSRC2:SCRATCH_EN: 1
; COMPUTE_PGM_RSRC2:USER_SGPR: 8
; COMPUTE_PGM_RSRC2:TRAP_HANDLER: 0
; COMPUTE_PGM_RSRC2:TGID_X_EN: 1
; COMPUTE_PGM_RSRC2:TGID_Y_EN: 0
; COMPUTE_PGM_RSRC2:TGID_Z_EN: 0
; COMPUTE_PGM_RSRC2:TIDIG_COMP_CNT: 0
; COMPUTE_PGM_RSRC3_GFX90A:ACCUM_OFFSET: 23
; COMPUTE_PGM_RSRC3_GFX90A:TG_SPLIT: 0
	.section	.text._ZN9rocsolver6v33100L18trti2_kernel_smallILi25EdPKPdEEv13rocblas_fill_17rocblas_diagonal_T1_iil,"axG",@progbits,_ZN9rocsolver6v33100L18trti2_kernel_smallILi25EdPKPdEEv13rocblas_fill_17rocblas_diagonal_T1_iil,comdat
	.globl	_ZN9rocsolver6v33100L18trti2_kernel_smallILi25EdPKPdEEv13rocblas_fill_17rocblas_diagonal_T1_iil ; -- Begin function _ZN9rocsolver6v33100L18trti2_kernel_smallILi25EdPKPdEEv13rocblas_fill_17rocblas_diagonal_T1_iil
	.p2align	8
	.type	_ZN9rocsolver6v33100L18trti2_kernel_smallILi25EdPKPdEEv13rocblas_fill_17rocblas_diagonal_T1_iil,@function
_ZN9rocsolver6v33100L18trti2_kernel_smallILi25EdPKPdEEv13rocblas_fill_17rocblas_diagonal_T1_iil: ; @_ZN9rocsolver6v33100L18trti2_kernel_smallILi25EdPKPdEEv13rocblas_fill_17rocblas_diagonal_T1_iil
; %bb.0:
	s_add_u32 s0, s0, s9
	s_addc_u32 s1, s1, 0
	v_cmp_gt_u32_e32 vcc, 25, v0
	s_and_saveexec_b64 s[6:7], vcc
	s_cbranch_execz .LBB88_472
; %bb.1:
	s_load_dwordx2 s[6:7], s[4:5], 0x10
	s_load_dwordx4 s[12:15], s[4:5], 0x0
	s_ashr_i32 s9, s8, 31
	s_lshl_b64 s[4:5], s[8:9], 3
	v_lshlrev_b32_e32 v1, 3, v0
	s_waitcnt lgkmcnt(0)
	s_ashr_i32 s9, s6, 31
	s_add_u32 s4, s14, s4
	s_addc_u32 s5, s15, s5
	s_load_dwordx2 s[4:5], s[4:5], 0x0
	s_mov_b32 s8, s6
	s_lshl_b64 s[8:9], s[8:9], 3
	s_waitcnt lgkmcnt(0)
	s_add_u32 s4, s4, s8
	s_addc_u32 s5, s5, s9
	v_mov_b32_e32 v3, s5
	v_add_co_u32_e32 v2, vcc, s4, v1
	s_ashr_i32 s9, s7, 31
	s_mov_b32 s8, s7
	s_add_i32 s6, s7, s7
	v_addc_co_u32_e32 v3, vcc, 0, v3, vcc
	s_lshl_b64 s[8:9], s[8:9], 3
	v_add_u32_e32 v8, s6, v0
	v_mov_b32_e32 v5, s9
	v_add_co_u32_e32 v4, vcc, s8, v2
	v_ashrrev_i32_e32 v9, 31, v8
	v_addc_co_u32_e32 v5, vcc, v3, v5, vcc
	v_lshlrev_b64 v[6:7], 3, v[8:9]
	v_add_u32_e32 v10, s7, v8
	v_mov_b32_e32 v9, s5
	v_add_co_u32_e32 v6, vcc, s4, v6
	v_ashrrev_i32_e32 v11, 31, v10
	v_addc_co_u32_e32 v7, vcc, v9, v7, vcc
	v_lshlrev_b64 v[8:9], 3, v[10:11]
	;; [unrolled: 6-line block ×21, first 2 shown]
	v_add_u32_e32 v50, s7, v48
	v_mov_b32_e32 v49, s5
	v_add_co_u32_e32 v46, vcc, s4, v46
	v_ashrrev_i32_e32 v51, 31, v50
	global_load_dwordx2 v[52:53], v1, s[4:5]
	global_load_dwordx2 v[60:61], v[4:5], off
	global_load_dwordx2 v[56:57], v[6:7], off
	;; [unrolled: 1-line block ×20, first 2 shown]
	v_addc_co_u32_e32 v47, vcc, v49, v47, vcc
	v_lshlrev_b64 v[48:49], 3, v[50:51]
	v_mov_b32_e32 v51, s5
	v_add_co_u32_e32 v48, vcc, s4, v48
	v_add_u32_e32 v50, s7, v50
	v_addc_co_u32_e32 v49, vcc, v51, v49, vcc
	v_ashrrev_i32_e32 v51, 31, v50
	global_load_dwordx2 v[94:95], v[44:45], off
	global_load_dwordx2 v[96:97], v[46:47], off
	;; [unrolled: 1-line block ×3, first 2 shown]
	v_lshlrev_b64 v[50:51], 3, v[50:51]
	v_mov_b32_e32 v100, s5
	v_add_co_u32_e32 v50, vcc, s4, v50
	v_addc_co_u32_e32 v51, vcc, v100, v51, vcc
	global_load_dwordx2 v[100:101], v[50:51], off
	s_waitcnt vmcnt(24)
	buffer_store_dword v53, off, s[0:3], 0 offset:4
	buffer_store_dword v52, off, s[0:3], 0
	s_waitcnt vmcnt(25)
	buffer_store_dword v61, off, s[0:3], 0 offset:12
	buffer_store_dword v60, off, s[0:3], 0 offset:8
	s_waitcnt vmcnt(26)
	buffer_store_dword v57, off, s[0:3], 0 offset:20
	buffer_store_dword v56, off, s[0:3], 0 offset:16
	;; [unrolled: 3-line block ×21, first 2 shown]
	s_cmpk_lg_i32 s13, 0x84
	v_mov_b32_e32 v52, 0
	v_mov_b32_e32 v77, 0
	s_cselect_b64 s[8:9], -1, 0
	s_cmpk_eq_i32 s13, 0x84
	v_mov_b32_e32 v53, 0xbff00000
	s_waitcnt vmcnt(46)
	buffer_store_dword v96, off, s[0:3], 0 offset:176
	buffer_store_dword v97, off, s[0:3], 0 offset:180
	s_waitcnt vmcnt(47)
	buffer_store_dword v98, off, s[0:3], 0 offset:184
	buffer_store_dword v99, off, s[0:3], 0 offset:188
	;; [unrolled: 3-line block ×3, first 2 shown]
	s_cbranch_scc1 .LBB88_3
; %bb.2:
	v_lshl_add_u32 v62, v0, 3, v77
	buffer_load_dword v52, v62, s[0:3], 0 offen
	buffer_load_dword v53, v62, s[0:3], 0 offen offset:4
	s_waitcnt vmcnt(0)
	v_div_scale_f64 v[54:55], s[4:5], v[52:53], v[52:53], 1.0
	v_rcp_f64_e32 v[56:57], v[54:55]
	v_div_scale_f64 v[58:59], vcc, 1.0, v[52:53], 1.0
	v_fma_f64 v[60:61], -v[54:55], v[56:57], 1.0
	v_fmac_f64_e32 v[56:57], v[56:57], v[60:61]
	v_fma_f64 v[60:61], -v[54:55], v[56:57], 1.0
	v_fmac_f64_e32 v[56:57], v[56:57], v[60:61]
	v_mul_f64 v[60:61], v[58:59], v[56:57]
	v_fma_f64 v[54:55], -v[54:55], v[60:61], v[58:59]
	v_div_fmas_f64 v[54:55], v[54:55], v[56:57], v[60:61]
	v_div_fixup_f64 v[52:53], v[54:55], v[52:53], 1.0
	buffer_store_dword v52, v62, s[0:3], 0 offen
	buffer_store_dword v53, v62, s[0:3], 0 offen offset:4
	v_xor_b32_e32 v53, 0x80000000, v53
.LBB88_3:
	s_cmpk_eq_i32 s12, 0x79
	v_add_u32_e32 v54, 0xd0, v1
	v_add_u32_e32 v55, 0, v1
	s_mov_b64 s[4:5], -1
	ds_write_b64 v1, v[52:53]
	s_cbranch_scc1 .LBB88_237
; %bb.4:
	buffer_load_dword v52, off, s[0:3], 0 offset:184
	buffer_load_dword v53, off, s[0:3], 0 offset:188
	v_cmp_eq_u32_e64 s[4:5], 24, v0
	s_waitcnt vmcnt(0)
	ds_write_b64 v54, v[52:53]
	s_waitcnt lgkmcnt(0)
	; wave barrier
	s_waitcnt lgkmcnt(0)
	s_and_saveexec_b64 s[6:7], s[4:5]
	s_cbranch_execz .LBB88_10
; %bb.5:
	s_and_b64 vcc, exec, s[8:9]
	s_cbranch_vccz .LBB88_7
; %bb.6:
	buffer_load_dword v52, v55, s[0:3], 0 offen
	buffer_load_dword v53, v55, s[0:3], 0 offen offset:4
	ds_read_b64 v[56:57], v54
	s_waitcnt vmcnt(0) lgkmcnt(0)
	v_mul_f64 v[52:53], v[52:53], v[56:57]
	s_cbranch_execz .LBB88_8
	s_branch .LBB88_9
.LBB88_7:
                                        ; implicit-def: $vgpr52_vgpr53
.LBB88_8:
	ds_read_b64 v[52:53], v54
.LBB88_9:
	v_mov_b32_e32 v56, 0
	ds_read_b64 v[56:57], v56 offset:184
	s_waitcnt lgkmcnt(0)
	v_mul_f64 v[52:53], v[52:53], v[56:57]
	buffer_store_dword v53, off, s[0:3], 0 offset:188
	buffer_store_dword v52, off, s[0:3], 0 offset:184
.LBB88_10:
	s_or_b64 exec, exec, s[6:7]
	buffer_load_dword v52, off, s[0:3], 0 offset:176
	buffer_load_dword v53, off, s[0:3], 0 offset:180
	v_or_b32_e32 v56, 8, v77
	v_add_u32_e32 v57, 16, v77
	v_add_u32_e32 v58, 24, v77
	;; [unrolled: 1-line block ×21, first 2 shown]
	v_cmp_lt_u32_e64 s[6:7], 22, v0
	s_waitcnt vmcnt(0)
	ds_write_b64 v54, v[52:53]
	s_waitcnt lgkmcnt(0)
	; wave barrier
	s_waitcnt lgkmcnt(0)
	s_and_saveexec_b64 s[10:11], s[6:7]
	s_cbranch_execz .LBB88_16
; %bb.11:
	s_andn2_b64 vcc, exec, s[8:9]
	s_cbranch_vccnz .LBB88_13
; %bb.12:
	buffer_load_dword v52, v55, s[0:3], 0 offen
	buffer_load_dword v53, v55, s[0:3], 0 offen offset:4
	ds_read_b64 v[78:79], v54
	s_waitcnt vmcnt(0) lgkmcnt(0)
	v_mul_f64 v[52:53], v[52:53], v[78:79]
	s_cbranch_execz .LBB88_14
	s_branch .LBB88_15
.LBB88_13:
                                        ; implicit-def: $vgpr52_vgpr53
.LBB88_14:
	ds_read_b64 v[52:53], v54
.LBB88_15:
	buffer_load_dword v82, off, s[0:3], 0 offset:184
	buffer_load_dword v83, off, s[0:3], 0 offset:188
	v_mov_b32_e32 v78, 0
	ds_read2_b64 v[78:81], v78 offset0:22 offset1:49
	s_waitcnt vmcnt(0) lgkmcnt(0)
	v_fma_f64 v[80:81], v[82:83], v[80:81], v[52:53]
	v_cndmask_b32_e64 v53, v53, v81, s[4:5]
	v_cndmask_b32_e64 v52, v52, v80, s[4:5]
	v_mul_f64 v[52:53], v[52:53], v[78:79]
	buffer_store_dword v53, off, s[0:3], 0 offset:180
	buffer_store_dword v52, off, s[0:3], 0 offset:176
.LBB88_16:
	s_or_b64 exec, exec, s[10:11]
	buffer_load_dword v52, off, s[0:3], 0 offset:168
	buffer_load_dword v53, off, s[0:3], 0 offset:172
	v_cmp_lt_u32_e64 s[4:5], 21, v0
	s_waitcnt vmcnt(0)
	ds_write_b64 v54, v[52:53]
	s_waitcnt lgkmcnt(0)
	; wave barrier
	s_waitcnt lgkmcnt(0)
	s_and_saveexec_b64 s[10:11], s[4:5]
	s_cbranch_execz .LBB88_26
; %bb.17:
	s_andn2_b64 vcc, exec, s[8:9]
	s_cbranch_vccnz .LBB88_19
; %bb.18:
	buffer_load_dword v52, v55, s[0:3], 0 offen
	buffer_load_dword v53, v55, s[0:3], 0 offen offset:4
	ds_read_b64 v[78:79], v54
	s_waitcnt vmcnt(0) lgkmcnt(0)
	v_mul_f64 v[52:53], v[52:53], v[78:79]
	s_cbranch_execz .LBB88_20
	s_branch .LBB88_21
.LBB88_19:
                                        ; implicit-def: $vgpr52_vgpr53
.LBB88_20:
	ds_read_b64 v[52:53], v54
.LBB88_21:
	s_and_saveexec_b64 s[12:13], s[6:7]
	s_cbranch_execz .LBB88_25
; %bb.22:
	v_subrev_u32_e32 v78, 22, v0
	s_movk_i32 s14, 0x180
	s_mov_b64 s[6:7], 0
.LBB88_23:                              ; =>This Inner Loop Header: Depth=1
	buffer_load_dword v80, v77, s[0:3], 0 offen
	buffer_load_dword v81, v77, s[0:3], 0 offen offset:4
	v_mov_b32_e32 v79, s14
	ds_read_b64 v[82:83], v79
	v_add_u32_e32 v78, -1, v78
	s_add_i32 s14, s14, 8
	v_cmp_eq_u32_e32 vcc, 0, v78
	v_add_u32_e32 v77, 8, v77
	s_or_b64 s[6:7], vcc, s[6:7]
	s_waitcnt vmcnt(0) lgkmcnt(0)
	v_fmac_f64_e32 v[52:53], v[80:81], v[82:83]
	s_andn2_b64 exec, exec, s[6:7]
	s_cbranch_execnz .LBB88_23
; %bb.24:
	s_or_b64 exec, exec, s[6:7]
.LBB88_25:
	s_or_b64 exec, exec, s[12:13]
	v_mov_b32_e32 v77, 0
	ds_read_b64 v[78:79], v77 offset:168
	s_waitcnt lgkmcnt(0)
	v_mul_f64 v[52:53], v[52:53], v[78:79]
	buffer_store_dword v53, off, s[0:3], 0 offset:172
	buffer_store_dword v52, off, s[0:3], 0 offset:168
.LBB88_26:
	s_or_b64 exec, exec, s[10:11]
	buffer_load_dword v52, off, s[0:3], 0 offset:160
	buffer_load_dword v53, off, s[0:3], 0 offset:164
	v_cmp_lt_u32_e64 s[6:7], 20, v0
	s_waitcnt vmcnt(0)
	ds_write_b64 v54, v[52:53]
	s_waitcnt lgkmcnt(0)
	; wave barrier
	s_waitcnt lgkmcnt(0)
	s_and_saveexec_b64 s[10:11], s[6:7]
	s_cbranch_execz .LBB88_36
; %bb.27:
	s_andn2_b64 vcc, exec, s[8:9]
	s_cbranch_vccnz .LBB88_29
; %bb.28:
	buffer_load_dword v52, v55, s[0:3], 0 offen
	buffer_load_dword v53, v55, s[0:3], 0 offen offset:4
	ds_read_b64 v[78:79], v54
	s_waitcnt vmcnt(0) lgkmcnt(0)
	v_mul_f64 v[52:53], v[52:53], v[78:79]
	s_cbranch_execz .LBB88_30
	s_branch .LBB88_31
.LBB88_29:
                                        ; implicit-def: $vgpr52_vgpr53
.LBB88_30:
	ds_read_b64 v[52:53], v54
.LBB88_31:
	s_and_saveexec_b64 s[12:13], s[4:5]
	s_cbranch_execz .LBB88_35
; %bb.32:
	v_subrev_u32_e32 v77, 21, v0
	s_movk_i32 s14, 0x178
	s_mov_b64 s[4:5], 0
.LBB88_33:                              ; =>This Inner Loop Header: Depth=1
	buffer_load_dword v78, v76, s[0:3], 0 offen
	buffer_load_dword v79, v76, s[0:3], 0 offen offset:4
	v_mov_b32_e32 v80, s14
	ds_read_b64 v[80:81], v80
	v_add_u32_e32 v77, -1, v77
	s_add_i32 s14, s14, 8
	v_cmp_eq_u32_e32 vcc, 0, v77
	v_add_u32_e32 v76, 8, v76
	s_or_b64 s[4:5], vcc, s[4:5]
	s_waitcnt vmcnt(0) lgkmcnt(0)
	v_fmac_f64_e32 v[52:53], v[78:79], v[80:81]
	s_andn2_b64 exec, exec, s[4:5]
	s_cbranch_execnz .LBB88_33
; %bb.34:
	s_or_b64 exec, exec, s[4:5]
.LBB88_35:
	s_or_b64 exec, exec, s[12:13]
	v_mov_b32_e32 v76, 0
	ds_read_b64 v[76:77], v76 offset:160
	s_waitcnt lgkmcnt(0)
	v_mul_f64 v[52:53], v[52:53], v[76:77]
	buffer_store_dword v53, off, s[0:3], 0 offset:164
	buffer_store_dword v52, off, s[0:3], 0 offset:160
.LBB88_36:
	;; [unrolled: 58-line block ×6, first 2 shown]
	s_or_b64 exec, exec, s[10:11]
	buffer_load_dword v52, off, s[0:3], 0 offset:120
	buffer_load_dword v53, off, s[0:3], 0 offset:124
	v_cmp_lt_u32_e64 s[4:5], 15, v0
	s_waitcnt vmcnt(0)
	ds_write_b64 v54, v[52:53]
	s_waitcnt lgkmcnt(0)
	; wave barrier
	s_waitcnt lgkmcnt(0)
	s_and_saveexec_b64 s[10:11], s[4:5]
	s_cbranch_execz .LBB88_86
; %bb.77:
	s_andn2_b64 vcc, exec, s[8:9]
	s_cbranch_vccnz .LBB88_79
; %bb.78:
	buffer_load_dword v52, v55, s[0:3], 0 offen
	buffer_load_dword v53, v55, s[0:3], 0 offen offset:4
	ds_read_b64 v[72:73], v54
	s_waitcnt vmcnt(0) lgkmcnt(0)
	v_mul_f64 v[52:53], v[52:53], v[72:73]
	s_cbranch_execz .LBB88_80
	s_branch .LBB88_81
.LBB88_79:
                                        ; implicit-def: $vgpr52_vgpr53
.LBB88_80:
	ds_read_b64 v[52:53], v54
.LBB88_81:
	s_and_saveexec_b64 s[12:13], s[6:7]
	s_cbranch_execz .LBB88_85
; %bb.82:
	v_add_u32_e32 v72, -16, v0
	s_movk_i32 s14, 0x150
	s_mov_b64 s[6:7], 0
.LBB88_83:                              ; =>This Inner Loop Header: Depth=1
	buffer_load_dword v74, v71, s[0:3], 0 offen
	buffer_load_dword v75, v71, s[0:3], 0 offen offset:4
	v_mov_b32_e32 v73, s14
	ds_read_b64 v[76:77], v73
	v_add_u32_e32 v72, -1, v72
	s_add_i32 s14, s14, 8
	v_cmp_eq_u32_e32 vcc, 0, v72
	v_add_u32_e32 v71, 8, v71
	s_or_b64 s[6:7], vcc, s[6:7]
	s_waitcnt vmcnt(0) lgkmcnt(0)
	v_fmac_f64_e32 v[52:53], v[74:75], v[76:77]
	s_andn2_b64 exec, exec, s[6:7]
	s_cbranch_execnz .LBB88_83
; %bb.84:
	s_or_b64 exec, exec, s[6:7]
.LBB88_85:
	s_or_b64 exec, exec, s[12:13]
	v_mov_b32_e32 v71, 0
	ds_read_b64 v[72:73], v71 offset:120
	s_waitcnt lgkmcnt(0)
	v_mul_f64 v[52:53], v[52:53], v[72:73]
	buffer_store_dword v53, off, s[0:3], 0 offset:124
	buffer_store_dword v52, off, s[0:3], 0 offset:120
.LBB88_86:
	s_or_b64 exec, exec, s[10:11]
	buffer_load_dword v52, off, s[0:3], 0 offset:112
	buffer_load_dword v53, off, s[0:3], 0 offset:116
	v_cmp_lt_u32_e64 s[6:7], 14, v0
	s_waitcnt vmcnt(0)
	ds_write_b64 v54, v[52:53]
	s_waitcnt lgkmcnt(0)
	; wave barrier
	s_waitcnt lgkmcnt(0)
	s_and_saveexec_b64 s[10:11], s[6:7]
	s_cbranch_execz .LBB88_96
; %bb.87:
	s_andn2_b64 vcc, exec, s[8:9]
	s_cbranch_vccnz .LBB88_89
; %bb.88:
	buffer_load_dword v52, v55, s[0:3], 0 offen
	buffer_load_dword v53, v55, s[0:3], 0 offen offset:4
	ds_read_b64 v[72:73], v54
	s_waitcnt vmcnt(0) lgkmcnt(0)
	v_mul_f64 v[52:53], v[52:53], v[72:73]
	s_cbranch_execz .LBB88_90
	s_branch .LBB88_91
.LBB88_89:
                                        ; implicit-def: $vgpr52_vgpr53
.LBB88_90:
	ds_read_b64 v[52:53], v54
.LBB88_91:
	s_and_saveexec_b64 s[12:13], s[4:5]
	s_cbranch_execz .LBB88_95
; %bb.92:
	v_add_u32_e32 v71, -15, v0
	s_movk_i32 s14, 0x148
	s_mov_b64 s[4:5], 0
.LBB88_93:                              ; =>This Inner Loop Header: Depth=1
	buffer_load_dword v72, v70, s[0:3], 0 offen
	buffer_load_dword v73, v70, s[0:3], 0 offen offset:4
	v_mov_b32_e32 v74, s14
	ds_read_b64 v[74:75], v74
	v_add_u32_e32 v71, -1, v71
	s_add_i32 s14, s14, 8
	v_cmp_eq_u32_e32 vcc, 0, v71
	v_add_u32_e32 v70, 8, v70
	s_or_b64 s[4:5], vcc, s[4:5]
	s_waitcnt vmcnt(0) lgkmcnt(0)
	v_fmac_f64_e32 v[52:53], v[72:73], v[74:75]
	s_andn2_b64 exec, exec, s[4:5]
	s_cbranch_execnz .LBB88_93
; %bb.94:
	s_or_b64 exec, exec, s[4:5]
.LBB88_95:
	s_or_b64 exec, exec, s[12:13]
	v_mov_b32_e32 v70, 0
	ds_read_b64 v[70:71], v70 offset:112
	s_waitcnt lgkmcnt(0)
	v_mul_f64 v[52:53], v[52:53], v[70:71]
	buffer_store_dword v53, off, s[0:3], 0 offset:116
	buffer_store_dword v52, off, s[0:3], 0 offset:112
.LBB88_96:
	s_or_b64 exec, exec, s[10:11]
	buffer_load_dword v52, off, s[0:3], 0 offset:104
	buffer_load_dword v53, off, s[0:3], 0 offset:108
	v_cmp_lt_u32_e64 s[4:5], 13, v0
	s_waitcnt vmcnt(0)
	ds_write_b64 v54, v[52:53]
	s_waitcnt lgkmcnt(0)
	; wave barrier
	s_waitcnt lgkmcnt(0)
	s_and_saveexec_b64 s[10:11], s[4:5]
	s_cbranch_execz .LBB88_106
; %bb.97:
	s_andn2_b64 vcc, exec, s[8:9]
	s_cbranch_vccnz .LBB88_99
; %bb.98:
	buffer_load_dword v52, v55, s[0:3], 0 offen
	buffer_load_dword v53, v55, s[0:3], 0 offen offset:4
	ds_read_b64 v[70:71], v54
	s_waitcnt vmcnt(0) lgkmcnt(0)
	v_mul_f64 v[52:53], v[52:53], v[70:71]
	s_cbranch_execz .LBB88_100
	s_branch .LBB88_101
.LBB88_99:
                                        ; implicit-def: $vgpr52_vgpr53
.LBB88_100:
	ds_read_b64 v[52:53], v54
.LBB88_101:
	s_and_saveexec_b64 s[12:13], s[6:7]
	s_cbranch_execz .LBB88_105
; %bb.102:
	v_add_u32_e32 v70, -14, v0
	s_movk_i32 s14, 0x140
	s_mov_b64 s[6:7], 0
.LBB88_103:                             ; =>This Inner Loop Header: Depth=1
	buffer_load_dword v72, v69, s[0:3], 0 offen
	buffer_load_dword v73, v69, s[0:3], 0 offen offset:4
	v_mov_b32_e32 v71, s14
	ds_read_b64 v[74:75], v71
	v_add_u32_e32 v70, -1, v70
	s_add_i32 s14, s14, 8
	v_cmp_eq_u32_e32 vcc, 0, v70
	v_add_u32_e32 v69, 8, v69
	s_or_b64 s[6:7], vcc, s[6:7]
	s_waitcnt vmcnt(0) lgkmcnt(0)
	v_fmac_f64_e32 v[52:53], v[72:73], v[74:75]
	s_andn2_b64 exec, exec, s[6:7]
	s_cbranch_execnz .LBB88_103
; %bb.104:
	s_or_b64 exec, exec, s[6:7]
.LBB88_105:
	s_or_b64 exec, exec, s[12:13]
	v_mov_b32_e32 v69, 0
	ds_read_b64 v[70:71], v69 offset:104
	s_waitcnt lgkmcnt(0)
	v_mul_f64 v[52:53], v[52:53], v[70:71]
	buffer_store_dword v53, off, s[0:3], 0 offset:108
	buffer_store_dword v52, off, s[0:3], 0 offset:104
.LBB88_106:
	s_or_b64 exec, exec, s[10:11]
	buffer_load_dword v52, off, s[0:3], 0 offset:96
	buffer_load_dword v53, off, s[0:3], 0 offset:100
	v_cmp_lt_u32_e64 s[6:7], 12, v0
	s_waitcnt vmcnt(0)
	ds_write_b64 v54, v[52:53]
	s_waitcnt lgkmcnt(0)
	; wave barrier
	s_waitcnt lgkmcnt(0)
	s_and_saveexec_b64 s[10:11], s[6:7]
	s_cbranch_execz .LBB88_116
; %bb.107:
	s_andn2_b64 vcc, exec, s[8:9]
	s_cbranch_vccnz .LBB88_109
; %bb.108:
	buffer_load_dword v52, v55, s[0:3], 0 offen
	buffer_load_dword v53, v55, s[0:3], 0 offen offset:4
	ds_read_b64 v[70:71], v54
	s_waitcnt vmcnt(0) lgkmcnt(0)
	v_mul_f64 v[52:53], v[52:53], v[70:71]
	s_cbranch_execz .LBB88_110
	s_branch .LBB88_111
.LBB88_109:
                                        ; implicit-def: $vgpr52_vgpr53
.LBB88_110:
	ds_read_b64 v[52:53], v54
.LBB88_111:
	s_and_saveexec_b64 s[12:13], s[4:5]
	s_cbranch_execz .LBB88_115
; %bb.112:
	v_add_u32_e32 v69, -13, v0
	s_movk_i32 s14, 0x138
	s_mov_b64 s[4:5], 0
.LBB88_113:                             ; =>This Inner Loop Header: Depth=1
	buffer_load_dword v70, v68, s[0:3], 0 offen
	buffer_load_dword v71, v68, s[0:3], 0 offen offset:4
	v_mov_b32_e32 v72, s14
	ds_read_b64 v[72:73], v72
	v_add_u32_e32 v69, -1, v69
	s_add_i32 s14, s14, 8
	v_cmp_eq_u32_e32 vcc, 0, v69
	v_add_u32_e32 v68, 8, v68
	s_or_b64 s[4:5], vcc, s[4:5]
	s_waitcnt vmcnt(0) lgkmcnt(0)
	v_fmac_f64_e32 v[52:53], v[70:71], v[72:73]
	s_andn2_b64 exec, exec, s[4:5]
	s_cbranch_execnz .LBB88_113
; %bb.114:
	s_or_b64 exec, exec, s[4:5]
.LBB88_115:
	s_or_b64 exec, exec, s[12:13]
	v_mov_b32_e32 v68, 0
	ds_read_b64 v[68:69], v68 offset:96
	s_waitcnt lgkmcnt(0)
	v_mul_f64 v[52:53], v[52:53], v[68:69]
	buffer_store_dword v53, off, s[0:3], 0 offset:100
	buffer_store_dword v52, off, s[0:3], 0 offset:96
.LBB88_116:
	;; [unrolled: 58-line block ×13, first 2 shown]
	s_or_b64 exec, exec, s[10:11]
	buffer_load_dword v52, off, s[0:3], 0
	buffer_load_dword v53, off, s[0:3], 0 offset:4
	v_cmp_ne_u32_e32 vcc, 0, v0
	s_waitcnt vmcnt(0)
	ds_write_b64 v54, v[52:53]
	s_waitcnt lgkmcnt(0)
	; wave barrier
	s_waitcnt lgkmcnt(0)
	s_and_saveexec_b64 s[6:7], vcc
	s_cbranch_execz .LBB88_236
; %bb.227:
	s_andn2_b64 vcc, exec, s[8:9]
	s_cbranch_vccnz .LBB88_229
; %bb.228:
	buffer_load_dword v52, v55, s[0:3], 0 offen
	buffer_load_dword v53, v55, s[0:3], 0 offen offset:4
	ds_read_b64 v[58:59], v54
	s_waitcnt vmcnt(0) lgkmcnt(0)
	v_mul_f64 v[52:53], v[52:53], v[58:59]
	s_cbranch_execz .LBB88_230
	s_branch .LBB88_231
.LBB88_229:
                                        ; implicit-def: $vgpr52_vgpr53
.LBB88_230:
	ds_read_b64 v[52:53], v54
.LBB88_231:
	s_and_saveexec_b64 s[10:11], s[4:5]
	s_cbranch_execz .LBB88_235
; %bb.232:
	v_add_u32_e32 v57, -1, v0
	s_movk_i32 s12, 0xd8
	s_mov_b64 s[4:5], 0
.LBB88_233:                             ; =>This Inner Loop Header: Depth=1
	buffer_load_dword v58, v56, s[0:3], 0 offen
	buffer_load_dword v59, v56, s[0:3], 0 offen offset:4
	v_mov_b32_e32 v60, s12
	ds_read_b64 v[60:61], v60
	v_add_u32_e32 v57, -1, v57
	s_add_i32 s12, s12, 8
	v_cmp_eq_u32_e32 vcc, 0, v57
	v_add_u32_e32 v56, 8, v56
	s_or_b64 s[4:5], vcc, s[4:5]
	s_waitcnt vmcnt(0) lgkmcnt(0)
	v_fmac_f64_e32 v[52:53], v[58:59], v[60:61]
	s_andn2_b64 exec, exec, s[4:5]
	s_cbranch_execnz .LBB88_233
; %bb.234:
	s_or_b64 exec, exec, s[4:5]
.LBB88_235:
	s_or_b64 exec, exec, s[10:11]
	v_mov_b32_e32 v56, 0
	ds_read_b64 v[56:57], v56
	s_waitcnt lgkmcnt(0)
	v_mul_f64 v[52:53], v[52:53], v[56:57]
	buffer_store_dword v53, off, s[0:3], 0 offset:4
	buffer_store_dword v52, off, s[0:3], 0
.LBB88_236:
	s_or_b64 exec, exec, s[6:7]
	s_mov_b64 s[4:5], 0
.LBB88_237:
	s_and_b64 vcc, exec, s[4:5]
	s_cbranch_vccz .LBB88_471
; %bb.238:
	buffer_load_dword v52, off, s[0:3], 0 offset:8
	buffer_load_dword v53, off, s[0:3], 0 offset:12
	v_cmp_eq_u32_e64 s[6:7], 0, v0
	s_waitcnt vmcnt(0)
	ds_write_b64 v54, v[52:53]
	s_waitcnt lgkmcnt(0)
	; wave barrier
	s_waitcnt lgkmcnt(0)
	s_and_saveexec_b64 s[4:5], s[6:7]
	s_cbranch_execz .LBB88_244
; %bb.239:
	s_and_b64 vcc, exec, s[8:9]
	s_cbranch_vccz .LBB88_241
; %bb.240:
	buffer_load_dword v52, v55, s[0:3], 0 offen
	buffer_load_dword v53, v55, s[0:3], 0 offen offset:4
	ds_read_b64 v[56:57], v54
	s_waitcnt vmcnt(0) lgkmcnt(0)
	v_mul_f64 v[52:53], v[52:53], v[56:57]
	s_cbranch_execz .LBB88_242
	s_branch .LBB88_243
.LBB88_241:
                                        ; implicit-def: $vgpr52_vgpr53
.LBB88_242:
	ds_read_b64 v[52:53], v54
.LBB88_243:
	v_mov_b32_e32 v56, 0
	ds_read_b64 v[56:57], v56 offset:8
	s_waitcnt lgkmcnt(0)
	v_mul_f64 v[52:53], v[52:53], v[56:57]
	buffer_store_dword v53, off, s[0:3], 0 offset:12
	buffer_store_dword v52, off, s[0:3], 0 offset:8
.LBB88_244:
	s_or_b64 exec, exec, s[4:5]
	buffer_load_dword v52, off, s[0:3], 0 offset:16
	buffer_load_dword v53, off, s[0:3], 0 offset:20
	v_cndmask_b32_e64 v56, 0, 1, s[8:9]
	v_cmp_gt_u32_e32 vcc, 2, v0
	v_cmp_ne_u32_e64 s[4:5], 1, v56
	s_waitcnt vmcnt(0)
	ds_write_b64 v54, v[52:53]
	s_waitcnt lgkmcnt(0)
	; wave barrier
	s_waitcnt lgkmcnt(0)
	s_and_saveexec_b64 s[8:9], vcc
	s_cbranch_execz .LBB88_252
; %bb.245:
	s_and_b64 vcc, exec, s[4:5]
	s_cbranch_vccnz .LBB88_247
; %bb.246:
	buffer_load_dword v52, v55, s[0:3], 0 offen
	buffer_load_dword v53, v55, s[0:3], 0 offen offset:4
	ds_read_b64 v[56:57], v54
	s_waitcnt vmcnt(0) lgkmcnt(0)
	v_mul_f64 v[52:53], v[52:53], v[56:57]
	s_cbranch_execz .LBB88_248
	s_branch .LBB88_249
.LBB88_247:
                                        ; implicit-def: $vgpr52_vgpr53
.LBB88_248:
	ds_read_b64 v[52:53], v54
.LBB88_249:
	s_and_saveexec_b64 s[10:11], s[6:7]
	s_cbranch_execz .LBB88_251
; %bb.250:
	buffer_load_dword v56, v55, s[0:3], 0 offen offset:8
	buffer_load_dword v57, v55, s[0:3], 0 offen offset:12
	ds_read_b64 v[58:59], v54 offset:8
	s_waitcnt vmcnt(0) lgkmcnt(0)
	v_fmac_f64_e32 v[52:53], v[56:57], v[58:59]
.LBB88_251:
	s_or_b64 exec, exec, s[10:11]
	v_mov_b32_e32 v56, 0
	ds_read_b64 v[56:57], v56 offset:16
	s_waitcnt lgkmcnt(0)
	v_mul_f64 v[52:53], v[52:53], v[56:57]
	buffer_store_dword v53, off, s[0:3], 0 offset:20
	buffer_store_dword v52, off, s[0:3], 0 offset:16
.LBB88_252:
	s_or_b64 exec, exec, s[8:9]
	buffer_load_dword v52, off, s[0:3], 0 offset:24
	buffer_load_dword v53, off, s[0:3], 0 offset:28
	v_cmp_gt_u32_e32 vcc, 3, v0
	s_waitcnt vmcnt(0)
	ds_write_b64 v54, v[52:53]
	s_waitcnt lgkmcnt(0)
	; wave barrier
	s_waitcnt lgkmcnt(0)
	s_and_saveexec_b64 s[8:9], vcc
	s_cbranch_execz .LBB88_260
; %bb.253:
	s_and_b64 vcc, exec, s[4:5]
	s_cbranch_vccnz .LBB88_255
; %bb.254:
	buffer_load_dword v52, v55, s[0:3], 0 offen
	buffer_load_dword v53, v55, s[0:3], 0 offen offset:4
	ds_read_b64 v[56:57], v54
	s_waitcnt vmcnt(0) lgkmcnt(0)
	v_mul_f64 v[52:53], v[52:53], v[56:57]
	s_cbranch_execz .LBB88_256
	s_branch .LBB88_257
.LBB88_255:
                                        ; implicit-def: $vgpr52_vgpr53
.LBB88_256:
	ds_read_b64 v[52:53], v54
.LBB88_257:
	v_cmp_ne_u32_e32 vcc, 2, v0
	s_and_saveexec_b64 s[10:11], vcc
	s_cbranch_execz .LBB88_259
; %bb.258:
	buffer_load_dword v57, v55, s[0:3], 0 offen offset:12
	buffer_load_dword v58, off, s[0:3], 0 offset:16
	buffer_load_dword v56, v55, s[0:3], 0 offen offset:8
	buffer_load_dword v59, off, s[0:3], 0 offset:20
	v_mov_b32_e32 v62, 0
	ds_read_b64 v[60:61], v54 offset:8
	ds_read_b64 v[62:63], v62 offset:224
	s_waitcnt vmcnt(1) lgkmcnt(1)
	v_fmac_f64_e32 v[52:53], v[56:57], v[60:61]
	s_waitcnt vmcnt(0) lgkmcnt(0)
	v_fma_f64 v[56:57], v[58:59], v[62:63], v[52:53]
	v_cndmask_b32_e64 v53, v53, v57, s[6:7]
	v_cndmask_b32_e64 v52, v52, v56, s[6:7]
.LBB88_259:
	s_or_b64 exec, exec, s[10:11]
	v_mov_b32_e32 v56, 0
	ds_read_b64 v[56:57], v56 offset:24
	s_waitcnt lgkmcnt(0)
	v_mul_f64 v[52:53], v[52:53], v[56:57]
	buffer_store_dword v53, off, s[0:3], 0 offset:28
	buffer_store_dword v52, off, s[0:3], 0 offset:24
.LBB88_260:
	s_or_b64 exec, exec, s[8:9]
	buffer_load_dword v52, off, s[0:3], 0 offset:32
	buffer_load_dword v53, off, s[0:3], 0 offset:36
	v_cmp_gt_u32_e32 vcc, 4, v0
	s_waitcnt vmcnt(0)
	ds_write_b64 v54, v[52:53]
	s_waitcnt lgkmcnt(0)
	; wave barrier
	s_waitcnt lgkmcnt(0)
	s_and_saveexec_b64 s[6:7], vcc
	s_cbranch_execz .LBB88_270
; %bb.261:
	s_and_b64 vcc, exec, s[4:5]
	s_cbranch_vccnz .LBB88_263
; %bb.262:
	buffer_load_dword v52, v55, s[0:3], 0 offen
	buffer_load_dword v53, v55, s[0:3], 0 offen offset:4
	ds_read_b64 v[56:57], v54
	s_waitcnt vmcnt(0) lgkmcnt(0)
	v_mul_f64 v[52:53], v[52:53], v[56:57]
	s_cbranch_execz .LBB88_264
	s_branch .LBB88_265
.LBB88_263:
                                        ; implicit-def: $vgpr52_vgpr53
.LBB88_264:
	ds_read_b64 v[52:53], v54
.LBB88_265:
	v_cmp_ne_u32_e32 vcc, 3, v0
	s_and_saveexec_b64 s[8:9], vcc
	s_cbranch_execz .LBB88_269
; %bb.266:
	v_mov_b32_e32 v57, 0
	v_add_u32_e32 v56, 0xd8, v1
	v_add3_u32 v57, v1, v57, 8
	s_mov_b64 s[10:11], 0
	v_mov_b32_e32 v58, v0
.LBB88_267:                             ; =>This Inner Loop Header: Depth=1
	buffer_load_dword v60, v57, s[0:3], 0 offen
	buffer_load_dword v61, v57, s[0:3], 0 offen offset:4
	ds_read_b64 v[62:63], v56
	v_add_u32_e32 v58, 1, v58
	v_cmp_lt_u32_e32 vcc, 2, v58
	v_add_u32_e32 v56, 8, v56
	v_add_u32_e32 v57, 8, v57
	s_or_b64 s[10:11], vcc, s[10:11]
	s_waitcnt vmcnt(0) lgkmcnt(0)
	v_fmac_f64_e32 v[52:53], v[60:61], v[62:63]
	s_andn2_b64 exec, exec, s[10:11]
	s_cbranch_execnz .LBB88_267
; %bb.268:
	s_or_b64 exec, exec, s[10:11]
.LBB88_269:
	s_or_b64 exec, exec, s[8:9]
	v_mov_b32_e32 v56, 0
	ds_read_b64 v[56:57], v56 offset:32
	s_waitcnt lgkmcnt(0)
	v_mul_f64 v[52:53], v[52:53], v[56:57]
	buffer_store_dword v53, off, s[0:3], 0 offset:36
	buffer_store_dword v52, off, s[0:3], 0 offset:32
.LBB88_270:
	s_or_b64 exec, exec, s[6:7]
	buffer_load_dword v52, off, s[0:3], 0 offset:40
	buffer_load_dword v53, off, s[0:3], 0 offset:44
	v_cmp_gt_u32_e32 vcc, 5, v0
	s_waitcnt vmcnt(0)
	ds_write_b64 v54, v[52:53]
	s_waitcnt lgkmcnt(0)
	; wave barrier
	s_waitcnt lgkmcnt(0)
	s_and_saveexec_b64 s[6:7], vcc
	s_cbranch_execz .LBB88_280
; %bb.271:
	s_and_b64 vcc, exec, s[4:5]
	s_cbranch_vccnz .LBB88_273
; %bb.272:
	buffer_load_dword v52, v55, s[0:3], 0 offen
	buffer_load_dword v53, v55, s[0:3], 0 offen offset:4
	ds_read_b64 v[56:57], v54
	s_waitcnt vmcnt(0) lgkmcnt(0)
	v_mul_f64 v[52:53], v[52:53], v[56:57]
	s_cbranch_execz .LBB88_274
	s_branch .LBB88_275
.LBB88_273:
                                        ; implicit-def: $vgpr52_vgpr53
.LBB88_274:
	ds_read_b64 v[52:53], v54
.LBB88_275:
	v_cmp_ne_u32_e32 vcc, 4, v0
	s_and_saveexec_b64 s[8:9], vcc
	s_cbranch_execz .LBB88_279
; %bb.276:
	v_mov_b32_e32 v57, 0
	v_add_u32_e32 v56, 0xd8, v1
	v_add3_u32 v57, v1, v57, 8
	s_mov_b64 s[10:11], 0
	v_mov_b32_e32 v58, v0
.LBB88_277:                             ; =>This Inner Loop Header: Depth=1
	buffer_load_dword v60, v57, s[0:3], 0 offen
	buffer_load_dword v61, v57, s[0:3], 0 offen offset:4
	ds_read_b64 v[62:63], v56
	v_add_u32_e32 v58, 1, v58
	v_cmp_lt_u32_e32 vcc, 3, v58
	v_add_u32_e32 v56, 8, v56
	v_add_u32_e32 v57, 8, v57
	s_or_b64 s[10:11], vcc, s[10:11]
	s_waitcnt vmcnt(0) lgkmcnt(0)
	v_fmac_f64_e32 v[52:53], v[60:61], v[62:63]
	s_andn2_b64 exec, exec, s[10:11]
	s_cbranch_execnz .LBB88_277
; %bb.278:
	s_or_b64 exec, exec, s[10:11]
.LBB88_279:
	s_or_b64 exec, exec, s[8:9]
	v_mov_b32_e32 v56, 0
	ds_read_b64 v[56:57], v56 offset:40
	s_waitcnt lgkmcnt(0)
	v_mul_f64 v[52:53], v[52:53], v[56:57]
	buffer_store_dword v53, off, s[0:3], 0 offset:44
	buffer_store_dword v52, off, s[0:3], 0 offset:40
.LBB88_280:
	;; [unrolled: 60-line block ×19, first 2 shown]
	s_or_b64 exec, exec, s[6:7]
	buffer_load_dword v52, off, s[0:3], 0 offset:184
	buffer_load_dword v53, off, s[0:3], 0 offset:188
	v_cmp_gt_u32_e64 s[6:7], 23, v0
	s_waitcnt vmcnt(0)
	ds_write_b64 v54, v[52:53]
	s_waitcnt lgkmcnt(0)
	; wave barrier
	s_waitcnt lgkmcnt(0)
	s_and_saveexec_b64 s[8:9], s[6:7]
	s_cbranch_execz .LBB88_460
; %bb.451:
	s_and_b64 vcc, exec, s[4:5]
	s_cbranch_vccnz .LBB88_453
; %bb.452:
	buffer_load_dword v52, v55, s[0:3], 0 offen
	buffer_load_dword v53, v55, s[0:3], 0 offen offset:4
	ds_read_b64 v[56:57], v54
	s_waitcnt vmcnt(0) lgkmcnt(0)
	v_mul_f64 v[52:53], v[52:53], v[56:57]
	s_cbranch_execz .LBB88_454
	s_branch .LBB88_455
.LBB88_453:
                                        ; implicit-def: $vgpr52_vgpr53
.LBB88_454:
	ds_read_b64 v[52:53], v54
.LBB88_455:
	v_cmp_ne_u32_e32 vcc, 22, v0
	s_and_saveexec_b64 s[10:11], vcc
	s_cbranch_execz .LBB88_459
; %bb.456:
	v_mov_b32_e32 v57, 0
	v_add_u32_e32 v56, 0xd8, v1
	v_add3_u32 v57, v1, v57, 8
	s_mov_b64 s[12:13], 0
	v_mov_b32_e32 v58, v0
.LBB88_457:                             ; =>This Inner Loop Header: Depth=1
	buffer_load_dword v60, v57, s[0:3], 0 offen
	buffer_load_dword v61, v57, s[0:3], 0 offen offset:4
	ds_read_b64 v[62:63], v56
	v_add_u32_e32 v58, 1, v58
	v_cmp_lt_u32_e32 vcc, 21, v58
	v_add_u32_e32 v56, 8, v56
	v_add_u32_e32 v57, 8, v57
	s_or_b64 s[12:13], vcc, s[12:13]
	s_waitcnt vmcnt(0) lgkmcnt(0)
	v_fmac_f64_e32 v[52:53], v[60:61], v[62:63]
	s_andn2_b64 exec, exec, s[12:13]
	s_cbranch_execnz .LBB88_457
; %bb.458:
	s_or_b64 exec, exec, s[12:13]
.LBB88_459:
	s_or_b64 exec, exec, s[10:11]
	v_mov_b32_e32 v56, 0
	ds_read_b64 v[56:57], v56 offset:184
	s_waitcnt lgkmcnt(0)
	v_mul_f64 v[52:53], v[52:53], v[56:57]
	buffer_store_dword v53, off, s[0:3], 0 offset:188
	buffer_store_dword v52, off, s[0:3], 0 offset:184
.LBB88_460:
	s_or_b64 exec, exec, s[8:9]
	buffer_load_dword v52, off, s[0:3], 0 offset:192
	buffer_load_dword v53, off, s[0:3], 0 offset:196
	v_cmp_ne_u32_e32 vcc, 24, v0
	s_waitcnt vmcnt(0)
	ds_write_b64 v54, v[52:53]
	s_waitcnt lgkmcnt(0)
	; wave barrier
	s_waitcnt lgkmcnt(0)
	s_and_saveexec_b64 s[8:9], vcc
	s_cbranch_execz .LBB88_470
; %bb.461:
	s_and_b64 vcc, exec, s[4:5]
	s_cbranch_vccnz .LBB88_463
; %bb.462:
	buffer_load_dword v52, v55, s[0:3], 0 offen
	buffer_load_dword v53, v55, s[0:3], 0 offen offset:4
	ds_read_b64 v[56:57], v54
	s_waitcnt vmcnt(0) lgkmcnt(0)
	v_mul_f64 v[52:53], v[52:53], v[56:57]
	s_cbranch_execz .LBB88_464
	s_branch .LBB88_465
.LBB88_463:
                                        ; implicit-def: $vgpr52_vgpr53
.LBB88_464:
	ds_read_b64 v[52:53], v54
.LBB88_465:
	s_and_saveexec_b64 s[4:5], s[6:7]
	s_cbranch_execz .LBB88_469
; %bb.466:
	v_mov_b32_e32 v55, 0
	v_add_u32_e32 v54, 0xd8, v1
	v_add3_u32 v1, v1, v55, 8
	s_mov_b64 s[6:7], 0
.LBB88_467:                             ; =>This Inner Loop Header: Depth=1
	buffer_load_dword v56, v1, s[0:3], 0 offen
	buffer_load_dword v57, v1, s[0:3], 0 offen offset:4
	ds_read_b64 v[58:59], v54
	v_add_u32_e32 v0, 1, v0
	v_cmp_lt_u32_e32 vcc, 22, v0
	v_add_u32_e32 v54, 8, v54
	v_add_u32_e32 v1, 8, v1
	s_or_b64 s[6:7], vcc, s[6:7]
	s_waitcnt vmcnt(0) lgkmcnt(0)
	v_fmac_f64_e32 v[52:53], v[56:57], v[58:59]
	s_andn2_b64 exec, exec, s[6:7]
	s_cbranch_execnz .LBB88_467
; %bb.468:
	s_or_b64 exec, exec, s[6:7]
.LBB88_469:
	s_or_b64 exec, exec, s[4:5]
	v_mov_b32_e32 v0, 0
	ds_read_b64 v[0:1], v0 offset:192
	s_waitcnt lgkmcnt(0)
	v_mul_f64 v[0:1], v[52:53], v[0:1]
	buffer_store_dword v1, off, s[0:3], 0 offset:196
	buffer_store_dword v0, off, s[0:3], 0 offset:192
.LBB88_470:
	s_or_b64 exec, exec, s[8:9]
.LBB88_471:
	buffer_load_dword v0, off, s[0:3], 0
	buffer_load_dword v1, off, s[0:3], 0 offset:4
	buffer_load_dword v52, off, s[0:3], 0 offset:8
	;; [unrolled: 1-line block ×49, first 2 shown]
	s_waitcnt vmcnt(48)
	global_store_dwordx2 v[2:3], v[0:1], off
	s_waitcnt vmcnt(47)
	global_store_dwordx2 v[4:5], v[52:53], off
	;; [unrolled: 2-line block ×9, first 2 shown]
	global_store_dwordx2 v[20:21], v[66:67], off
	global_store_dwordx2 v[22:23], v[68:69], off
	global_store_dwordx2 v[24:25], v[70:71], off
	s_waitcnt vmcnt(36)
	global_store_dwordx2 v[26:27], v[74:75], off
	s_waitcnt vmcnt(35)
	global_store_dwordx2 v[28:29], v[76:77], off
	;; [unrolled: 2-line block ×13, first 2 shown]
.LBB88_472:
	s_endpgm
	.section	.rodata,"a",@progbits
	.p2align	6, 0x0
	.amdhsa_kernel _ZN9rocsolver6v33100L18trti2_kernel_smallILi25EdPKPdEEv13rocblas_fill_17rocblas_diagonal_T1_iil
		.amdhsa_group_segment_fixed_size 408
		.amdhsa_private_segment_fixed_size 208
		.amdhsa_kernarg_size 32
		.amdhsa_user_sgpr_count 8
		.amdhsa_user_sgpr_private_segment_buffer 1
		.amdhsa_user_sgpr_dispatch_ptr 0
		.amdhsa_user_sgpr_queue_ptr 0
		.amdhsa_user_sgpr_kernarg_segment_ptr 1
		.amdhsa_user_sgpr_dispatch_id 0
		.amdhsa_user_sgpr_flat_scratch_init 1
		.amdhsa_user_sgpr_kernarg_preload_length 0
		.amdhsa_user_sgpr_kernarg_preload_offset 0
		.amdhsa_user_sgpr_private_segment_size 0
		.amdhsa_uses_dynamic_stack 0
		.amdhsa_system_sgpr_private_segment_wavefront_offset 1
		.amdhsa_system_sgpr_workgroup_id_x 1
		.amdhsa_system_sgpr_workgroup_id_y 0
		.amdhsa_system_sgpr_workgroup_id_z 0
		.amdhsa_system_sgpr_workgroup_info 0
		.amdhsa_system_vgpr_workitem_id 0
		.amdhsa_next_free_vgpr 102
		.amdhsa_next_free_sgpr 16
		.amdhsa_accum_offset 104
		.amdhsa_reserve_vcc 1
		.amdhsa_reserve_flat_scratch 0
		.amdhsa_float_round_mode_32 0
		.amdhsa_float_round_mode_16_64 0
		.amdhsa_float_denorm_mode_32 3
		.amdhsa_float_denorm_mode_16_64 3
		.amdhsa_dx10_clamp 1
		.amdhsa_ieee_mode 1
		.amdhsa_fp16_overflow 0
		.amdhsa_tg_split 0
		.amdhsa_exception_fp_ieee_invalid_op 0
		.amdhsa_exception_fp_denorm_src 0
		.amdhsa_exception_fp_ieee_div_zero 0
		.amdhsa_exception_fp_ieee_overflow 0
		.amdhsa_exception_fp_ieee_underflow 0
		.amdhsa_exception_fp_ieee_inexact 0
		.amdhsa_exception_int_div_zero 0
	.end_amdhsa_kernel
	.section	.text._ZN9rocsolver6v33100L18trti2_kernel_smallILi25EdPKPdEEv13rocblas_fill_17rocblas_diagonal_T1_iil,"axG",@progbits,_ZN9rocsolver6v33100L18trti2_kernel_smallILi25EdPKPdEEv13rocblas_fill_17rocblas_diagonal_T1_iil,comdat
.Lfunc_end88:
	.size	_ZN9rocsolver6v33100L18trti2_kernel_smallILi25EdPKPdEEv13rocblas_fill_17rocblas_diagonal_T1_iil, .Lfunc_end88-_ZN9rocsolver6v33100L18trti2_kernel_smallILi25EdPKPdEEv13rocblas_fill_17rocblas_diagonal_T1_iil
                                        ; -- End function
	.section	.AMDGPU.csdata,"",@progbits
; Kernel info:
; codeLenInByte = 14400
; NumSgprs: 20
; NumVgprs: 102
; NumAgprs: 0
; TotalNumVgprs: 102
; ScratchSize: 208
; MemoryBound: 0
; FloatMode: 240
; IeeeMode: 1
; LDSByteSize: 408 bytes/workgroup (compile time only)
; SGPRBlocks: 2
; VGPRBlocks: 12
; NumSGPRsForWavesPerEU: 20
; NumVGPRsForWavesPerEU: 102
; AccumOffset: 104
; Occupancy: 4
; WaveLimiterHint : 1
; COMPUTE_PGM_RSRC2:SCRATCH_EN: 1
; COMPUTE_PGM_RSRC2:USER_SGPR: 8
; COMPUTE_PGM_RSRC2:TRAP_HANDLER: 0
; COMPUTE_PGM_RSRC2:TGID_X_EN: 1
; COMPUTE_PGM_RSRC2:TGID_Y_EN: 0
; COMPUTE_PGM_RSRC2:TGID_Z_EN: 0
; COMPUTE_PGM_RSRC2:TIDIG_COMP_CNT: 0
; COMPUTE_PGM_RSRC3_GFX90A:ACCUM_OFFSET: 25
; COMPUTE_PGM_RSRC3_GFX90A:TG_SPLIT: 0
	.section	.text._ZN9rocsolver6v33100L18trti2_kernel_smallILi26EdPKPdEEv13rocblas_fill_17rocblas_diagonal_T1_iil,"axG",@progbits,_ZN9rocsolver6v33100L18trti2_kernel_smallILi26EdPKPdEEv13rocblas_fill_17rocblas_diagonal_T1_iil,comdat
	.globl	_ZN9rocsolver6v33100L18trti2_kernel_smallILi26EdPKPdEEv13rocblas_fill_17rocblas_diagonal_T1_iil ; -- Begin function _ZN9rocsolver6v33100L18trti2_kernel_smallILi26EdPKPdEEv13rocblas_fill_17rocblas_diagonal_T1_iil
	.p2align	8
	.type	_ZN9rocsolver6v33100L18trti2_kernel_smallILi26EdPKPdEEv13rocblas_fill_17rocblas_diagonal_T1_iil,@function
_ZN9rocsolver6v33100L18trti2_kernel_smallILi26EdPKPdEEv13rocblas_fill_17rocblas_diagonal_T1_iil: ; @_ZN9rocsolver6v33100L18trti2_kernel_smallILi26EdPKPdEEv13rocblas_fill_17rocblas_diagonal_T1_iil
; %bb.0:
	s_add_u32 s0, s0, s9
	s_addc_u32 s1, s1, 0
	v_cmp_gt_u32_e32 vcc, 26, v0
	s_and_saveexec_b64 s[6:7], vcc
	s_cbranch_execz .LBB89_492
; %bb.1:
	s_load_dwordx2 s[10:11], s[4:5], 0x10
	s_load_dwordx4 s[12:15], s[4:5], 0x0
	s_ashr_i32 s9, s8, 31
	s_lshl_b64 s[4:5], s[8:9], 3
	v_lshlrev_b32_e32 v1, 3, v0
	s_waitcnt lgkmcnt(0)
	s_ashr_i32 s7, s10, 31
	s_add_u32 s4, s14, s4
	s_addc_u32 s5, s15, s5
	s_load_dwordx2 s[4:5], s[4:5], 0x0
	s_mov_b32 s6, s10
	s_lshl_b64 s[6:7], s[6:7], 3
	s_mov_b32 s8, s11
	s_waitcnt lgkmcnt(0)
	s_add_u32 s4, s4, s6
	s_addc_u32 s5, s5, s7
	s_add_i32 s10, s11, s11
	v_add_u32_e32 v4, s10, v0
	v_mov_b32_e32 v3, s5
	v_add_co_u32_e32 v2, vcc, s4, v1
	v_ashrrev_i32_e32 v5, 31, v4
	v_addc_co_u32_e32 v3, vcc, 0, v3, vcc
	v_add_u32_e32 v6, s11, v4
	v_lshlrev_b64 v[4:5], 3, v[4:5]
	v_mov_b32_e32 v9, s5
	v_ashrrev_i32_e32 v7, 31, v6
	v_add_co_u32_e32 v4, vcc, s4, v4
	v_add_u32_e32 v8, s11, v6
	v_addc_co_u32_e32 v5, vcc, v9, v5, vcc
	v_lshlrev_b64 v[6:7], 3, v[6:7]
	v_mov_b32_e32 v11, s5
	v_ashrrev_i32_e32 v9, 31, v8
	v_add_co_u32_e32 v6, vcc, s4, v6
	v_add_u32_e32 v10, s11, v8
	v_addc_co_u32_e32 v7, vcc, v11, v7, vcc
	v_lshlrev_b64 v[8:9], 3, v[8:9]
	v_mov_b32_e32 v13, s5
	v_ashrrev_i32_e32 v11, 31, v10
	v_add_co_u32_e32 v8, vcc, s4, v8
	v_add_u32_e32 v12, s11, v10
	v_addc_co_u32_e32 v9, vcc, v13, v9, vcc
	v_lshlrev_b64 v[10:11], 3, v[10:11]
	v_mov_b32_e32 v15, s5
	v_ashrrev_i32_e32 v13, 31, v12
	v_add_co_u32_e32 v10, vcc, s4, v10
	v_add_u32_e32 v14, s11, v12
	v_addc_co_u32_e32 v11, vcc, v15, v11, vcc
	v_lshlrev_b64 v[12:13], 3, v[12:13]
	v_mov_b32_e32 v17, s5
	v_ashrrev_i32_e32 v15, 31, v14
	v_add_co_u32_e32 v12, vcc, s4, v12
	v_add_u32_e32 v16, s11, v14
	v_addc_co_u32_e32 v13, vcc, v17, v13, vcc
	v_lshlrev_b64 v[14:15], 3, v[14:15]
	v_mov_b32_e32 v19, s5
	v_add_co_u32_e32 v14, vcc, s4, v14
	v_ashrrev_i32_e32 v17, 31, v16
	v_add_u32_e32 v18, s11, v16
	v_addc_co_u32_e32 v15, vcc, v19, v15, vcc
	v_lshlrev_b64 v[16:17], 3, v[16:17]
	v_add_co_u32_e32 v16, vcc, s4, v16
	v_addc_co_u32_e32 v17, vcc, v19, v17, vcc
	v_ashrrev_i32_e32 v19, 31, v18
	v_add_u32_e32 v20, s11, v18
	v_lshlrev_b64 v[18:19], 3, v[18:19]
	v_mov_b32_e32 v21, s5
	v_add_co_u32_e32 v18, vcc, s4, v18
	v_addc_co_u32_e32 v19, vcc, v21, v19, vcc
	v_ashrrev_i32_e32 v21, 31, v20
	v_add_u32_e32 v22, s11, v20
	v_lshlrev_b64 v[20:21], 3, v[20:21]
	v_mov_b32_e32 v23, s5
	;; [unrolled: 6-line block ×10, first 2 shown]
	v_add_co_u32_e32 v36, vcc, s4, v36
	v_addc_co_u32_e32 v37, vcc, v39, v37, vcc
	v_ashrrev_i32_e32 v39, 31, v38
	v_add_u32_e32 v40, s11, v38
	v_lshlrev_b64 v[38:39], 3, v[38:39]
	v_add_u32_e32 v42, s11, v40
	v_mov_b32_e32 v41, s5
	v_add_co_u32_e32 v38, vcc, s4, v38
	v_add_u32_e32 v46, s11, v42
	v_addc_co_u32_e32 v39, vcc, v41, v39, vcc
	v_ashrrev_i32_e32 v41, 31, v40
	v_add_u32_e32 v48, s11, v46
	v_lshlrev_b64 v[40:41], 3, v[40:41]
	v_add_u32_e32 v50, s11, v48
	v_mov_b32_e32 v43, s5
	v_add_co_u32_e32 v40, vcc, s4, v40
	v_add_u32_e32 v44, s11, v50
	v_addc_co_u32_e32 v41, vcc, v43, v41, vcc
	v_ashrrev_i32_e32 v43, 31, v42
	v_ashrrev_i32_e32 v45, 31, v44
	v_lshlrev_b64 v[42:43], 3, v[42:43]
	s_ashr_i32 s9, s11, 31
	v_lshlrev_b64 v[52:53], 3, v[44:45]
	v_mov_b32_e32 v44, s5
	v_add_co_u32_e32 v42, vcc, s4, v42
	s_lshl_b64 s[6:7], s[8:9], 3
	v_addc_co_u32_e32 v43, vcc, v44, v43, vcc
	v_mov_b32_e32 v47, s7
	v_add_co_u32_e32 v44, vcc, s6, v2
	v_addc_co_u32_e32 v45, vcc, v3, v47, vcc
	v_ashrrev_i32_e32 v47, 31, v46
	v_lshlrev_b64 v[46:47], 3, v[46:47]
	v_mov_b32_e32 v49, s5
	v_add_co_u32_e32 v46, vcc, s4, v46
	v_addc_co_u32_e32 v47, vcc, v49, v47, vcc
	v_ashrrev_i32_e32 v49, 31, v48
	v_lshlrev_b64 v[48:49], 3, v[48:49]
	;; [unrolled: 5-line block ×3, first 2 shown]
	global_load_dwordx2 v[54:55], v1, s[4:5]
	global_load_dwordx2 v[58:59], v[4:5], off
	global_load_dwordx2 v[60:61], v[6:7], off
	;; [unrolled: 1-line block ×17, first 2 shown]
	v_mov_b32_e32 v98, s5
	global_load_dwordx2 v[90:91], v[36:37], off
	global_load_dwordx2 v[92:93], v[38:39], off
	;; [unrolled: 1-line block ×4, first 2 shown]
	v_add_co_u32_e32 v50, vcc, s4, v50
	v_addc_co_u32_e32 v51, vcc, v98, v51, vcc
	global_load_dwordx2 v[98:99], v[46:47], off
	global_load_dwordx2 v[100:101], v[48:49], off
	;; [unrolled: 1-line block ×3, first 2 shown]
	v_mov_b32_e32 v104, s5
	v_add_co_u32_e32 v52, vcc, s4, v52
	v_addc_co_u32_e32 v53, vcc, v104, v53, vcc
	global_load_dwordx2 v[104:105], v[52:53], off
	s_waitcnt vmcnt(25)
	buffer_store_dword v55, off, s[0:3], 0 offset:4
	buffer_store_dword v54, off, s[0:3], 0
	s_waitcnt vmcnt(24)
	buffer_store_dword v57, off, s[0:3], 0 offset:12
	buffer_store_dword v56, off, s[0:3], 0 offset:8
	;; [unrolled: 1-line block ×6, first 2 shown]
	s_waitcnt vmcnt(29)
	buffer_store_dword v63, off, s[0:3], 0 offset:36
	buffer_store_dword v62, off, s[0:3], 0 offset:32
	s_waitcnt vmcnt(30)
	buffer_store_dword v65, off, s[0:3], 0 offset:44
	buffer_store_dword v64, off, s[0:3], 0 offset:40
	;; [unrolled: 3-line block ×20, first 2 shown]
	s_cmpk_lg_i32 s13, 0x84
	v_mov_b32_e32 v54, 0
	v_mov_b32_e32 v80, 0
	s_cselect_b64 s[8:9], -1, 0
	s_cmpk_eq_i32 s13, 0x84
	v_mov_b32_e32 v55, 0xbff00000
	s_waitcnt vmcnt(49)
	buffer_store_dword v102, off, s[0:3], 0 offset:192
	buffer_store_dword v103, off, s[0:3], 0 offset:196
	s_waitcnt vmcnt(50)
	buffer_store_dword v105, off, s[0:3], 0 offset:204
	buffer_store_dword v104, off, s[0:3], 0 offset:200
	s_cbranch_scc1 .LBB89_3
; %bb.2:
	v_lshl_add_u32 v64, v0, 3, v80
	buffer_load_dword v54, v64, s[0:3], 0 offen
	buffer_load_dword v55, v64, s[0:3], 0 offen offset:4
	s_waitcnt vmcnt(0)
	v_div_scale_f64 v[56:57], s[4:5], v[54:55], v[54:55], 1.0
	v_rcp_f64_e32 v[58:59], v[56:57]
	v_div_scale_f64 v[60:61], vcc, 1.0, v[54:55], 1.0
	v_fma_f64 v[62:63], -v[56:57], v[58:59], 1.0
	v_fmac_f64_e32 v[58:59], v[58:59], v[62:63]
	v_fma_f64 v[62:63], -v[56:57], v[58:59], 1.0
	v_fmac_f64_e32 v[58:59], v[58:59], v[62:63]
	v_mul_f64 v[62:63], v[60:61], v[58:59]
	v_fma_f64 v[56:57], -v[56:57], v[62:63], v[60:61]
	v_div_fmas_f64 v[56:57], v[56:57], v[58:59], v[62:63]
	v_div_fixup_f64 v[54:55], v[56:57], v[54:55], 1.0
	buffer_store_dword v54, v64, s[0:3], 0 offen
	buffer_store_dword v55, v64, s[0:3], 0 offen offset:4
	v_xor_b32_e32 v55, 0x80000000, v55
.LBB89_3:
	s_cmpk_eq_i32 s12, 0x79
	v_add_u32_e32 v56, 0xd0, v1
	v_add_u32_e32 v57, 0, v1
	s_mov_b64 s[4:5], -1
	ds_write_b64 v1, v[54:55]
	s_cbranch_scc1 .LBB89_247
; %bb.4:
	buffer_load_dword v54, off, s[0:3], 0 offset:192
	buffer_load_dword v55, off, s[0:3], 0 offset:196
	v_cmp_eq_u32_e64 s[4:5], 25, v0
	s_waitcnt vmcnt(0)
	ds_write_b64 v56, v[54:55]
	s_waitcnt lgkmcnt(0)
	; wave barrier
	s_waitcnt lgkmcnt(0)
	s_and_saveexec_b64 s[6:7], s[4:5]
	s_cbranch_execz .LBB89_10
; %bb.5:
	s_and_b64 vcc, exec, s[8:9]
	s_cbranch_vccz .LBB89_7
; %bb.6:
	buffer_load_dword v54, v57, s[0:3], 0 offen
	buffer_load_dword v55, v57, s[0:3], 0 offen offset:4
	ds_read_b64 v[58:59], v56
	s_waitcnt vmcnt(0) lgkmcnt(0)
	v_mul_f64 v[54:55], v[54:55], v[58:59]
	s_cbranch_execz .LBB89_8
	s_branch .LBB89_9
.LBB89_7:
                                        ; implicit-def: $vgpr54_vgpr55
.LBB89_8:
	ds_read_b64 v[54:55], v56
.LBB89_9:
	v_mov_b32_e32 v58, 0
	ds_read_b64 v[58:59], v58 offset:192
	s_waitcnt lgkmcnt(0)
	v_mul_f64 v[54:55], v[54:55], v[58:59]
	buffer_store_dword v55, off, s[0:3], 0 offset:196
	buffer_store_dword v54, off, s[0:3], 0 offset:192
.LBB89_10:
	s_or_b64 exec, exec, s[6:7]
	buffer_load_dword v54, off, s[0:3], 0 offset:184
	buffer_load_dword v55, off, s[0:3], 0 offset:188
	v_or_b32_e32 v58, 8, v80
	v_add_u32_e32 v59, 16, v80
	v_add_u32_e32 v60, 24, v80
	;; [unrolled: 1-line block ×22, first 2 shown]
	v_cmp_lt_u32_e64 s[6:7], 23, v0
	s_waitcnt vmcnt(0)
	ds_write_b64 v56, v[54:55]
	s_waitcnt lgkmcnt(0)
	; wave barrier
	s_waitcnt lgkmcnt(0)
	s_and_saveexec_b64 s[10:11], s[6:7]
	s_cbranch_execz .LBB89_16
; %bb.11:
	s_andn2_b64 vcc, exec, s[8:9]
	s_cbranch_vccnz .LBB89_13
; %bb.12:
	buffer_load_dword v54, v57, s[0:3], 0 offen
	buffer_load_dword v55, v57, s[0:3], 0 offen offset:4
	ds_read_b64 v[82:83], v56
	s_waitcnt vmcnt(0) lgkmcnt(0)
	v_mul_f64 v[54:55], v[54:55], v[82:83]
	s_cbranch_execz .LBB89_14
	s_branch .LBB89_15
.LBB89_13:
                                        ; implicit-def: $vgpr54_vgpr55
.LBB89_14:
	ds_read_b64 v[54:55], v56
.LBB89_15:
	buffer_load_dword v86, off, s[0:3], 0 offset:192
	buffer_load_dword v87, off, s[0:3], 0 offset:196
	v_mov_b32_e32 v81, 0
	ds_read2_b64 v[82:85], v81 offset0:23 offset1:50
	s_waitcnt vmcnt(0) lgkmcnt(0)
	v_fma_f64 v[84:85], v[86:87], v[84:85], v[54:55]
	v_cndmask_b32_e64 v55, v55, v85, s[4:5]
	v_cndmask_b32_e64 v54, v54, v84, s[4:5]
	v_mul_f64 v[54:55], v[54:55], v[82:83]
	buffer_store_dword v55, off, s[0:3], 0 offset:188
	buffer_store_dword v54, off, s[0:3], 0 offset:184
.LBB89_16:
	s_or_b64 exec, exec, s[10:11]
	buffer_load_dword v54, off, s[0:3], 0 offset:176
	buffer_load_dword v55, off, s[0:3], 0 offset:180
	v_cmp_lt_u32_e64 s[4:5], 22, v0
	s_waitcnt vmcnt(0)
	ds_write_b64 v56, v[54:55]
	s_waitcnt lgkmcnt(0)
	; wave barrier
	s_waitcnt lgkmcnt(0)
	s_and_saveexec_b64 s[10:11], s[4:5]
	s_cbranch_execz .LBB89_26
; %bb.17:
	s_andn2_b64 vcc, exec, s[8:9]
	s_cbranch_vccnz .LBB89_19
; %bb.18:
	buffer_load_dword v54, v57, s[0:3], 0 offen
	buffer_load_dword v55, v57, s[0:3], 0 offen offset:4
	ds_read_b64 v[82:83], v56
	s_waitcnt vmcnt(0) lgkmcnt(0)
	v_mul_f64 v[54:55], v[54:55], v[82:83]
	s_cbranch_execz .LBB89_20
	s_branch .LBB89_21
.LBB89_19:
                                        ; implicit-def: $vgpr54_vgpr55
.LBB89_20:
	ds_read_b64 v[54:55], v56
.LBB89_21:
	s_and_saveexec_b64 s[12:13], s[6:7]
	s_cbranch_execz .LBB89_25
; %bb.22:
	v_subrev_u32_e32 v81, 23, v0
	s_movk_i32 s14, 0x188
	s_mov_b64 s[6:7], 0
.LBB89_23:                              ; =>This Inner Loop Header: Depth=1
	buffer_load_dword v82, v80, s[0:3], 0 offen
	buffer_load_dword v83, v80, s[0:3], 0 offen offset:4
	v_mov_b32_e32 v84, s14
	ds_read_b64 v[84:85], v84
	v_add_u32_e32 v81, -1, v81
	s_add_i32 s14, s14, 8
	v_cmp_eq_u32_e32 vcc, 0, v81
	v_add_u32_e32 v80, 8, v80
	s_or_b64 s[6:7], vcc, s[6:7]
	s_waitcnt vmcnt(0) lgkmcnt(0)
	v_fmac_f64_e32 v[54:55], v[82:83], v[84:85]
	s_andn2_b64 exec, exec, s[6:7]
	s_cbranch_execnz .LBB89_23
; %bb.24:
	s_or_b64 exec, exec, s[6:7]
.LBB89_25:
	s_or_b64 exec, exec, s[12:13]
	v_mov_b32_e32 v80, 0
	ds_read_b64 v[80:81], v80 offset:176
	s_waitcnt lgkmcnt(0)
	v_mul_f64 v[54:55], v[54:55], v[80:81]
	buffer_store_dword v55, off, s[0:3], 0 offset:180
	buffer_store_dword v54, off, s[0:3], 0 offset:176
.LBB89_26:
	s_or_b64 exec, exec, s[10:11]
	buffer_load_dword v54, off, s[0:3], 0 offset:168
	buffer_load_dword v55, off, s[0:3], 0 offset:172
	v_cmp_lt_u32_e64 s[6:7], 21, v0
	s_waitcnt vmcnt(0)
	ds_write_b64 v56, v[54:55]
	s_waitcnt lgkmcnt(0)
	; wave barrier
	s_waitcnt lgkmcnt(0)
	s_and_saveexec_b64 s[10:11], s[6:7]
	s_cbranch_execz .LBB89_36
; %bb.27:
	s_andn2_b64 vcc, exec, s[8:9]
	s_cbranch_vccnz .LBB89_29
; %bb.28:
	buffer_load_dword v54, v57, s[0:3], 0 offen
	buffer_load_dword v55, v57, s[0:3], 0 offen offset:4
	ds_read_b64 v[80:81], v56
	s_waitcnt vmcnt(0) lgkmcnt(0)
	v_mul_f64 v[54:55], v[54:55], v[80:81]
	s_cbranch_execz .LBB89_30
	s_branch .LBB89_31
.LBB89_29:
                                        ; implicit-def: $vgpr54_vgpr55
.LBB89_30:
	ds_read_b64 v[54:55], v56
.LBB89_31:
	s_and_saveexec_b64 s[12:13], s[4:5]
	s_cbranch_execz .LBB89_35
; %bb.32:
	v_subrev_u32_e32 v80, 22, v0
	s_movk_i32 s14, 0x180
	s_mov_b64 s[4:5], 0
.LBB89_33:                              ; =>This Inner Loop Header: Depth=1
	buffer_load_dword v82, v79, s[0:3], 0 offen
	buffer_load_dword v83, v79, s[0:3], 0 offen offset:4
	v_mov_b32_e32 v81, s14
	ds_read_b64 v[84:85], v81
	v_add_u32_e32 v80, -1, v80
	s_add_i32 s14, s14, 8
	v_cmp_eq_u32_e32 vcc, 0, v80
	v_add_u32_e32 v79, 8, v79
	s_or_b64 s[4:5], vcc, s[4:5]
	s_waitcnt vmcnt(0) lgkmcnt(0)
	v_fmac_f64_e32 v[54:55], v[82:83], v[84:85]
	s_andn2_b64 exec, exec, s[4:5]
	s_cbranch_execnz .LBB89_33
; %bb.34:
	s_or_b64 exec, exec, s[4:5]
.LBB89_35:
	s_or_b64 exec, exec, s[12:13]
	v_mov_b32_e32 v79, 0
	ds_read_b64 v[80:81], v79 offset:168
	s_waitcnt lgkmcnt(0)
	v_mul_f64 v[54:55], v[54:55], v[80:81]
	buffer_store_dword v55, off, s[0:3], 0 offset:172
	buffer_store_dword v54, off, s[0:3], 0 offset:168
.LBB89_36:
	;; [unrolled: 58-line block ×7, first 2 shown]
	s_or_b64 exec, exec, s[10:11]
	buffer_load_dword v54, off, s[0:3], 0 offset:120
	buffer_load_dword v55, off, s[0:3], 0 offset:124
	v_cmp_lt_u32_e64 s[6:7], 15, v0
	s_waitcnt vmcnt(0)
	ds_write_b64 v56, v[54:55]
	s_waitcnt lgkmcnt(0)
	; wave barrier
	s_waitcnt lgkmcnt(0)
	s_and_saveexec_b64 s[10:11], s[6:7]
	s_cbranch_execz .LBB89_96
; %bb.87:
	s_andn2_b64 vcc, exec, s[8:9]
	s_cbranch_vccnz .LBB89_89
; %bb.88:
	buffer_load_dword v54, v57, s[0:3], 0 offen
	buffer_load_dword v55, v57, s[0:3], 0 offen offset:4
	ds_read_b64 v[74:75], v56
	s_waitcnt vmcnt(0) lgkmcnt(0)
	v_mul_f64 v[54:55], v[54:55], v[74:75]
	s_cbranch_execz .LBB89_90
	s_branch .LBB89_91
.LBB89_89:
                                        ; implicit-def: $vgpr54_vgpr55
.LBB89_90:
	ds_read_b64 v[54:55], v56
.LBB89_91:
	s_and_saveexec_b64 s[12:13], s[4:5]
	s_cbranch_execz .LBB89_95
; %bb.92:
	v_add_u32_e32 v74, -16, v0
	s_movk_i32 s14, 0x150
	s_mov_b64 s[4:5], 0
.LBB89_93:                              ; =>This Inner Loop Header: Depth=1
	buffer_load_dword v76, v73, s[0:3], 0 offen
	buffer_load_dword v77, v73, s[0:3], 0 offen offset:4
	v_mov_b32_e32 v75, s14
	ds_read_b64 v[78:79], v75
	v_add_u32_e32 v74, -1, v74
	s_add_i32 s14, s14, 8
	v_cmp_eq_u32_e32 vcc, 0, v74
	v_add_u32_e32 v73, 8, v73
	s_or_b64 s[4:5], vcc, s[4:5]
	s_waitcnt vmcnt(0) lgkmcnt(0)
	v_fmac_f64_e32 v[54:55], v[76:77], v[78:79]
	s_andn2_b64 exec, exec, s[4:5]
	s_cbranch_execnz .LBB89_93
; %bb.94:
	s_or_b64 exec, exec, s[4:5]
.LBB89_95:
	s_or_b64 exec, exec, s[12:13]
	v_mov_b32_e32 v73, 0
	ds_read_b64 v[74:75], v73 offset:120
	s_waitcnt lgkmcnt(0)
	v_mul_f64 v[54:55], v[54:55], v[74:75]
	buffer_store_dword v55, off, s[0:3], 0 offset:124
	buffer_store_dword v54, off, s[0:3], 0 offset:120
.LBB89_96:
	s_or_b64 exec, exec, s[10:11]
	buffer_load_dword v54, off, s[0:3], 0 offset:112
	buffer_load_dword v55, off, s[0:3], 0 offset:116
	v_cmp_lt_u32_e64 s[4:5], 14, v0
	s_waitcnt vmcnt(0)
	ds_write_b64 v56, v[54:55]
	s_waitcnt lgkmcnt(0)
	; wave barrier
	s_waitcnt lgkmcnt(0)
	s_and_saveexec_b64 s[10:11], s[4:5]
	s_cbranch_execz .LBB89_106
; %bb.97:
	s_andn2_b64 vcc, exec, s[8:9]
	s_cbranch_vccnz .LBB89_99
; %bb.98:
	buffer_load_dword v54, v57, s[0:3], 0 offen
	buffer_load_dword v55, v57, s[0:3], 0 offen offset:4
	ds_read_b64 v[74:75], v56
	s_waitcnt vmcnt(0) lgkmcnt(0)
	v_mul_f64 v[54:55], v[54:55], v[74:75]
	s_cbranch_execz .LBB89_100
	s_branch .LBB89_101
.LBB89_99:
                                        ; implicit-def: $vgpr54_vgpr55
.LBB89_100:
	ds_read_b64 v[54:55], v56
.LBB89_101:
	s_and_saveexec_b64 s[12:13], s[6:7]
	s_cbranch_execz .LBB89_105
; %bb.102:
	v_add_u32_e32 v73, -15, v0
	s_movk_i32 s14, 0x148
	s_mov_b64 s[6:7], 0
.LBB89_103:                             ; =>This Inner Loop Header: Depth=1
	buffer_load_dword v74, v72, s[0:3], 0 offen
	buffer_load_dword v75, v72, s[0:3], 0 offen offset:4
	v_mov_b32_e32 v76, s14
	ds_read_b64 v[76:77], v76
	v_add_u32_e32 v73, -1, v73
	s_add_i32 s14, s14, 8
	v_cmp_eq_u32_e32 vcc, 0, v73
	v_add_u32_e32 v72, 8, v72
	s_or_b64 s[6:7], vcc, s[6:7]
	s_waitcnt vmcnt(0) lgkmcnt(0)
	v_fmac_f64_e32 v[54:55], v[74:75], v[76:77]
	s_andn2_b64 exec, exec, s[6:7]
	s_cbranch_execnz .LBB89_103
; %bb.104:
	s_or_b64 exec, exec, s[6:7]
.LBB89_105:
	s_or_b64 exec, exec, s[12:13]
	v_mov_b32_e32 v72, 0
	ds_read_b64 v[72:73], v72 offset:112
	s_waitcnt lgkmcnt(0)
	v_mul_f64 v[54:55], v[54:55], v[72:73]
	buffer_store_dword v55, off, s[0:3], 0 offset:116
	buffer_store_dword v54, off, s[0:3], 0 offset:112
.LBB89_106:
	s_or_b64 exec, exec, s[10:11]
	buffer_load_dword v54, off, s[0:3], 0 offset:104
	buffer_load_dword v55, off, s[0:3], 0 offset:108
	v_cmp_lt_u32_e64 s[6:7], 13, v0
	s_waitcnt vmcnt(0)
	ds_write_b64 v56, v[54:55]
	s_waitcnt lgkmcnt(0)
	; wave barrier
	s_waitcnt lgkmcnt(0)
	s_and_saveexec_b64 s[10:11], s[6:7]
	s_cbranch_execz .LBB89_116
; %bb.107:
	s_andn2_b64 vcc, exec, s[8:9]
	s_cbranch_vccnz .LBB89_109
; %bb.108:
	buffer_load_dword v54, v57, s[0:3], 0 offen
	buffer_load_dword v55, v57, s[0:3], 0 offen offset:4
	ds_read_b64 v[72:73], v56
	s_waitcnt vmcnt(0) lgkmcnt(0)
	v_mul_f64 v[54:55], v[54:55], v[72:73]
	s_cbranch_execz .LBB89_110
	s_branch .LBB89_111
.LBB89_109:
                                        ; implicit-def: $vgpr54_vgpr55
.LBB89_110:
	ds_read_b64 v[54:55], v56
.LBB89_111:
	s_and_saveexec_b64 s[12:13], s[4:5]
	s_cbranch_execz .LBB89_115
; %bb.112:
	v_add_u32_e32 v72, -14, v0
	s_movk_i32 s14, 0x140
	s_mov_b64 s[4:5], 0
.LBB89_113:                             ; =>This Inner Loop Header: Depth=1
	buffer_load_dword v74, v71, s[0:3], 0 offen
	buffer_load_dword v75, v71, s[0:3], 0 offen offset:4
	v_mov_b32_e32 v73, s14
	ds_read_b64 v[76:77], v73
	v_add_u32_e32 v72, -1, v72
	s_add_i32 s14, s14, 8
	v_cmp_eq_u32_e32 vcc, 0, v72
	v_add_u32_e32 v71, 8, v71
	s_or_b64 s[4:5], vcc, s[4:5]
	s_waitcnt vmcnt(0) lgkmcnt(0)
	v_fmac_f64_e32 v[54:55], v[74:75], v[76:77]
	s_andn2_b64 exec, exec, s[4:5]
	s_cbranch_execnz .LBB89_113
; %bb.114:
	s_or_b64 exec, exec, s[4:5]
.LBB89_115:
	s_or_b64 exec, exec, s[12:13]
	v_mov_b32_e32 v71, 0
	ds_read_b64 v[72:73], v71 offset:104
	s_waitcnt lgkmcnt(0)
	v_mul_f64 v[54:55], v[54:55], v[72:73]
	buffer_store_dword v55, off, s[0:3], 0 offset:108
	buffer_store_dword v54, off, s[0:3], 0 offset:104
.LBB89_116:
	;; [unrolled: 58-line block ×14, first 2 shown]
	s_or_b64 exec, exec, s[10:11]
	buffer_load_dword v54, off, s[0:3], 0
	buffer_load_dword v55, off, s[0:3], 0 offset:4
	v_cmp_ne_u32_e32 vcc, 0, v0
	s_waitcnt vmcnt(0)
	ds_write_b64 v56, v[54:55]
	s_waitcnt lgkmcnt(0)
	; wave barrier
	s_waitcnt lgkmcnt(0)
	s_and_saveexec_b64 s[4:5], vcc
	s_cbranch_execz .LBB89_246
; %bb.237:
	s_andn2_b64 vcc, exec, s[8:9]
	s_cbranch_vccnz .LBB89_239
; %bb.238:
	buffer_load_dword v54, v57, s[0:3], 0 offen
	buffer_load_dword v55, v57, s[0:3], 0 offen offset:4
	ds_read_b64 v[60:61], v56
	s_waitcnt vmcnt(0) lgkmcnt(0)
	v_mul_f64 v[54:55], v[54:55], v[60:61]
	s_cbranch_execz .LBB89_240
	s_branch .LBB89_241
.LBB89_239:
                                        ; implicit-def: $vgpr54_vgpr55
.LBB89_240:
	ds_read_b64 v[54:55], v56
.LBB89_241:
	s_and_saveexec_b64 s[10:11], s[6:7]
	s_cbranch_execz .LBB89_245
; %bb.242:
	v_add_u32_e32 v59, -1, v0
	s_movk_i32 s12, 0xd8
	s_mov_b64 s[6:7], 0
.LBB89_243:                             ; =>This Inner Loop Header: Depth=1
	buffer_load_dword v60, v58, s[0:3], 0 offen
	buffer_load_dword v61, v58, s[0:3], 0 offen offset:4
	v_mov_b32_e32 v62, s12
	ds_read_b64 v[62:63], v62
	v_add_u32_e32 v59, -1, v59
	s_add_i32 s12, s12, 8
	v_cmp_eq_u32_e32 vcc, 0, v59
	v_add_u32_e32 v58, 8, v58
	s_or_b64 s[6:7], vcc, s[6:7]
	s_waitcnt vmcnt(0) lgkmcnt(0)
	v_fmac_f64_e32 v[54:55], v[60:61], v[62:63]
	s_andn2_b64 exec, exec, s[6:7]
	s_cbranch_execnz .LBB89_243
; %bb.244:
	s_or_b64 exec, exec, s[6:7]
.LBB89_245:
	s_or_b64 exec, exec, s[10:11]
	v_mov_b32_e32 v58, 0
	ds_read_b64 v[58:59], v58
	s_waitcnt lgkmcnt(0)
	v_mul_f64 v[54:55], v[54:55], v[58:59]
	buffer_store_dword v55, off, s[0:3], 0 offset:4
	buffer_store_dword v54, off, s[0:3], 0
.LBB89_246:
	s_or_b64 exec, exec, s[4:5]
	s_mov_b64 s[4:5], 0
.LBB89_247:
	s_and_b64 vcc, exec, s[4:5]
	s_cbranch_vccz .LBB89_491
; %bb.248:
	buffer_load_dword v54, off, s[0:3], 0 offset:8
	buffer_load_dword v55, off, s[0:3], 0 offset:12
	v_cmp_eq_u32_e64 s[6:7], 0, v0
	s_waitcnt vmcnt(0)
	ds_write_b64 v56, v[54:55]
	s_waitcnt lgkmcnt(0)
	; wave barrier
	s_waitcnt lgkmcnt(0)
	s_and_saveexec_b64 s[4:5], s[6:7]
	s_cbranch_execz .LBB89_254
; %bb.249:
	s_and_b64 vcc, exec, s[8:9]
	s_cbranch_vccz .LBB89_251
; %bb.250:
	buffer_load_dword v54, v57, s[0:3], 0 offen
	buffer_load_dword v55, v57, s[0:3], 0 offen offset:4
	ds_read_b64 v[58:59], v56
	s_waitcnt vmcnt(0) lgkmcnt(0)
	v_mul_f64 v[54:55], v[54:55], v[58:59]
	s_cbranch_execz .LBB89_252
	s_branch .LBB89_253
.LBB89_251:
                                        ; implicit-def: $vgpr54_vgpr55
.LBB89_252:
	ds_read_b64 v[54:55], v56
.LBB89_253:
	v_mov_b32_e32 v58, 0
	ds_read_b64 v[58:59], v58 offset:8
	s_waitcnt lgkmcnt(0)
	v_mul_f64 v[54:55], v[54:55], v[58:59]
	buffer_store_dword v55, off, s[0:3], 0 offset:12
	buffer_store_dword v54, off, s[0:3], 0 offset:8
.LBB89_254:
	s_or_b64 exec, exec, s[4:5]
	buffer_load_dword v54, off, s[0:3], 0 offset:16
	buffer_load_dword v55, off, s[0:3], 0 offset:20
	v_cndmask_b32_e64 v58, 0, 1, s[8:9]
	v_cmp_gt_u32_e32 vcc, 2, v0
	v_cmp_ne_u32_e64 s[4:5], 1, v58
	s_waitcnt vmcnt(0)
	ds_write_b64 v56, v[54:55]
	s_waitcnt lgkmcnt(0)
	; wave barrier
	s_waitcnt lgkmcnt(0)
	s_and_saveexec_b64 s[8:9], vcc
	s_cbranch_execz .LBB89_262
; %bb.255:
	s_and_b64 vcc, exec, s[4:5]
	s_cbranch_vccnz .LBB89_257
; %bb.256:
	buffer_load_dword v54, v57, s[0:3], 0 offen
	buffer_load_dword v55, v57, s[0:3], 0 offen offset:4
	ds_read_b64 v[58:59], v56
	s_waitcnt vmcnt(0) lgkmcnt(0)
	v_mul_f64 v[54:55], v[54:55], v[58:59]
	s_cbranch_execz .LBB89_258
	s_branch .LBB89_259
.LBB89_257:
                                        ; implicit-def: $vgpr54_vgpr55
.LBB89_258:
	ds_read_b64 v[54:55], v56
.LBB89_259:
	s_and_saveexec_b64 s[10:11], s[6:7]
	s_cbranch_execz .LBB89_261
; %bb.260:
	buffer_load_dword v58, v57, s[0:3], 0 offen offset:8
	buffer_load_dword v59, v57, s[0:3], 0 offen offset:12
	ds_read_b64 v[60:61], v56 offset:8
	s_waitcnt vmcnt(0) lgkmcnt(0)
	v_fmac_f64_e32 v[54:55], v[58:59], v[60:61]
.LBB89_261:
	s_or_b64 exec, exec, s[10:11]
	v_mov_b32_e32 v58, 0
	ds_read_b64 v[58:59], v58 offset:16
	s_waitcnt lgkmcnt(0)
	v_mul_f64 v[54:55], v[54:55], v[58:59]
	buffer_store_dword v55, off, s[0:3], 0 offset:20
	buffer_store_dword v54, off, s[0:3], 0 offset:16
.LBB89_262:
	s_or_b64 exec, exec, s[8:9]
	buffer_load_dword v54, off, s[0:3], 0 offset:24
	buffer_load_dword v55, off, s[0:3], 0 offset:28
	v_cmp_gt_u32_e32 vcc, 3, v0
	s_waitcnt vmcnt(0)
	ds_write_b64 v56, v[54:55]
	s_waitcnt lgkmcnt(0)
	; wave barrier
	s_waitcnt lgkmcnt(0)
	s_and_saveexec_b64 s[8:9], vcc
	s_cbranch_execz .LBB89_270
; %bb.263:
	s_and_b64 vcc, exec, s[4:5]
	s_cbranch_vccnz .LBB89_265
; %bb.264:
	buffer_load_dword v54, v57, s[0:3], 0 offen
	buffer_load_dword v55, v57, s[0:3], 0 offen offset:4
	ds_read_b64 v[58:59], v56
	s_waitcnt vmcnt(0) lgkmcnt(0)
	v_mul_f64 v[54:55], v[54:55], v[58:59]
	s_cbranch_execz .LBB89_266
	s_branch .LBB89_267
.LBB89_265:
                                        ; implicit-def: $vgpr54_vgpr55
.LBB89_266:
	ds_read_b64 v[54:55], v56
.LBB89_267:
	v_cmp_ne_u32_e32 vcc, 2, v0
	s_and_saveexec_b64 s[10:11], vcc
	s_cbranch_execz .LBB89_269
; %bb.268:
	buffer_load_dword v59, v57, s[0:3], 0 offen offset:12
	buffer_load_dword v60, off, s[0:3], 0 offset:16
	buffer_load_dword v58, v57, s[0:3], 0 offen offset:8
	buffer_load_dword v61, off, s[0:3], 0 offset:20
	v_mov_b32_e32 v64, 0
	ds_read_b64 v[62:63], v56 offset:8
	ds_read_b64 v[64:65], v64 offset:224
	s_waitcnt vmcnt(1) lgkmcnt(1)
	v_fmac_f64_e32 v[54:55], v[58:59], v[62:63]
	s_waitcnt vmcnt(0) lgkmcnt(0)
	v_fma_f64 v[58:59], v[60:61], v[64:65], v[54:55]
	v_cndmask_b32_e64 v55, v55, v59, s[6:7]
	v_cndmask_b32_e64 v54, v54, v58, s[6:7]
.LBB89_269:
	s_or_b64 exec, exec, s[10:11]
	v_mov_b32_e32 v58, 0
	ds_read_b64 v[58:59], v58 offset:24
	s_waitcnt lgkmcnt(0)
	v_mul_f64 v[54:55], v[54:55], v[58:59]
	buffer_store_dword v55, off, s[0:3], 0 offset:28
	buffer_store_dword v54, off, s[0:3], 0 offset:24
.LBB89_270:
	s_or_b64 exec, exec, s[8:9]
	buffer_load_dword v54, off, s[0:3], 0 offset:32
	buffer_load_dword v55, off, s[0:3], 0 offset:36
	v_cmp_gt_u32_e32 vcc, 4, v0
	s_waitcnt vmcnt(0)
	ds_write_b64 v56, v[54:55]
	s_waitcnt lgkmcnt(0)
	; wave barrier
	s_waitcnt lgkmcnt(0)
	s_and_saveexec_b64 s[6:7], vcc
	s_cbranch_execz .LBB89_280
; %bb.271:
	s_and_b64 vcc, exec, s[4:5]
	s_cbranch_vccnz .LBB89_273
; %bb.272:
	buffer_load_dword v54, v57, s[0:3], 0 offen
	buffer_load_dword v55, v57, s[0:3], 0 offen offset:4
	ds_read_b64 v[58:59], v56
	s_waitcnt vmcnt(0) lgkmcnt(0)
	v_mul_f64 v[54:55], v[54:55], v[58:59]
	s_cbranch_execz .LBB89_274
	s_branch .LBB89_275
.LBB89_273:
                                        ; implicit-def: $vgpr54_vgpr55
.LBB89_274:
	ds_read_b64 v[54:55], v56
.LBB89_275:
	v_cmp_ne_u32_e32 vcc, 3, v0
	s_and_saveexec_b64 s[8:9], vcc
	s_cbranch_execz .LBB89_279
; %bb.276:
	v_mov_b32_e32 v59, 0
	v_add_u32_e32 v58, 0xd8, v1
	v_add3_u32 v59, v1, v59, 8
	s_mov_b64 s[10:11], 0
	v_mov_b32_e32 v60, v0
.LBB89_277:                             ; =>This Inner Loop Header: Depth=1
	buffer_load_dword v62, v59, s[0:3], 0 offen
	buffer_load_dword v63, v59, s[0:3], 0 offen offset:4
	ds_read_b64 v[64:65], v58
	v_add_u32_e32 v60, 1, v60
	v_cmp_lt_u32_e32 vcc, 2, v60
	v_add_u32_e32 v58, 8, v58
	v_add_u32_e32 v59, 8, v59
	s_or_b64 s[10:11], vcc, s[10:11]
	s_waitcnt vmcnt(0) lgkmcnt(0)
	v_fmac_f64_e32 v[54:55], v[62:63], v[64:65]
	s_andn2_b64 exec, exec, s[10:11]
	s_cbranch_execnz .LBB89_277
; %bb.278:
	s_or_b64 exec, exec, s[10:11]
.LBB89_279:
	s_or_b64 exec, exec, s[8:9]
	v_mov_b32_e32 v58, 0
	ds_read_b64 v[58:59], v58 offset:32
	s_waitcnt lgkmcnt(0)
	v_mul_f64 v[54:55], v[54:55], v[58:59]
	buffer_store_dword v55, off, s[0:3], 0 offset:36
	buffer_store_dword v54, off, s[0:3], 0 offset:32
.LBB89_280:
	s_or_b64 exec, exec, s[6:7]
	buffer_load_dword v54, off, s[0:3], 0 offset:40
	buffer_load_dword v55, off, s[0:3], 0 offset:44
	v_cmp_gt_u32_e32 vcc, 5, v0
	s_waitcnt vmcnt(0)
	ds_write_b64 v56, v[54:55]
	s_waitcnt lgkmcnt(0)
	; wave barrier
	s_waitcnt lgkmcnt(0)
	s_and_saveexec_b64 s[6:7], vcc
	s_cbranch_execz .LBB89_290
; %bb.281:
	s_and_b64 vcc, exec, s[4:5]
	s_cbranch_vccnz .LBB89_283
; %bb.282:
	buffer_load_dword v54, v57, s[0:3], 0 offen
	buffer_load_dword v55, v57, s[0:3], 0 offen offset:4
	ds_read_b64 v[58:59], v56
	s_waitcnt vmcnt(0) lgkmcnt(0)
	v_mul_f64 v[54:55], v[54:55], v[58:59]
	s_cbranch_execz .LBB89_284
	s_branch .LBB89_285
.LBB89_283:
                                        ; implicit-def: $vgpr54_vgpr55
.LBB89_284:
	ds_read_b64 v[54:55], v56
.LBB89_285:
	v_cmp_ne_u32_e32 vcc, 4, v0
	s_and_saveexec_b64 s[8:9], vcc
	s_cbranch_execz .LBB89_289
; %bb.286:
	v_mov_b32_e32 v59, 0
	v_add_u32_e32 v58, 0xd8, v1
	v_add3_u32 v59, v1, v59, 8
	s_mov_b64 s[10:11], 0
	v_mov_b32_e32 v60, v0
.LBB89_287:                             ; =>This Inner Loop Header: Depth=1
	buffer_load_dword v62, v59, s[0:3], 0 offen
	buffer_load_dword v63, v59, s[0:3], 0 offen offset:4
	ds_read_b64 v[64:65], v58
	v_add_u32_e32 v60, 1, v60
	v_cmp_lt_u32_e32 vcc, 3, v60
	v_add_u32_e32 v58, 8, v58
	v_add_u32_e32 v59, 8, v59
	s_or_b64 s[10:11], vcc, s[10:11]
	s_waitcnt vmcnt(0) lgkmcnt(0)
	v_fmac_f64_e32 v[54:55], v[62:63], v[64:65]
	s_andn2_b64 exec, exec, s[10:11]
	s_cbranch_execnz .LBB89_287
; %bb.288:
	s_or_b64 exec, exec, s[10:11]
.LBB89_289:
	s_or_b64 exec, exec, s[8:9]
	v_mov_b32_e32 v58, 0
	ds_read_b64 v[58:59], v58 offset:40
	s_waitcnt lgkmcnt(0)
	v_mul_f64 v[54:55], v[54:55], v[58:59]
	buffer_store_dword v55, off, s[0:3], 0 offset:44
	buffer_store_dword v54, off, s[0:3], 0 offset:40
.LBB89_290:
	s_or_b64 exec, exec, s[6:7]
	buffer_load_dword v54, off, s[0:3], 0 offset:48
	buffer_load_dword v55, off, s[0:3], 0 offset:52
	v_cmp_gt_u32_e32 vcc, 6, v0
	s_waitcnt vmcnt(0)
	ds_write_b64 v56, v[54:55]
	s_waitcnt lgkmcnt(0)
	; wave barrier
	s_waitcnt lgkmcnt(0)
	s_and_saveexec_b64 s[6:7], vcc
	s_cbranch_execz .LBB89_300
; %bb.291:
	s_and_b64 vcc, exec, s[4:5]
	s_cbranch_vccnz .LBB89_293
; %bb.292:
	buffer_load_dword v54, v57, s[0:3], 0 offen
	buffer_load_dword v55, v57, s[0:3], 0 offen offset:4
	ds_read_b64 v[58:59], v56
	s_waitcnt vmcnt(0) lgkmcnt(0)
	v_mul_f64 v[54:55], v[54:55], v[58:59]
	s_cbranch_execz .LBB89_294
	s_branch .LBB89_295
.LBB89_293:
                                        ; implicit-def: $vgpr54_vgpr55
.LBB89_294:
	ds_read_b64 v[54:55], v56
.LBB89_295:
	v_cmp_ne_u32_e32 vcc, 5, v0
	s_and_saveexec_b64 s[8:9], vcc
	s_cbranch_execz .LBB89_299
; %bb.296:
	v_mov_b32_e32 v59, 0
	v_add_u32_e32 v58, 0xd8, v1
	v_add3_u32 v59, v1, v59, 8
	s_mov_b64 s[10:11], 0
	v_mov_b32_e32 v60, v0
.LBB89_297:                             ; =>This Inner Loop Header: Depth=1
	buffer_load_dword v62, v59, s[0:3], 0 offen
	buffer_load_dword v63, v59, s[0:3], 0 offen offset:4
	ds_read_b64 v[64:65], v58
	v_add_u32_e32 v60, 1, v60
	v_cmp_lt_u32_e32 vcc, 4, v60
	v_add_u32_e32 v58, 8, v58
	v_add_u32_e32 v59, 8, v59
	s_or_b64 s[10:11], vcc, s[10:11]
	s_waitcnt vmcnt(0) lgkmcnt(0)
	v_fmac_f64_e32 v[54:55], v[62:63], v[64:65]
	s_andn2_b64 exec, exec, s[10:11]
	s_cbranch_execnz .LBB89_297
; %bb.298:
	s_or_b64 exec, exec, s[10:11]
.LBB89_299:
	s_or_b64 exec, exec, s[8:9]
	v_mov_b32_e32 v58, 0
	ds_read_b64 v[58:59], v58 offset:48
	s_waitcnt lgkmcnt(0)
	v_mul_f64 v[54:55], v[54:55], v[58:59]
	buffer_store_dword v55, off, s[0:3], 0 offset:52
	buffer_store_dword v54, off, s[0:3], 0 offset:48
.LBB89_300:
	s_or_b64 exec, exec, s[6:7]
	buffer_load_dword v54, off, s[0:3], 0 offset:56
	buffer_load_dword v55, off, s[0:3], 0 offset:60
	v_cmp_gt_u32_e32 vcc, 7, v0
	s_waitcnt vmcnt(0)
	ds_write_b64 v56, v[54:55]
	s_waitcnt lgkmcnt(0)
	; wave barrier
	s_waitcnt lgkmcnt(0)
	s_and_saveexec_b64 s[6:7], vcc
	s_cbranch_execz .LBB89_310
; %bb.301:
	s_and_b64 vcc, exec, s[4:5]
	s_cbranch_vccnz .LBB89_303
; %bb.302:
	buffer_load_dword v54, v57, s[0:3], 0 offen
	buffer_load_dword v55, v57, s[0:3], 0 offen offset:4
	ds_read_b64 v[58:59], v56
	s_waitcnt vmcnt(0) lgkmcnt(0)
	v_mul_f64 v[54:55], v[54:55], v[58:59]
	s_cbranch_execz .LBB89_304
	s_branch .LBB89_305
.LBB89_303:
                                        ; implicit-def: $vgpr54_vgpr55
.LBB89_304:
	ds_read_b64 v[54:55], v56
.LBB89_305:
	v_cmp_ne_u32_e32 vcc, 6, v0
	s_and_saveexec_b64 s[8:9], vcc
	s_cbranch_execz .LBB89_309
; %bb.306:
	v_mov_b32_e32 v59, 0
	v_add_u32_e32 v58, 0xd8, v1
	v_add3_u32 v59, v1, v59, 8
	s_mov_b64 s[10:11], 0
	v_mov_b32_e32 v60, v0
.LBB89_307:                             ; =>This Inner Loop Header: Depth=1
	buffer_load_dword v62, v59, s[0:3], 0 offen
	buffer_load_dword v63, v59, s[0:3], 0 offen offset:4
	ds_read_b64 v[64:65], v58
	v_add_u32_e32 v60, 1, v60
	v_cmp_lt_u32_e32 vcc, 5, v60
	v_add_u32_e32 v58, 8, v58
	v_add_u32_e32 v59, 8, v59
	s_or_b64 s[10:11], vcc, s[10:11]
	s_waitcnt vmcnt(0) lgkmcnt(0)
	v_fmac_f64_e32 v[54:55], v[62:63], v[64:65]
	s_andn2_b64 exec, exec, s[10:11]
	s_cbranch_execnz .LBB89_307
; %bb.308:
	s_or_b64 exec, exec, s[10:11]
.LBB89_309:
	s_or_b64 exec, exec, s[8:9]
	v_mov_b32_e32 v58, 0
	ds_read_b64 v[58:59], v58 offset:56
	s_waitcnt lgkmcnt(0)
	v_mul_f64 v[54:55], v[54:55], v[58:59]
	buffer_store_dword v55, off, s[0:3], 0 offset:60
	buffer_store_dword v54, off, s[0:3], 0 offset:56
.LBB89_310:
	s_or_b64 exec, exec, s[6:7]
	buffer_load_dword v54, off, s[0:3], 0 offset:64
	buffer_load_dword v55, off, s[0:3], 0 offset:68
	v_cmp_gt_u32_e32 vcc, 8, v0
	s_waitcnt vmcnt(0)
	ds_write_b64 v56, v[54:55]
	s_waitcnt lgkmcnt(0)
	; wave barrier
	s_waitcnt lgkmcnt(0)
	s_and_saveexec_b64 s[6:7], vcc
	s_cbranch_execz .LBB89_320
; %bb.311:
	s_and_b64 vcc, exec, s[4:5]
	s_cbranch_vccnz .LBB89_313
; %bb.312:
	buffer_load_dword v54, v57, s[0:3], 0 offen
	buffer_load_dword v55, v57, s[0:3], 0 offen offset:4
	ds_read_b64 v[58:59], v56
	s_waitcnt vmcnt(0) lgkmcnt(0)
	v_mul_f64 v[54:55], v[54:55], v[58:59]
	s_cbranch_execz .LBB89_314
	s_branch .LBB89_315
.LBB89_313:
                                        ; implicit-def: $vgpr54_vgpr55
.LBB89_314:
	ds_read_b64 v[54:55], v56
.LBB89_315:
	v_cmp_ne_u32_e32 vcc, 7, v0
	s_and_saveexec_b64 s[8:9], vcc
	s_cbranch_execz .LBB89_319
; %bb.316:
	v_mov_b32_e32 v59, 0
	v_add_u32_e32 v58, 0xd8, v1
	v_add3_u32 v59, v1, v59, 8
	s_mov_b64 s[10:11], 0
	v_mov_b32_e32 v60, v0
.LBB89_317:                             ; =>This Inner Loop Header: Depth=1
	buffer_load_dword v62, v59, s[0:3], 0 offen
	buffer_load_dword v63, v59, s[0:3], 0 offen offset:4
	ds_read_b64 v[64:65], v58
	v_add_u32_e32 v60, 1, v60
	v_cmp_lt_u32_e32 vcc, 6, v60
	v_add_u32_e32 v58, 8, v58
	v_add_u32_e32 v59, 8, v59
	s_or_b64 s[10:11], vcc, s[10:11]
	s_waitcnt vmcnt(0) lgkmcnt(0)
	v_fmac_f64_e32 v[54:55], v[62:63], v[64:65]
	s_andn2_b64 exec, exec, s[10:11]
	s_cbranch_execnz .LBB89_317
; %bb.318:
	s_or_b64 exec, exec, s[10:11]
.LBB89_319:
	s_or_b64 exec, exec, s[8:9]
	v_mov_b32_e32 v58, 0
	ds_read_b64 v[58:59], v58 offset:64
	s_waitcnt lgkmcnt(0)
	v_mul_f64 v[54:55], v[54:55], v[58:59]
	buffer_store_dword v55, off, s[0:3], 0 offset:68
	buffer_store_dword v54, off, s[0:3], 0 offset:64
.LBB89_320:
	s_or_b64 exec, exec, s[6:7]
	buffer_load_dword v54, off, s[0:3], 0 offset:72
	buffer_load_dword v55, off, s[0:3], 0 offset:76
	v_cmp_gt_u32_e32 vcc, 9, v0
	s_waitcnt vmcnt(0)
	ds_write_b64 v56, v[54:55]
	s_waitcnt lgkmcnt(0)
	; wave barrier
	s_waitcnt lgkmcnt(0)
	s_and_saveexec_b64 s[6:7], vcc
	s_cbranch_execz .LBB89_330
; %bb.321:
	s_and_b64 vcc, exec, s[4:5]
	s_cbranch_vccnz .LBB89_323
; %bb.322:
	buffer_load_dword v54, v57, s[0:3], 0 offen
	buffer_load_dword v55, v57, s[0:3], 0 offen offset:4
	ds_read_b64 v[58:59], v56
	s_waitcnt vmcnt(0) lgkmcnt(0)
	v_mul_f64 v[54:55], v[54:55], v[58:59]
	s_cbranch_execz .LBB89_324
	s_branch .LBB89_325
.LBB89_323:
                                        ; implicit-def: $vgpr54_vgpr55
.LBB89_324:
	ds_read_b64 v[54:55], v56
.LBB89_325:
	v_cmp_ne_u32_e32 vcc, 8, v0
	s_and_saveexec_b64 s[8:9], vcc
	s_cbranch_execz .LBB89_329
; %bb.326:
	v_mov_b32_e32 v59, 0
	v_add_u32_e32 v58, 0xd8, v1
	v_add3_u32 v59, v1, v59, 8
	s_mov_b64 s[10:11], 0
	v_mov_b32_e32 v60, v0
.LBB89_327:                             ; =>This Inner Loop Header: Depth=1
	buffer_load_dword v62, v59, s[0:3], 0 offen
	buffer_load_dword v63, v59, s[0:3], 0 offen offset:4
	ds_read_b64 v[64:65], v58
	v_add_u32_e32 v60, 1, v60
	v_cmp_lt_u32_e32 vcc, 7, v60
	v_add_u32_e32 v58, 8, v58
	v_add_u32_e32 v59, 8, v59
	s_or_b64 s[10:11], vcc, s[10:11]
	s_waitcnt vmcnt(0) lgkmcnt(0)
	v_fmac_f64_e32 v[54:55], v[62:63], v[64:65]
	s_andn2_b64 exec, exec, s[10:11]
	s_cbranch_execnz .LBB89_327
; %bb.328:
	s_or_b64 exec, exec, s[10:11]
.LBB89_329:
	s_or_b64 exec, exec, s[8:9]
	v_mov_b32_e32 v58, 0
	ds_read_b64 v[58:59], v58 offset:72
	s_waitcnt lgkmcnt(0)
	v_mul_f64 v[54:55], v[54:55], v[58:59]
	buffer_store_dword v55, off, s[0:3], 0 offset:76
	buffer_store_dword v54, off, s[0:3], 0 offset:72
.LBB89_330:
	s_or_b64 exec, exec, s[6:7]
	buffer_load_dword v54, off, s[0:3], 0 offset:80
	buffer_load_dword v55, off, s[0:3], 0 offset:84
	v_cmp_gt_u32_e32 vcc, 10, v0
	s_waitcnt vmcnt(0)
	ds_write_b64 v56, v[54:55]
	s_waitcnt lgkmcnt(0)
	; wave barrier
	s_waitcnt lgkmcnt(0)
	s_and_saveexec_b64 s[6:7], vcc
	s_cbranch_execz .LBB89_340
; %bb.331:
	s_and_b64 vcc, exec, s[4:5]
	s_cbranch_vccnz .LBB89_333
; %bb.332:
	buffer_load_dword v54, v57, s[0:3], 0 offen
	buffer_load_dword v55, v57, s[0:3], 0 offen offset:4
	ds_read_b64 v[58:59], v56
	s_waitcnt vmcnt(0) lgkmcnt(0)
	v_mul_f64 v[54:55], v[54:55], v[58:59]
	s_cbranch_execz .LBB89_334
	s_branch .LBB89_335
.LBB89_333:
                                        ; implicit-def: $vgpr54_vgpr55
.LBB89_334:
	ds_read_b64 v[54:55], v56
.LBB89_335:
	v_cmp_ne_u32_e32 vcc, 9, v0
	s_and_saveexec_b64 s[8:9], vcc
	s_cbranch_execz .LBB89_339
; %bb.336:
	v_mov_b32_e32 v59, 0
	v_add_u32_e32 v58, 0xd8, v1
	v_add3_u32 v59, v1, v59, 8
	s_mov_b64 s[10:11], 0
	v_mov_b32_e32 v60, v0
.LBB89_337:                             ; =>This Inner Loop Header: Depth=1
	buffer_load_dword v62, v59, s[0:3], 0 offen
	buffer_load_dword v63, v59, s[0:3], 0 offen offset:4
	ds_read_b64 v[64:65], v58
	v_add_u32_e32 v60, 1, v60
	v_cmp_lt_u32_e32 vcc, 8, v60
	v_add_u32_e32 v58, 8, v58
	v_add_u32_e32 v59, 8, v59
	s_or_b64 s[10:11], vcc, s[10:11]
	s_waitcnt vmcnt(0) lgkmcnt(0)
	v_fmac_f64_e32 v[54:55], v[62:63], v[64:65]
	s_andn2_b64 exec, exec, s[10:11]
	s_cbranch_execnz .LBB89_337
; %bb.338:
	s_or_b64 exec, exec, s[10:11]
.LBB89_339:
	s_or_b64 exec, exec, s[8:9]
	v_mov_b32_e32 v58, 0
	ds_read_b64 v[58:59], v58 offset:80
	s_waitcnt lgkmcnt(0)
	v_mul_f64 v[54:55], v[54:55], v[58:59]
	buffer_store_dword v55, off, s[0:3], 0 offset:84
	buffer_store_dword v54, off, s[0:3], 0 offset:80
.LBB89_340:
	s_or_b64 exec, exec, s[6:7]
	buffer_load_dword v54, off, s[0:3], 0 offset:88
	buffer_load_dword v55, off, s[0:3], 0 offset:92
	v_cmp_gt_u32_e32 vcc, 11, v0
	s_waitcnt vmcnt(0)
	ds_write_b64 v56, v[54:55]
	s_waitcnt lgkmcnt(0)
	; wave barrier
	s_waitcnt lgkmcnt(0)
	s_and_saveexec_b64 s[6:7], vcc
	s_cbranch_execz .LBB89_350
; %bb.341:
	s_and_b64 vcc, exec, s[4:5]
	s_cbranch_vccnz .LBB89_343
; %bb.342:
	buffer_load_dword v54, v57, s[0:3], 0 offen
	buffer_load_dword v55, v57, s[0:3], 0 offen offset:4
	ds_read_b64 v[58:59], v56
	s_waitcnt vmcnt(0) lgkmcnt(0)
	v_mul_f64 v[54:55], v[54:55], v[58:59]
	s_cbranch_execz .LBB89_344
	s_branch .LBB89_345
.LBB89_343:
                                        ; implicit-def: $vgpr54_vgpr55
.LBB89_344:
	ds_read_b64 v[54:55], v56
.LBB89_345:
	v_cmp_ne_u32_e32 vcc, 10, v0
	s_and_saveexec_b64 s[8:9], vcc
	s_cbranch_execz .LBB89_349
; %bb.346:
	v_mov_b32_e32 v59, 0
	v_add_u32_e32 v58, 0xd8, v1
	v_add3_u32 v59, v1, v59, 8
	s_mov_b64 s[10:11], 0
	v_mov_b32_e32 v60, v0
.LBB89_347:                             ; =>This Inner Loop Header: Depth=1
	buffer_load_dword v62, v59, s[0:3], 0 offen
	buffer_load_dword v63, v59, s[0:3], 0 offen offset:4
	ds_read_b64 v[64:65], v58
	v_add_u32_e32 v60, 1, v60
	v_cmp_lt_u32_e32 vcc, 9, v60
	v_add_u32_e32 v58, 8, v58
	v_add_u32_e32 v59, 8, v59
	s_or_b64 s[10:11], vcc, s[10:11]
	s_waitcnt vmcnt(0) lgkmcnt(0)
	v_fmac_f64_e32 v[54:55], v[62:63], v[64:65]
	s_andn2_b64 exec, exec, s[10:11]
	s_cbranch_execnz .LBB89_347
; %bb.348:
	s_or_b64 exec, exec, s[10:11]
.LBB89_349:
	s_or_b64 exec, exec, s[8:9]
	v_mov_b32_e32 v58, 0
	ds_read_b64 v[58:59], v58 offset:88
	s_waitcnt lgkmcnt(0)
	v_mul_f64 v[54:55], v[54:55], v[58:59]
	buffer_store_dword v55, off, s[0:3], 0 offset:92
	buffer_store_dword v54, off, s[0:3], 0 offset:88
.LBB89_350:
	s_or_b64 exec, exec, s[6:7]
	buffer_load_dword v54, off, s[0:3], 0 offset:96
	buffer_load_dword v55, off, s[0:3], 0 offset:100
	v_cmp_gt_u32_e32 vcc, 12, v0
	s_waitcnt vmcnt(0)
	ds_write_b64 v56, v[54:55]
	s_waitcnt lgkmcnt(0)
	; wave barrier
	s_waitcnt lgkmcnt(0)
	s_and_saveexec_b64 s[6:7], vcc
	s_cbranch_execz .LBB89_360
; %bb.351:
	s_and_b64 vcc, exec, s[4:5]
	s_cbranch_vccnz .LBB89_353
; %bb.352:
	buffer_load_dword v54, v57, s[0:3], 0 offen
	buffer_load_dword v55, v57, s[0:3], 0 offen offset:4
	ds_read_b64 v[58:59], v56
	s_waitcnt vmcnt(0) lgkmcnt(0)
	v_mul_f64 v[54:55], v[54:55], v[58:59]
	s_cbranch_execz .LBB89_354
	s_branch .LBB89_355
.LBB89_353:
                                        ; implicit-def: $vgpr54_vgpr55
.LBB89_354:
	ds_read_b64 v[54:55], v56
.LBB89_355:
	v_cmp_ne_u32_e32 vcc, 11, v0
	s_and_saveexec_b64 s[8:9], vcc
	s_cbranch_execz .LBB89_359
; %bb.356:
	v_mov_b32_e32 v59, 0
	v_add_u32_e32 v58, 0xd8, v1
	v_add3_u32 v59, v1, v59, 8
	s_mov_b64 s[10:11], 0
	v_mov_b32_e32 v60, v0
.LBB89_357:                             ; =>This Inner Loop Header: Depth=1
	buffer_load_dword v62, v59, s[0:3], 0 offen
	buffer_load_dword v63, v59, s[0:3], 0 offen offset:4
	ds_read_b64 v[64:65], v58
	v_add_u32_e32 v60, 1, v60
	v_cmp_lt_u32_e32 vcc, 10, v60
	v_add_u32_e32 v58, 8, v58
	v_add_u32_e32 v59, 8, v59
	s_or_b64 s[10:11], vcc, s[10:11]
	s_waitcnt vmcnt(0) lgkmcnt(0)
	v_fmac_f64_e32 v[54:55], v[62:63], v[64:65]
	s_andn2_b64 exec, exec, s[10:11]
	s_cbranch_execnz .LBB89_357
; %bb.358:
	s_or_b64 exec, exec, s[10:11]
.LBB89_359:
	s_or_b64 exec, exec, s[8:9]
	v_mov_b32_e32 v58, 0
	ds_read_b64 v[58:59], v58 offset:96
	s_waitcnt lgkmcnt(0)
	v_mul_f64 v[54:55], v[54:55], v[58:59]
	buffer_store_dword v55, off, s[0:3], 0 offset:100
	buffer_store_dword v54, off, s[0:3], 0 offset:96
.LBB89_360:
	s_or_b64 exec, exec, s[6:7]
	buffer_load_dword v54, off, s[0:3], 0 offset:104
	buffer_load_dword v55, off, s[0:3], 0 offset:108
	v_cmp_gt_u32_e32 vcc, 13, v0
	s_waitcnt vmcnt(0)
	ds_write_b64 v56, v[54:55]
	s_waitcnt lgkmcnt(0)
	; wave barrier
	s_waitcnt lgkmcnt(0)
	s_and_saveexec_b64 s[6:7], vcc
	s_cbranch_execz .LBB89_370
; %bb.361:
	s_and_b64 vcc, exec, s[4:5]
	s_cbranch_vccnz .LBB89_363
; %bb.362:
	buffer_load_dword v54, v57, s[0:3], 0 offen
	buffer_load_dword v55, v57, s[0:3], 0 offen offset:4
	ds_read_b64 v[58:59], v56
	s_waitcnt vmcnt(0) lgkmcnt(0)
	v_mul_f64 v[54:55], v[54:55], v[58:59]
	s_cbranch_execz .LBB89_364
	s_branch .LBB89_365
.LBB89_363:
                                        ; implicit-def: $vgpr54_vgpr55
.LBB89_364:
	ds_read_b64 v[54:55], v56
.LBB89_365:
	v_cmp_ne_u32_e32 vcc, 12, v0
	s_and_saveexec_b64 s[8:9], vcc
	s_cbranch_execz .LBB89_369
; %bb.366:
	v_mov_b32_e32 v59, 0
	v_add_u32_e32 v58, 0xd8, v1
	v_add3_u32 v59, v1, v59, 8
	s_mov_b64 s[10:11], 0
	v_mov_b32_e32 v60, v0
.LBB89_367:                             ; =>This Inner Loop Header: Depth=1
	buffer_load_dword v62, v59, s[0:3], 0 offen
	buffer_load_dword v63, v59, s[0:3], 0 offen offset:4
	ds_read_b64 v[64:65], v58
	v_add_u32_e32 v60, 1, v60
	v_cmp_lt_u32_e32 vcc, 11, v60
	v_add_u32_e32 v58, 8, v58
	v_add_u32_e32 v59, 8, v59
	s_or_b64 s[10:11], vcc, s[10:11]
	s_waitcnt vmcnt(0) lgkmcnt(0)
	v_fmac_f64_e32 v[54:55], v[62:63], v[64:65]
	s_andn2_b64 exec, exec, s[10:11]
	s_cbranch_execnz .LBB89_367
; %bb.368:
	s_or_b64 exec, exec, s[10:11]
.LBB89_369:
	s_or_b64 exec, exec, s[8:9]
	v_mov_b32_e32 v58, 0
	ds_read_b64 v[58:59], v58 offset:104
	s_waitcnt lgkmcnt(0)
	v_mul_f64 v[54:55], v[54:55], v[58:59]
	buffer_store_dword v55, off, s[0:3], 0 offset:108
	buffer_store_dword v54, off, s[0:3], 0 offset:104
.LBB89_370:
	s_or_b64 exec, exec, s[6:7]
	buffer_load_dword v54, off, s[0:3], 0 offset:112
	buffer_load_dword v55, off, s[0:3], 0 offset:116
	v_cmp_gt_u32_e32 vcc, 14, v0
	s_waitcnt vmcnt(0)
	ds_write_b64 v56, v[54:55]
	s_waitcnt lgkmcnt(0)
	; wave barrier
	s_waitcnt lgkmcnt(0)
	s_and_saveexec_b64 s[6:7], vcc
	s_cbranch_execz .LBB89_380
; %bb.371:
	s_and_b64 vcc, exec, s[4:5]
	s_cbranch_vccnz .LBB89_373
; %bb.372:
	buffer_load_dword v54, v57, s[0:3], 0 offen
	buffer_load_dword v55, v57, s[0:3], 0 offen offset:4
	ds_read_b64 v[58:59], v56
	s_waitcnt vmcnt(0) lgkmcnt(0)
	v_mul_f64 v[54:55], v[54:55], v[58:59]
	s_cbranch_execz .LBB89_374
	s_branch .LBB89_375
.LBB89_373:
                                        ; implicit-def: $vgpr54_vgpr55
.LBB89_374:
	ds_read_b64 v[54:55], v56
.LBB89_375:
	v_cmp_ne_u32_e32 vcc, 13, v0
	s_and_saveexec_b64 s[8:9], vcc
	s_cbranch_execz .LBB89_379
; %bb.376:
	v_mov_b32_e32 v59, 0
	v_add_u32_e32 v58, 0xd8, v1
	v_add3_u32 v59, v1, v59, 8
	s_mov_b64 s[10:11], 0
	v_mov_b32_e32 v60, v0
.LBB89_377:                             ; =>This Inner Loop Header: Depth=1
	buffer_load_dword v62, v59, s[0:3], 0 offen
	buffer_load_dword v63, v59, s[0:3], 0 offen offset:4
	ds_read_b64 v[64:65], v58
	v_add_u32_e32 v60, 1, v60
	v_cmp_lt_u32_e32 vcc, 12, v60
	v_add_u32_e32 v58, 8, v58
	v_add_u32_e32 v59, 8, v59
	s_or_b64 s[10:11], vcc, s[10:11]
	s_waitcnt vmcnt(0) lgkmcnt(0)
	v_fmac_f64_e32 v[54:55], v[62:63], v[64:65]
	s_andn2_b64 exec, exec, s[10:11]
	s_cbranch_execnz .LBB89_377
; %bb.378:
	s_or_b64 exec, exec, s[10:11]
.LBB89_379:
	s_or_b64 exec, exec, s[8:9]
	v_mov_b32_e32 v58, 0
	ds_read_b64 v[58:59], v58 offset:112
	s_waitcnt lgkmcnt(0)
	v_mul_f64 v[54:55], v[54:55], v[58:59]
	buffer_store_dword v55, off, s[0:3], 0 offset:116
	buffer_store_dword v54, off, s[0:3], 0 offset:112
.LBB89_380:
	s_or_b64 exec, exec, s[6:7]
	buffer_load_dword v54, off, s[0:3], 0 offset:120
	buffer_load_dword v55, off, s[0:3], 0 offset:124
	v_cmp_gt_u32_e32 vcc, 15, v0
	s_waitcnt vmcnt(0)
	ds_write_b64 v56, v[54:55]
	s_waitcnt lgkmcnt(0)
	; wave barrier
	s_waitcnt lgkmcnt(0)
	s_and_saveexec_b64 s[6:7], vcc
	s_cbranch_execz .LBB89_390
; %bb.381:
	s_and_b64 vcc, exec, s[4:5]
	s_cbranch_vccnz .LBB89_383
; %bb.382:
	buffer_load_dword v54, v57, s[0:3], 0 offen
	buffer_load_dword v55, v57, s[0:3], 0 offen offset:4
	ds_read_b64 v[58:59], v56
	s_waitcnt vmcnt(0) lgkmcnt(0)
	v_mul_f64 v[54:55], v[54:55], v[58:59]
	s_cbranch_execz .LBB89_384
	s_branch .LBB89_385
.LBB89_383:
                                        ; implicit-def: $vgpr54_vgpr55
.LBB89_384:
	ds_read_b64 v[54:55], v56
.LBB89_385:
	v_cmp_ne_u32_e32 vcc, 14, v0
	s_and_saveexec_b64 s[8:9], vcc
	s_cbranch_execz .LBB89_389
; %bb.386:
	v_mov_b32_e32 v59, 0
	v_add_u32_e32 v58, 0xd8, v1
	v_add3_u32 v59, v1, v59, 8
	s_mov_b64 s[10:11], 0
	v_mov_b32_e32 v60, v0
.LBB89_387:                             ; =>This Inner Loop Header: Depth=1
	buffer_load_dword v62, v59, s[0:3], 0 offen
	buffer_load_dword v63, v59, s[0:3], 0 offen offset:4
	ds_read_b64 v[64:65], v58
	v_add_u32_e32 v60, 1, v60
	v_cmp_lt_u32_e32 vcc, 13, v60
	v_add_u32_e32 v58, 8, v58
	v_add_u32_e32 v59, 8, v59
	s_or_b64 s[10:11], vcc, s[10:11]
	s_waitcnt vmcnt(0) lgkmcnt(0)
	v_fmac_f64_e32 v[54:55], v[62:63], v[64:65]
	s_andn2_b64 exec, exec, s[10:11]
	s_cbranch_execnz .LBB89_387
; %bb.388:
	s_or_b64 exec, exec, s[10:11]
.LBB89_389:
	s_or_b64 exec, exec, s[8:9]
	v_mov_b32_e32 v58, 0
	ds_read_b64 v[58:59], v58 offset:120
	s_waitcnt lgkmcnt(0)
	v_mul_f64 v[54:55], v[54:55], v[58:59]
	buffer_store_dword v55, off, s[0:3], 0 offset:124
	buffer_store_dword v54, off, s[0:3], 0 offset:120
.LBB89_390:
	s_or_b64 exec, exec, s[6:7]
	buffer_load_dword v54, off, s[0:3], 0 offset:128
	buffer_load_dword v55, off, s[0:3], 0 offset:132
	v_cmp_gt_u32_e32 vcc, 16, v0
	s_waitcnt vmcnt(0)
	ds_write_b64 v56, v[54:55]
	s_waitcnt lgkmcnt(0)
	; wave barrier
	s_waitcnt lgkmcnt(0)
	s_and_saveexec_b64 s[6:7], vcc
	s_cbranch_execz .LBB89_400
; %bb.391:
	s_and_b64 vcc, exec, s[4:5]
	s_cbranch_vccnz .LBB89_393
; %bb.392:
	buffer_load_dword v54, v57, s[0:3], 0 offen
	buffer_load_dword v55, v57, s[0:3], 0 offen offset:4
	ds_read_b64 v[58:59], v56
	s_waitcnt vmcnt(0) lgkmcnt(0)
	v_mul_f64 v[54:55], v[54:55], v[58:59]
	s_cbranch_execz .LBB89_394
	s_branch .LBB89_395
.LBB89_393:
                                        ; implicit-def: $vgpr54_vgpr55
.LBB89_394:
	ds_read_b64 v[54:55], v56
.LBB89_395:
	v_cmp_ne_u32_e32 vcc, 15, v0
	s_and_saveexec_b64 s[8:9], vcc
	s_cbranch_execz .LBB89_399
; %bb.396:
	v_mov_b32_e32 v59, 0
	v_add_u32_e32 v58, 0xd8, v1
	v_add3_u32 v59, v1, v59, 8
	s_mov_b64 s[10:11], 0
	v_mov_b32_e32 v60, v0
.LBB89_397:                             ; =>This Inner Loop Header: Depth=1
	buffer_load_dword v62, v59, s[0:3], 0 offen
	buffer_load_dword v63, v59, s[0:3], 0 offen offset:4
	ds_read_b64 v[64:65], v58
	v_add_u32_e32 v60, 1, v60
	v_cmp_lt_u32_e32 vcc, 14, v60
	v_add_u32_e32 v58, 8, v58
	v_add_u32_e32 v59, 8, v59
	s_or_b64 s[10:11], vcc, s[10:11]
	s_waitcnt vmcnt(0) lgkmcnt(0)
	v_fmac_f64_e32 v[54:55], v[62:63], v[64:65]
	s_andn2_b64 exec, exec, s[10:11]
	s_cbranch_execnz .LBB89_397
; %bb.398:
	s_or_b64 exec, exec, s[10:11]
.LBB89_399:
	s_or_b64 exec, exec, s[8:9]
	v_mov_b32_e32 v58, 0
	ds_read_b64 v[58:59], v58 offset:128
	s_waitcnt lgkmcnt(0)
	v_mul_f64 v[54:55], v[54:55], v[58:59]
	buffer_store_dword v55, off, s[0:3], 0 offset:132
	buffer_store_dword v54, off, s[0:3], 0 offset:128
.LBB89_400:
	s_or_b64 exec, exec, s[6:7]
	buffer_load_dword v54, off, s[0:3], 0 offset:136
	buffer_load_dword v55, off, s[0:3], 0 offset:140
	v_cmp_gt_u32_e32 vcc, 17, v0
	s_waitcnt vmcnt(0)
	ds_write_b64 v56, v[54:55]
	s_waitcnt lgkmcnt(0)
	; wave barrier
	s_waitcnt lgkmcnt(0)
	s_and_saveexec_b64 s[6:7], vcc
	s_cbranch_execz .LBB89_410
; %bb.401:
	s_and_b64 vcc, exec, s[4:5]
	s_cbranch_vccnz .LBB89_403
; %bb.402:
	buffer_load_dword v54, v57, s[0:3], 0 offen
	buffer_load_dword v55, v57, s[0:3], 0 offen offset:4
	ds_read_b64 v[58:59], v56
	s_waitcnt vmcnt(0) lgkmcnt(0)
	v_mul_f64 v[54:55], v[54:55], v[58:59]
	s_cbranch_execz .LBB89_404
	s_branch .LBB89_405
.LBB89_403:
                                        ; implicit-def: $vgpr54_vgpr55
.LBB89_404:
	ds_read_b64 v[54:55], v56
.LBB89_405:
	v_cmp_ne_u32_e32 vcc, 16, v0
	s_and_saveexec_b64 s[8:9], vcc
	s_cbranch_execz .LBB89_409
; %bb.406:
	v_mov_b32_e32 v59, 0
	v_add_u32_e32 v58, 0xd8, v1
	v_add3_u32 v59, v1, v59, 8
	s_mov_b64 s[10:11], 0
	v_mov_b32_e32 v60, v0
.LBB89_407:                             ; =>This Inner Loop Header: Depth=1
	buffer_load_dword v62, v59, s[0:3], 0 offen
	buffer_load_dword v63, v59, s[0:3], 0 offen offset:4
	ds_read_b64 v[64:65], v58
	v_add_u32_e32 v60, 1, v60
	v_cmp_lt_u32_e32 vcc, 15, v60
	v_add_u32_e32 v58, 8, v58
	v_add_u32_e32 v59, 8, v59
	s_or_b64 s[10:11], vcc, s[10:11]
	s_waitcnt vmcnt(0) lgkmcnt(0)
	v_fmac_f64_e32 v[54:55], v[62:63], v[64:65]
	s_andn2_b64 exec, exec, s[10:11]
	s_cbranch_execnz .LBB89_407
; %bb.408:
	s_or_b64 exec, exec, s[10:11]
.LBB89_409:
	s_or_b64 exec, exec, s[8:9]
	v_mov_b32_e32 v58, 0
	ds_read_b64 v[58:59], v58 offset:136
	s_waitcnt lgkmcnt(0)
	v_mul_f64 v[54:55], v[54:55], v[58:59]
	buffer_store_dword v55, off, s[0:3], 0 offset:140
	buffer_store_dword v54, off, s[0:3], 0 offset:136
.LBB89_410:
	s_or_b64 exec, exec, s[6:7]
	buffer_load_dword v54, off, s[0:3], 0 offset:144
	buffer_load_dword v55, off, s[0:3], 0 offset:148
	v_cmp_gt_u32_e32 vcc, 18, v0
	s_waitcnt vmcnt(0)
	ds_write_b64 v56, v[54:55]
	s_waitcnt lgkmcnt(0)
	; wave barrier
	s_waitcnt lgkmcnt(0)
	s_and_saveexec_b64 s[6:7], vcc
	s_cbranch_execz .LBB89_420
; %bb.411:
	s_and_b64 vcc, exec, s[4:5]
	s_cbranch_vccnz .LBB89_413
; %bb.412:
	buffer_load_dword v54, v57, s[0:3], 0 offen
	buffer_load_dword v55, v57, s[0:3], 0 offen offset:4
	ds_read_b64 v[58:59], v56
	s_waitcnt vmcnt(0) lgkmcnt(0)
	v_mul_f64 v[54:55], v[54:55], v[58:59]
	s_cbranch_execz .LBB89_414
	s_branch .LBB89_415
.LBB89_413:
                                        ; implicit-def: $vgpr54_vgpr55
.LBB89_414:
	ds_read_b64 v[54:55], v56
.LBB89_415:
	v_cmp_ne_u32_e32 vcc, 17, v0
	s_and_saveexec_b64 s[8:9], vcc
	s_cbranch_execz .LBB89_419
; %bb.416:
	v_mov_b32_e32 v59, 0
	v_add_u32_e32 v58, 0xd8, v1
	v_add3_u32 v59, v1, v59, 8
	s_mov_b64 s[10:11], 0
	v_mov_b32_e32 v60, v0
.LBB89_417:                             ; =>This Inner Loop Header: Depth=1
	buffer_load_dword v62, v59, s[0:3], 0 offen
	buffer_load_dword v63, v59, s[0:3], 0 offen offset:4
	ds_read_b64 v[64:65], v58
	v_add_u32_e32 v60, 1, v60
	v_cmp_lt_u32_e32 vcc, 16, v60
	v_add_u32_e32 v58, 8, v58
	v_add_u32_e32 v59, 8, v59
	s_or_b64 s[10:11], vcc, s[10:11]
	s_waitcnt vmcnt(0) lgkmcnt(0)
	v_fmac_f64_e32 v[54:55], v[62:63], v[64:65]
	s_andn2_b64 exec, exec, s[10:11]
	s_cbranch_execnz .LBB89_417
; %bb.418:
	s_or_b64 exec, exec, s[10:11]
.LBB89_419:
	s_or_b64 exec, exec, s[8:9]
	v_mov_b32_e32 v58, 0
	ds_read_b64 v[58:59], v58 offset:144
	s_waitcnt lgkmcnt(0)
	v_mul_f64 v[54:55], v[54:55], v[58:59]
	buffer_store_dword v55, off, s[0:3], 0 offset:148
	buffer_store_dword v54, off, s[0:3], 0 offset:144
.LBB89_420:
	s_or_b64 exec, exec, s[6:7]
	buffer_load_dword v54, off, s[0:3], 0 offset:152
	buffer_load_dword v55, off, s[0:3], 0 offset:156
	v_cmp_gt_u32_e32 vcc, 19, v0
	s_waitcnt vmcnt(0)
	ds_write_b64 v56, v[54:55]
	s_waitcnt lgkmcnt(0)
	; wave barrier
	s_waitcnt lgkmcnt(0)
	s_and_saveexec_b64 s[6:7], vcc
	s_cbranch_execz .LBB89_430
; %bb.421:
	s_and_b64 vcc, exec, s[4:5]
	s_cbranch_vccnz .LBB89_423
; %bb.422:
	buffer_load_dword v54, v57, s[0:3], 0 offen
	buffer_load_dword v55, v57, s[0:3], 0 offen offset:4
	ds_read_b64 v[58:59], v56
	s_waitcnt vmcnt(0) lgkmcnt(0)
	v_mul_f64 v[54:55], v[54:55], v[58:59]
	s_cbranch_execz .LBB89_424
	s_branch .LBB89_425
.LBB89_423:
                                        ; implicit-def: $vgpr54_vgpr55
.LBB89_424:
	ds_read_b64 v[54:55], v56
.LBB89_425:
	v_cmp_ne_u32_e32 vcc, 18, v0
	s_and_saveexec_b64 s[8:9], vcc
	s_cbranch_execz .LBB89_429
; %bb.426:
	v_mov_b32_e32 v59, 0
	v_add_u32_e32 v58, 0xd8, v1
	v_add3_u32 v59, v1, v59, 8
	s_mov_b64 s[10:11], 0
	v_mov_b32_e32 v60, v0
.LBB89_427:                             ; =>This Inner Loop Header: Depth=1
	buffer_load_dword v62, v59, s[0:3], 0 offen
	buffer_load_dword v63, v59, s[0:3], 0 offen offset:4
	ds_read_b64 v[64:65], v58
	v_add_u32_e32 v60, 1, v60
	v_cmp_lt_u32_e32 vcc, 17, v60
	v_add_u32_e32 v58, 8, v58
	v_add_u32_e32 v59, 8, v59
	s_or_b64 s[10:11], vcc, s[10:11]
	s_waitcnt vmcnt(0) lgkmcnt(0)
	v_fmac_f64_e32 v[54:55], v[62:63], v[64:65]
	s_andn2_b64 exec, exec, s[10:11]
	s_cbranch_execnz .LBB89_427
; %bb.428:
	s_or_b64 exec, exec, s[10:11]
.LBB89_429:
	s_or_b64 exec, exec, s[8:9]
	v_mov_b32_e32 v58, 0
	ds_read_b64 v[58:59], v58 offset:152
	s_waitcnt lgkmcnt(0)
	v_mul_f64 v[54:55], v[54:55], v[58:59]
	buffer_store_dword v55, off, s[0:3], 0 offset:156
	buffer_store_dword v54, off, s[0:3], 0 offset:152
.LBB89_430:
	s_or_b64 exec, exec, s[6:7]
	buffer_load_dword v54, off, s[0:3], 0 offset:160
	buffer_load_dword v55, off, s[0:3], 0 offset:164
	v_cmp_gt_u32_e32 vcc, 20, v0
	s_waitcnt vmcnt(0)
	ds_write_b64 v56, v[54:55]
	s_waitcnt lgkmcnt(0)
	; wave barrier
	s_waitcnt lgkmcnt(0)
	s_and_saveexec_b64 s[6:7], vcc
	s_cbranch_execz .LBB89_440
; %bb.431:
	s_and_b64 vcc, exec, s[4:5]
	s_cbranch_vccnz .LBB89_433
; %bb.432:
	buffer_load_dword v54, v57, s[0:3], 0 offen
	buffer_load_dword v55, v57, s[0:3], 0 offen offset:4
	ds_read_b64 v[58:59], v56
	s_waitcnt vmcnt(0) lgkmcnt(0)
	v_mul_f64 v[54:55], v[54:55], v[58:59]
	s_cbranch_execz .LBB89_434
	s_branch .LBB89_435
.LBB89_433:
                                        ; implicit-def: $vgpr54_vgpr55
.LBB89_434:
	ds_read_b64 v[54:55], v56
.LBB89_435:
	v_cmp_ne_u32_e32 vcc, 19, v0
	s_and_saveexec_b64 s[8:9], vcc
	s_cbranch_execz .LBB89_439
; %bb.436:
	v_mov_b32_e32 v59, 0
	v_add_u32_e32 v58, 0xd8, v1
	v_add3_u32 v59, v1, v59, 8
	s_mov_b64 s[10:11], 0
	v_mov_b32_e32 v60, v0
.LBB89_437:                             ; =>This Inner Loop Header: Depth=1
	buffer_load_dword v62, v59, s[0:3], 0 offen
	buffer_load_dword v63, v59, s[0:3], 0 offen offset:4
	ds_read_b64 v[64:65], v58
	v_add_u32_e32 v60, 1, v60
	v_cmp_lt_u32_e32 vcc, 18, v60
	v_add_u32_e32 v58, 8, v58
	v_add_u32_e32 v59, 8, v59
	s_or_b64 s[10:11], vcc, s[10:11]
	s_waitcnt vmcnt(0) lgkmcnt(0)
	v_fmac_f64_e32 v[54:55], v[62:63], v[64:65]
	s_andn2_b64 exec, exec, s[10:11]
	s_cbranch_execnz .LBB89_437
; %bb.438:
	s_or_b64 exec, exec, s[10:11]
.LBB89_439:
	s_or_b64 exec, exec, s[8:9]
	v_mov_b32_e32 v58, 0
	ds_read_b64 v[58:59], v58 offset:160
	s_waitcnt lgkmcnt(0)
	v_mul_f64 v[54:55], v[54:55], v[58:59]
	buffer_store_dword v55, off, s[0:3], 0 offset:164
	buffer_store_dword v54, off, s[0:3], 0 offset:160
.LBB89_440:
	s_or_b64 exec, exec, s[6:7]
	buffer_load_dword v54, off, s[0:3], 0 offset:168
	buffer_load_dword v55, off, s[0:3], 0 offset:172
	v_cmp_gt_u32_e32 vcc, 21, v0
	s_waitcnt vmcnt(0)
	ds_write_b64 v56, v[54:55]
	s_waitcnt lgkmcnt(0)
	; wave barrier
	s_waitcnt lgkmcnt(0)
	s_and_saveexec_b64 s[6:7], vcc
	s_cbranch_execz .LBB89_450
; %bb.441:
	s_and_b64 vcc, exec, s[4:5]
	s_cbranch_vccnz .LBB89_443
; %bb.442:
	buffer_load_dword v54, v57, s[0:3], 0 offen
	buffer_load_dword v55, v57, s[0:3], 0 offen offset:4
	ds_read_b64 v[58:59], v56
	s_waitcnt vmcnt(0) lgkmcnt(0)
	v_mul_f64 v[54:55], v[54:55], v[58:59]
	s_cbranch_execz .LBB89_444
	s_branch .LBB89_445
.LBB89_443:
                                        ; implicit-def: $vgpr54_vgpr55
.LBB89_444:
	ds_read_b64 v[54:55], v56
.LBB89_445:
	v_cmp_ne_u32_e32 vcc, 20, v0
	s_and_saveexec_b64 s[8:9], vcc
	s_cbranch_execz .LBB89_449
; %bb.446:
	v_mov_b32_e32 v59, 0
	v_add_u32_e32 v58, 0xd8, v1
	v_add3_u32 v59, v1, v59, 8
	s_mov_b64 s[10:11], 0
	v_mov_b32_e32 v60, v0
.LBB89_447:                             ; =>This Inner Loop Header: Depth=1
	buffer_load_dword v62, v59, s[0:3], 0 offen
	buffer_load_dword v63, v59, s[0:3], 0 offen offset:4
	ds_read_b64 v[64:65], v58
	v_add_u32_e32 v60, 1, v60
	v_cmp_lt_u32_e32 vcc, 19, v60
	v_add_u32_e32 v58, 8, v58
	v_add_u32_e32 v59, 8, v59
	s_or_b64 s[10:11], vcc, s[10:11]
	s_waitcnt vmcnt(0) lgkmcnt(0)
	v_fmac_f64_e32 v[54:55], v[62:63], v[64:65]
	s_andn2_b64 exec, exec, s[10:11]
	s_cbranch_execnz .LBB89_447
; %bb.448:
	s_or_b64 exec, exec, s[10:11]
.LBB89_449:
	s_or_b64 exec, exec, s[8:9]
	v_mov_b32_e32 v58, 0
	ds_read_b64 v[58:59], v58 offset:168
	s_waitcnt lgkmcnt(0)
	v_mul_f64 v[54:55], v[54:55], v[58:59]
	buffer_store_dword v55, off, s[0:3], 0 offset:172
	buffer_store_dword v54, off, s[0:3], 0 offset:168
.LBB89_450:
	s_or_b64 exec, exec, s[6:7]
	buffer_load_dword v54, off, s[0:3], 0 offset:176
	buffer_load_dword v55, off, s[0:3], 0 offset:180
	v_cmp_gt_u32_e32 vcc, 22, v0
	s_waitcnt vmcnt(0)
	ds_write_b64 v56, v[54:55]
	s_waitcnt lgkmcnt(0)
	; wave barrier
	s_waitcnt lgkmcnt(0)
	s_and_saveexec_b64 s[6:7], vcc
	s_cbranch_execz .LBB89_460
; %bb.451:
	s_and_b64 vcc, exec, s[4:5]
	s_cbranch_vccnz .LBB89_453
; %bb.452:
	buffer_load_dword v54, v57, s[0:3], 0 offen
	buffer_load_dword v55, v57, s[0:3], 0 offen offset:4
	ds_read_b64 v[58:59], v56
	s_waitcnt vmcnt(0) lgkmcnt(0)
	v_mul_f64 v[54:55], v[54:55], v[58:59]
	s_cbranch_execz .LBB89_454
	s_branch .LBB89_455
.LBB89_453:
                                        ; implicit-def: $vgpr54_vgpr55
.LBB89_454:
	ds_read_b64 v[54:55], v56
.LBB89_455:
	v_cmp_ne_u32_e32 vcc, 21, v0
	s_and_saveexec_b64 s[8:9], vcc
	s_cbranch_execz .LBB89_459
; %bb.456:
	v_mov_b32_e32 v59, 0
	v_add_u32_e32 v58, 0xd8, v1
	v_add3_u32 v59, v1, v59, 8
	s_mov_b64 s[10:11], 0
	v_mov_b32_e32 v60, v0
.LBB89_457:                             ; =>This Inner Loop Header: Depth=1
	buffer_load_dword v62, v59, s[0:3], 0 offen
	buffer_load_dword v63, v59, s[0:3], 0 offen offset:4
	ds_read_b64 v[64:65], v58
	v_add_u32_e32 v60, 1, v60
	v_cmp_lt_u32_e32 vcc, 20, v60
	v_add_u32_e32 v58, 8, v58
	v_add_u32_e32 v59, 8, v59
	s_or_b64 s[10:11], vcc, s[10:11]
	s_waitcnt vmcnt(0) lgkmcnt(0)
	v_fmac_f64_e32 v[54:55], v[62:63], v[64:65]
	s_andn2_b64 exec, exec, s[10:11]
	s_cbranch_execnz .LBB89_457
; %bb.458:
	s_or_b64 exec, exec, s[10:11]
.LBB89_459:
	s_or_b64 exec, exec, s[8:9]
	v_mov_b32_e32 v58, 0
	ds_read_b64 v[58:59], v58 offset:176
	s_waitcnt lgkmcnt(0)
	v_mul_f64 v[54:55], v[54:55], v[58:59]
	buffer_store_dword v55, off, s[0:3], 0 offset:180
	buffer_store_dword v54, off, s[0:3], 0 offset:176
.LBB89_460:
	s_or_b64 exec, exec, s[6:7]
	buffer_load_dword v54, off, s[0:3], 0 offset:184
	buffer_load_dword v55, off, s[0:3], 0 offset:188
	v_cmp_gt_u32_e32 vcc, 23, v0
	s_waitcnt vmcnt(0)
	ds_write_b64 v56, v[54:55]
	s_waitcnt lgkmcnt(0)
	; wave barrier
	s_waitcnt lgkmcnt(0)
	s_and_saveexec_b64 s[6:7], vcc
	s_cbranch_execz .LBB89_470
; %bb.461:
	s_and_b64 vcc, exec, s[4:5]
	s_cbranch_vccnz .LBB89_463
; %bb.462:
	buffer_load_dword v54, v57, s[0:3], 0 offen
	buffer_load_dword v55, v57, s[0:3], 0 offen offset:4
	ds_read_b64 v[58:59], v56
	s_waitcnt vmcnt(0) lgkmcnt(0)
	v_mul_f64 v[54:55], v[54:55], v[58:59]
	s_cbranch_execz .LBB89_464
	s_branch .LBB89_465
.LBB89_463:
                                        ; implicit-def: $vgpr54_vgpr55
.LBB89_464:
	ds_read_b64 v[54:55], v56
.LBB89_465:
	v_cmp_ne_u32_e32 vcc, 22, v0
	s_and_saveexec_b64 s[8:9], vcc
	s_cbranch_execz .LBB89_469
; %bb.466:
	v_mov_b32_e32 v59, 0
	v_add_u32_e32 v58, 0xd8, v1
	v_add3_u32 v59, v1, v59, 8
	s_mov_b64 s[10:11], 0
	v_mov_b32_e32 v60, v0
.LBB89_467:                             ; =>This Inner Loop Header: Depth=1
	buffer_load_dword v62, v59, s[0:3], 0 offen
	buffer_load_dword v63, v59, s[0:3], 0 offen offset:4
	ds_read_b64 v[64:65], v58
	v_add_u32_e32 v60, 1, v60
	v_cmp_lt_u32_e32 vcc, 21, v60
	v_add_u32_e32 v58, 8, v58
	v_add_u32_e32 v59, 8, v59
	s_or_b64 s[10:11], vcc, s[10:11]
	s_waitcnt vmcnt(0) lgkmcnt(0)
	v_fmac_f64_e32 v[54:55], v[62:63], v[64:65]
	s_andn2_b64 exec, exec, s[10:11]
	s_cbranch_execnz .LBB89_467
; %bb.468:
	s_or_b64 exec, exec, s[10:11]
.LBB89_469:
	s_or_b64 exec, exec, s[8:9]
	v_mov_b32_e32 v58, 0
	ds_read_b64 v[58:59], v58 offset:184
	s_waitcnt lgkmcnt(0)
	v_mul_f64 v[54:55], v[54:55], v[58:59]
	buffer_store_dword v55, off, s[0:3], 0 offset:188
	buffer_store_dword v54, off, s[0:3], 0 offset:184
.LBB89_470:
	s_or_b64 exec, exec, s[6:7]
	buffer_load_dword v54, off, s[0:3], 0 offset:192
	buffer_load_dword v55, off, s[0:3], 0 offset:196
	v_cmp_gt_u32_e64 s[6:7], 24, v0
	s_waitcnt vmcnt(0)
	ds_write_b64 v56, v[54:55]
	s_waitcnt lgkmcnt(0)
	; wave barrier
	s_waitcnt lgkmcnt(0)
	s_and_saveexec_b64 s[8:9], s[6:7]
	s_cbranch_execz .LBB89_480
; %bb.471:
	s_and_b64 vcc, exec, s[4:5]
	s_cbranch_vccnz .LBB89_473
; %bb.472:
	buffer_load_dword v54, v57, s[0:3], 0 offen
	buffer_load_dword v55, v57, s[0:3], 0 offen offset:4
	ds_read_b64 v[58:59], v56
	s_waitcnt vmcnt(0) lgkmcnt(0)
	v_mul_f64 v[54:55], v[54:55], v[58:59]
	s_cbranch_execz .LBB89_474
	s_branch .LBB89_475
.LBB89_473:
                                        ; implicit-def: $vgpr54_vgpr55
.LBB89_474:
	ds_read_b64 v[54:55], v56
.LBB89_475:
	v_cmp_ne_u32_e32 vcc, 23, v0
	s_and_saveexec_b64 s[10:11], vcc
	s_cbranch_execz .LBB89_479
; %bb.476:
	v_mov_b32_e32 v59, 0
	v_add_u32_e32 v58, 0xd8, v1
	v_add3_u32 v59, v1, v59, 8
	s_mov_b64 s[12:13], 0
	v_mov_b32_e32 v60, v0
.LBB89_477:                             ; =>This Inner Loop Header: Depth=1
	buffer_load_dword v62, v59, s[0:3], 0 offen
	buffer_load_dword v63, v59, s[0:3], 0 offen offset:4
	ds_read_b64 v[64:65], v58
	v_add_u32_e32 v60, 1, v60
	v_cmp_lt_u32_e32 vcc, 22, v60
	v_add_u32_e32 v58, 8, v58
	v_add_u32_e32 v59, 8, v59
	s_or_b64 s[12:13], vcc, s[12:13]
	s_waitcnt vmcnt(0) lgkmcnt(0)
	v_fmac_f64_e32 v[54:55], v[62:63], v[64:65]
	s_andn2_b64 exec, exec, s[12:13]
	s_cbranch_execnz .LBB89_477
; %bb.478:
	s_or_b64 exec, exec, s[12:13]
.LBB89_479:
	s_or_b64 exec, exec, s[10:11]
	v_mov_b32_e32 v58, 0
	ds_read_b64 v[58:59], v58 offset:192
	s_waitcnt lgkmcnt(0)
	v_mul_f64 v[54:55], v[54:55], v[58:59]
	buffer_store_dword v55, off, s[0:3], 0 offset:196
	buffer_store_dword v54, off, s[0:3], 0 offset:192
.LBB89_480:
	s_or_b64 exec, exec, s[8:9]
	buffer_load_dword v54, off, s[0:3], 0 offset:200
	buffer_load_dword v55, off, s[0:3], 0 offset:204
	v_cmp_ne_u32_e32 vcc, 25, v0
	s_waitcnt vmcnt(0)
	ds_write_b64 v56, v[54:55]
	s_waitcnt lgkmcnt(0)
	; wave barrier
	s_waitcnt lgkmcnt(0)
	s_and_saveexec_b64 s[8:9], vcc
	s_cbranch_execz .LBB89_490
; %bb.481:
	s_and_b64 vcc, exec, s[4:5]
	s_cbranch_vccnz .LBB89_483
; %bb.482:
	buffer_load_dword v54, v57, s[0:3], 0 offen
	buffer_load_dword v55, v57, s[0:3], 0 offen offset:4
	ds_read_b64 v[58:59], v56
	s_waitcnt vmcnt(0) lgkmcnt(0)
	v_mul_f64 v[54:55], v[54:55], v[58:59]
	s_cbranch_execz .LBB89_484
	s_branch .LBB89_485
.LBB89_483:
                                        ; implicit-def: $vgpr54_vgpr55
.LBB89_484:
	ds_read_b64 v[54:55], v56
.LBB89_485:
	s_and_saveexec_b64 s[4:5], s[6:7]
	s_cbranch_execz .LBB89_489
; %bb.486:
	v_mov_b32_e32 v57, 0
	v_add_u32_e32 v56, 0xd8, v1
	v_add3_u32 v1, v1, v57, 8
	s_mov_b64 s[6:7], 0
.LBB89_487:                             ; =>This Inner Loop Header: Depth=1
	buffer_load_dword v58, v1, s[0:3], 0 offen
	buffer_load_dword v59, v1, s[0:3], 0 offen offset:4
	ds_read_b64 v[60:61], v56
	v_add_u32_e32 v0, 1, v0
	v_cmp_lt_u32_e32 vcc, 23, v0
	v_add_u32_e32 v56, 8, v56
	v_add_u32_e32 v1, 8, v1
	s_or_b64 s[6:7], vcc, s[6:7]
	s_waitcnt vmcnt(0) lgkmcnt(0)
	v_fmac_f64_e32 v[54:55], v[58:59], v[60:61]
	s_andn2_b64 exec, exec, s[6:7]
	s_cbranch_execnz .LBB89_487
; %bb.488:
	s_or_b64 exec, exec, s[6:7]
.LBB89_489:
	s_or_b64 exec, exec, s[4:5]
	v_mov_b32_e32 v0, 0
	ds_read_b64 v[0:1], v0 offset:200
	s_waitcnt lgkmcnt(0)
	v_mul_f64 v[0:1], v[54:55], v[0:1]
	buffer_store_dword v1, off, s[0:3], 0 offset:204
	buffer_store_dword v0, off, s[0:3], 0 offset:200
.LBB89_490:
	s_or_b64 exec, exec, s[8:9]
.LBB89_491:
	buffer_load_dword v0, off, s[0:3], 0
	buffer_load_dword v1, off, s[0:3], 0 offset:4
	buffer_load_dword v54, off, s[0:3], 0 offset:8
	;; [unrolled: 1-line block ×51, first 2 shown]
	s_waitcnt vmcnt(50)
	global_store_dwordx2 v[2:3], v[0:1], off
	s_waitcnt vmcnt(49)
	global_store_dwordx2 v[44:45], v[54:55], off
	;; [unrolled: 2-line block ×9, first 2 shown]
	global_store_dwordx2 v[18:19], v[68:69], off
	global_store_dwordx2 v[20:21], v[70:71], off
	;; [unrolled: 1-line block ×3, first 2 shown]
	s_waitcnt vmcnt(38)
	global_store_dwordx2 v[24:25], v[76:77], off
	s_waitcnt vmcnt(37)
	global_store_dwordx2 v[26:27], v[78:79], off
	;; [unrolled: 2-line block ×14, first 2 shown]
.LBB89_492:
	s_endpgm
	.section	.rodata,"a",@progbits
	.p2align	6, 0x0
	.amdhsa_kernel _ZN9rocsolver6v33100L18trti2_kernel_smallILi26EdPKPdEEv13rocblas_fill_17rocblas_diagonal_T1_iil
		.amdhsa_group_segment_fixed_size 416
		.amdhsa_private_segment_fixed_size 224
		.amdhsa_kernarg_size 32
		.amdhsa_user_sgpr_count 8
		.amdhsa_user_sgpr_private_segment_buffer 1
		.amdhsa_user_sgpr_dispatch_ptr 0
		.amdhsa_user_sgpr_queue_ptr 0
		.amdhsa_user_sgpr_kernarg_segment_ptr 1
		.amdhsa_user_sgpr_dispatch_id 0
		.amdhsa_user_sgpr_flat_scratch_init 1
		.amdhsa_user_sgpr_kernarg_preload_length 0
		.amdhsa_user_sgpr_kernarg_preload_offset 0
		.amdhsa_user_sgpr_private_segment_size 0
		.amdhsa_uses_dynamic_stack 0
		.amdhsa_system_sgpr_private_segment_wavefront_offset 1
		.amdhsa_system_sgpr_workgroup_id_x 1
		.amdhsa_system_sgpr_workgroup_id_y 0
		.amdhsa_system_sgpr_workgroup_id_z 0
		.amdhsa_system_sgpr_workgroup_info 0
		.amdhsa_system_vgpr_workitem_id 0
		.amdhsa_next_free_vgpr 106
		.amdhsa_next_free_sgpr 16
		.amdhsa_accum_offset 108
		.amdhsa_reserve_vcc 1
		.amdhsa_reserve_flat_scratch 0
		.amdhsa_float_round_mode_32 0
		.amdhsa_float_round_mode_16_64 0
		.amdhsa_float_denorm_mode_32 3
		.amdhsa_float_denorm_mode_16_64 3
		.amdhsa_dx10_clamp 1
		.amdhsa_ieee_mode 1
		.amdhsa_fp16_overflow 0
		.amdhsa_tg_split 0
		.amdhsa_exception_fp_ieee_invalid_op 0
		.amdhsa_exception_fp_denorm_src 0
		.amdhsa_exception_fp_ieee_div_zero 0
		.amdhsa_exception_fp_ieee_overflow 0
		.amdhsa_exception_fp_ieee_underflow 0
		.amdhsa_exception_fp_ieee_inexact 0
		.amdhsa_exception_int_div_zero 0
	.end_amdhsa_kernel
	.section	.text._ZN9rocsolver6v33100L18trti2_kernel_smallILi26EdPKPdEEv13rocblas_fill_17rocblas_diagonal_T1_iil,"axG",@progbits,_ZN9rocsolver6v33100L18trti2_kernel_smallILi26EdPKPdEEv13rocblas_fill_17rocblas_diagonal_T1_iil,comdat
.Lfunc_end89:
	.size	_ZN9rocsolver6v33100L18trti2_kernel_smallILi26EdPKPdEEv13rocblas_fill_17rocblas_diagonal_T1_iil, .Lfunc_end89-_ZN9rocsolver6v33100L18trti2_kernel_smallILi26EdPKPdEEv13rocblas_fill_17rocblas_diagonal_T1_iil
                                        ; -- End function
	.section	.AMDGPU.csdata,"",@progbits
; Kernel info:
; codeLenInByte = 14988
; NumSgprs: 20
; NumVgprs: 106
; NumAgprs: 0
; TotalNumVgprs: 106
; ScratchSize: 224
; MemoryBound: 0
; FloatMode: 240
; IeeeMode: 1
; LDSByteSize: 416 bytes/workgroup (compile time only)
; SGPRBlocks: 2
; VGPRBlocks: 13
; NumSGPRsForWavesPerEU: 20
; NumVGPRsForWavesPerEU: 106
; AccumOffset: 108
; Occupancy: 4
; WaveLimiterHint : 1
; COMPUTE_PGM_RSRC2:SCRATCH_EN: 1
; COMPUTE_PGM_RSRC2:USER_SGPR: 8
; COMPUTE_PGM_RSRC2:TRAP_HANDLER: 0
; COMPUTE_PGM_RSRC2:TGID_X_EN: 1
; COMPUTE_PGM_RSRC2:TGID_Y_EN: 0
; COMPUTE_PGM_RSRC2:TGID_Z_EN: 0
; COMPUTE_PGM_RSRC2:TIDIG_COMP_CNT: 0
; COMPUTE_PGM_RSRC3_GFX90A:ACCUM_OFFSET: 26
; COMPUTE_PGM_RSRC3_GFX90A:TG_SPLIT: 0
	.section	.text._ZN9rocsolver6v33100L18trti2_kernel_smallILi27EdPKPdEEv13rocblas_fill_17rocblas_diagonal_T1_iil,"axG",@progbits,_ZN9rocsolver6v33100L18trti2_kernel_smallILi27EdPKPdEEv13rocblas_fill_17rocblas_diagonal_T1_iil,comdat
	.globl	_ZN9rocsolver6v33100L18trti2_kernel_smallILi27EdPKPdEEv13rocblas_fill_17rocblas_diagonal_T1_iil ; -- Begin function _ZN9rocsolver6v33100L18trti2_kernel_smallILi27EdPKPdEEv13rocblas_fill_17rocblas_diagonal_T1_iil
	.p2align	8
	.type	_ZN9rocsolver6v33100L18trti2_kernel_smallILi27EdPKPdEEv13rocblas_fill_17rocblas_diagonal_T1_iil,@function
_ZN9rocsolver6v33100L18trti2_kernel_smallILi27EdPKPdEEv13rocblas_fill_17rocblas_diagonal_T1_iil: ; @_ZN9rocsolver6v33100L18trti2_kernel_smallILi27EdPKPdEEv13rocblas_fill_17rocblas_diagonal_T1_iil
; %bb.0:
	s_add_u32 s0, s0, s9
	s_addc_u32 s1, s1, 0
	v_cmp_gt_u32_e32 vcc, 27, v0
	s_and_saveexec_b64 s[6:7], vcc
	s_cbranch_execz .LBB90_512
; %bb.1:
	s_load_dwordx2 s[10:11], s[4:5], 0x10
	s_load_dwordx4 s[12:15], s[4:5], 0x0
	s_ashr_i32 s9, s8, 31
	s_lshl_b64 s[4:5], s[8:9], 3
	v_lshlrev_b32_e32 v1, 3, v0
	s_waitcnt lgkmcnt(0)
	s_ashr_i32 s7, s10, 31
	s_add_u32 s4, s14, s4
	s_addc_u32 s5, s15, s5
	s_load_dwordx2 s[4:5], s[4:5], 0x0
	s_mov_b32 s6, s10
	s_lshl_b64 s[6:7], s[6:7], 3
	s_mov_b32 s8, s11
	s_waitcnt lgkmcnt(0)
	s_add_u32 s4, s4, s6
	s_addc_u32 s5, s5, s7
	s_add_i32 s10, s11, s11
	v_add_u32_e32 v4, s10, v0
	v_mov_b32_e32 v3, s5
	v_add_co_u32_e32 v2, vcc, s4, v1
	v_ashrrev_i32_e32 v5, 31, v4
	v_addc_co_u32_e32 v3, vcc, 0, v3, vcc
	v_add_u32_e32 v6, s11, v4
	v_lshlrev_b64 v[4:5], 3, v[4:5]
	v_mov_b32_e32 v9, s5
	v_ashrrev_i32_e32 v7, 31, v6
	v_add_co_u32_e32 v4, vcc, s4, v4
	v_add_u32_e32 v8, s11, v6
	v_addc_co_u32_e32 v5, vcc, v9, v5, vcc
	v_lshlrev_b64 v[6:7], 3, v[6:7]
	v_mov_b32_e32 v11, s5
	v_ashrrev_i32_e32 v9, 31, v8
	v_add_co_u32_e32 v6, vcc, s4, v6
	v_add_u32_e32 v10, s11, v8
	v_addc_co_u32_e32 v7, vcc, v11, v7, vcc
	;; [unrolled: 6-line block ×5, first 2 shown]
	v_lshlrev_b64 v[14:15], 3, v[14:15]
	v_add_co_u32_e32 v14, vcc, s4, v14
	v_addc_co_u32_e32 v15, vcc, v17, v15, vcc
	v_ashrrev_i32_e32 v17, 31, v16
	v_add_u32_e32 v18, s11, v16
	v_lshlrev_b64 v[16:17], 3, v[16:17]
	v_mov_b32_e32 v19, s5
	v_add_co_u32_e32 v16, vcc, s4, v16
	v_addc_co_u32_e32 v17, vcc, v19, v17, vcc
	v_ashrrev_i32_e32 v19, 31, v18
	v_add_u32_e32 v20, s11, v18
	v_lshlrev_b64 v[18:19], 3, v[18:19]
	v_mov_b32_e32 v21, s5
	;; [unrolled: 6-line block ×12, first 2 shown]
	v_add_co_u32_e32 v38, vcc, s4, v38
	v_add_u32_e32 v42, s11, v40
	v_addc_co_u32_e32 v39, vcc, v41, v39, vcc
	v_ashrrev_i32_e32 v41, 31, v40
	v_add_u32_e32 v44, s11, v42
	v_lshlrev_b64 v[40:41], 3, v[40:41]
	v_add_u32_e32 v48, s11, v44
	v_mov_b32_e32 v43, s5
	v_add_co_u32_e32 v40, vcc, s4, v40
	v_add_u32_e32 v50, s11, v48
	v_addc_co_u32_e32 v41, vcc, v43, v41, vcc
	v_ashrrev_i32_e32 v43, 31, v42
	v_add_u32_e32 v52, s11, v50
	v_lshlrev_b64 v[42:43], 3, v[42:43]
	s_ashr_i32 s9, s11, 31
	v_add_u32_e32 v46, s11, v52
	v_mov_b32_e32 v45, s5
	v_add_co_u32_e32 v42, vcc, s4, v42
	s_lshl_b64 s[6:7], s[8:9], 3
	v_ashrrev_i32_e32 v47, 31, v46
	v_addc_co_u32_e32 v43, vcc, v45, v43, vcc
	v_mov_b32_e32 v49, s7
	v_lshlrev_b64 v[54:55], 3, v[46:47]
	v_ashrrev_i32_e32 v45, 31, v44
	v_add_co_u32_e32 v46, vcc, s6, v2
	v_lshlrev_b64 v[44:45], 3, v[44:45]
	v_addc_co_u32_e32 v47, vcc, v3, v49, vcc
	v_mov_b32_e32 v51, s5
	v_add_co_u32_e32 v44, vcc, s4, v44
	v_ashrrev_i32_e32 v49, 31, v48
	v_addc_co_u32_e32 v45, vcc, v51, v45, vcc
	v_lshlrev_b64 v[48:49], 3, v[48:49]
	v_add_co_u32_e32 v48, vcc, s4, v48
	v_addc_co_u32_e32 v49, vcc, v51, v49, vcc
	v_ashrrev_i32_e32 v51, 31, v50
	v_lshlrev_b64 v[50:51], 3, v[50:51]
	v_mov_b32_e32 v53, s5
	v_add_co_u32_e32 v50, vcc, s4, v50
	v_addc_co_u32_e32 v51, vcc, v53, v51, vcc
	v_ashrrev_i32_e32 v53, 31, v52
	v_lshlrev_b64 v[52:53], 3, v[52:53]
	v_mov_b32_e32 v102, s5
	v_add_co_u32_e32 v52, vcc, s4, v52
	v_addc_co_u32_e32 v53, vcc, v102, v53, vcc
	global_load_dwordx2 v[56:57], v1, s[4:5]
	global_load_dwordx2 v[60:61], v[4:5], off
	global_load_dwordx2 v[62:63], v[6:7], off
	v_mov_b32_e32 v108, s5
	global_load_dwordx2 v[58:59], v[46:47], off
	global_load_dwordx2 v[64:65], v[8:9], off
	;; [unrolled: 1-line block ×23, first 2 shown]
	v_add_co_u32_e32 v54, vcc, s4, v54
	v_addc_co_u32_e32 v55, vcc, v108, v55, vcc
	global_load_dwordx2 v[108:109], v[54:55], off
	s_waitcnt vmcnt(26)
	buffer_store_dword v57, off, s[0:3], 0 offset:4
	buffer_store_dword v56, off, s[0:3], 0
	s_waitcnt vmcnt(25)
	buffer_store_dword v59, off, s[0:3], 0 offset:12
	buffer_store_dword v58, off, s[0:3], 0 offset:8
	;; [unrolled: 1-line block ×6, first 2 shown]
	s_waitcnt vmcnt(30)
	buffer_store_dword v65, off, s[0:3], 0 offset:36
	buffer_store_dword v64, off, s[0:3], 0 offset:32
	s_waitcnt vmcnt(31)
	buffer_store_dword v67, off, s[0:3], 0 offset:44
	buffer_store_dword v66, off, s[0:3], 0 offset:40
	;; [unrolled: 3-line block ×22, first 2 shown]
	s_cmpk_lg_i32 s13, 0x84
	v_mov_b32_e32 v56, 0
	v_mov_b32_e32 v83, 0
	s_cselect_b64 s[8:9], -1, 0
	s_cmpk_eq_i32 s13, 0x84
	v_mov_b32_e32 v57, 0xbff00000
	s_waitcnt vmcnt(52)
	buffer_store_dword v109, off, s[0:3], 0 offset:212
	buffer_store_dword v108, off, s[0:3], 0 offset:208
	s_cbranch_scc1 .LBB90_3
; %bb.2:
	v_lshl_add_u32 v66, v0, 3, v83
	buffer_load_dword v56, v66, s[0:3], 0 offen
	buffer_load_dword v57, v66, s[0:3], 0 offen offset:4
	s_waitcnt vmcnt(0)
	v_div_scale_f64 v[58:59], s[4:5], v[56:57], v[56:57], 1.0
	v_rcp_f64_e32 v[60:61], v[58:59]
	v_div_scale_f64 v[62:63], vcc, 1.0, v[56:57], 1.0
	v_fma_f64 v[64:65], -v[58:59], v[60:61], 1.0
	v_fmac_f64_e32 v[60:61], v[60:61], v[64:65]
	v_fma_f64 v[64:65], -v[58:59], v[60:61], 1.0
	v_fmac_f64_e32 v[60:61], v[60:61], v[64:65]
	v_mul_f64 v[64:65], v[62:63], v[60:61]
	v_fma_f64 v[58:59], -v[58:59], v[64:65], v[62:63]
	v_div_fmas_f64 v[58:59], v[58:59], v[60:61], v[64:65]
	v_div_fixup_f64 v[56:57], v[58:59], v[56:57], 1.0
	buffer_store_dword v56, v66, s[0:3], 0 offen
	buffer_store_dword v57, v66, s[0:3], 0 offen offset:4
	v_xor_b32_e32 v57, 0x80000000, v57
.LBB90_3:
	s_cmpk_eq_i32 s12, 0x79
	v_add_u32_e32 v58, 0xe0, v1
	v_add_u32_e32 v59, 0, v1
	s_mov_b64 s[4:5], -1
	ds_write_b64 v1, v[56:57]
	s_cbranch_scc1 .LBB90_257
; %bb.4:
	buffer_load_dword v56, off, s[0:3], 0 offset:200
	buffer_load_dword v57, off, s[0:3], 0 offset:204
	v_cmp_eq_u32_e64 s[4:5], 26, v0
	s_waitcnt vmcnt(0)
	ds_write_b64 v58, v[56:57]
	s_waitcnt lgkmcnt(0)
	; wave barrier
	s_waitcnt lgkmcnt(0)
	s_and_saveexec_b64 s[6:7], s[4:5]
	s_cbranch_execz .LBB90_10
; %bb.5:
	s_and_b64 vcc, exec, s[8:9]
	s_cbranch_vccz .LBB90_7
; %bb.6:
	buffer_load_dword v56, v59, s[0:3], 0 offen
	buffer_load_dword v57, v59, s[0:3], 0 offen offset:4
	ds_read_b64 v[60:61], v58
	s_waitcnt vmcnt(0) lgkmcnt(0)
	v_mul_f64 v[56:57], v[56:57], v[60:61]
	s_cbranch_execz .LBB90_8
	s_branch .LBB90_9
.LBB90_7:
                                        ; implicit-def: $vgpr56_vgpr57
.LBB90_8:
	ds_read_b64 v[56:57], v58
.LBB90_9:
	v_mov_b32_e32 v60, 0
	ds_read_b64 v[60:61], v60 offset:200
	s_waitcnt lgkmcnt(0)
	v_mul_f64 v[56:57], v[56:57], v[60:61]
	buffer_store_dword v57, off, s[0:3], 0 offset:204
	buffer_store_dword v56, off, s[0:3], 0 offset:200
.LBB90_10:
	s_or_b64 exec, exec, s[6:7]
	buffer_load_dword v56, off, s[0:3], 0 offset:192
	buffer_load_dword v57, off, s[0:3], 0 offset:196
	v_or_b32_e32 v60, 8, v83
	v_add_u32_e32 v61, 16, v83
	v_add_u32_e32 v62, 24, v83
	;; [unrolled: 1-line block ×23, first 2 shown]
	v_cmp_lt_u32_e64 s[6:7], 24, v0
	s_waitcnt vmcnt(0)
	ds_write_b64 v58, v[56:57]
	s_waitcnt lgkmcnt(0)
	; wave barrier
	s_waitcnt lgkmcnt(0)
	s_and_saveexec_b64 s[10:11], s[6:7]
	s_cbranch_execz .LBB90_16
; %bb.11:
	s_andn2_b64 vcc, exec, s[8:9]
	s_cbranch_vccnz .LBB90_13
; %bb.12:
	buffer_load_dword v56, v59, s[0:3], 0 offen
	buffer_load_dword v57, v59, s[0:3], 0 offen offset:4
	ds_read_b64 v[84:85], v58
	s_waitcnt vmcnt(0) lgkmcnt(0)
	v_mul_f64 v[56:57], v[56:57], v[84:85]
	s_cbranch_execz .LBB90_14
	s_branch .LBB90_15
.LBB90_13:
                                        ; implicit-def: $vgpr56_vgpr57
.LBB90_14:
	ds_read_b64 v[56:57], v58
.LBB90_15:
	buffer_load_dword v88, off, s[0:3], 0 offset:200
	buffer_load_dword v89, off, s[0:3], 0 offset:204
	v_mov_b32_e32 v84, 0
	ds_read2_b64 v[84:87], v84 offset0:24 offset1:53
	s_waitcnt vmcnt(0) lgkmcnt(0)
	v_fma_f64 v[86:87], v[88:89], v[86:87], v[56:57]
	v_cndmask_b32_e64 v57, v57, v87, s[4:5]
	v_cndmask_b32_e64 v56, v56, v86, s[4:5]
	v_mul_f64 v[56:57], v[56:57], v[84:85]
	buffer_store_dword v57, off, s[0:3], 0 offset:196
	buffer_store_dword v56, off, s[0:3], 0 offset:192
.LBB90_16:
	s_or_b64 exec, exec, s[10:11]
	buffer_load_dword v56, off, s[0:3], 0 offset:184
	buffer_load_dword v57, off, s[0:3], 0 offset:188
	v_cmp_lt_u32_e64 s[4:5], 23, v0
	s_waitcnt vmcnt(0)
	ds_write_b64 v58, v[56:57]
	s_waitcnt lgkmcnt(0)
	; wave barrier
	s_waitcnt lgkmcnt(0)
	s_and_saveexec_b64 s[10:11], s[4:5]
	s_cbranch_execz .LBB90_26
; %bb.17:
	s_andn2_b64 vcc, exec, s[8:9]
	s_cbranch_vccnz .LBB90_19
; %bb.18:
	buffer_load_dword v56, v59, s[0:3], 0 offen
	buffer_load_dword v57, v59, s[0:3], 0 offen offset:4
	ds_read_b64 v[84:85], v58
	s_waitcnt vmcnt(0) lgkmcnt(0)
	v_mul_f64 v[56:57], v[56:57], v[84:85]
	s_cbranch_execz .LBB90_20
	s_branch .LBB90_21
.LBB90_19:
                                        ; implicit-def: $vgpr56_vgpr57
.LBB90_20:
	ds_read_b64 v[56:57], v58
.LBB90_21:
	s_and_saveexec_b64 s[12:13], s[6:7]
	s_cbranch_execz .LBB90_25
; %bb.22:
	v_subrev_u32_e32 v84, 24, v0
	s_movk_i32 s14, 0x1a0
	s_mov_b64 s[6:7], 0
.LBB90_23:                              ; =>This Inner Loop Header: Depth=1
	buffer_load_dword v86, v83, s[0:3], 0 offen
	buffer_load_dword v87, v83, s[0:3], 0 offen offset:4
	v_mov_b32_e32 v85, s14
	ds_read_b64 v[88:89], v85
	v_add_u32_e32 v84, -1, v84
	s_add_i32 s14, s14, 8
	v_cmp_eq_u32_e32 vcc, 0, v84
	v_add_u32_e32 v83, 8, v83
	s_or_b64 s[6:7], vcc, s[6:7]
	s_waitcnt vmcnt(0) lgkmcnt(0)
	v_fmac_f64_e32 v[56:57], v[86:87], v[88:89]
	s_andn2_b64 exec, exec, s[6:7]
	s_cbranch_execnz .LBB90_23
; %bb.24:
	s_or_b64 exec, exec, s[6:7]
.LBB90_25:
	s_or_b64 exec, exec, s[12:13]
	v_mov_b32_e32 v83, 0
	ds_read_b64 v[84:85], v83 offset:184
	s_waitcnt lgkmcnt(0)
	v_mul_f64 v[56:57], v[56:57], v[84:85]
	buffer_store_dword v57, off, s[0:3], 0 offset:188
	buffer_store_dword v56, off, s[0:3], 0 offset:184
.LBB90_26:
	s_or_b64 exec, exec, s[10:11]
	buffer_load_dword v56, off, s[0:3], 0 offset:176
	buffer_load_dword v57, off, s[0:3], 0 offset:180
	v_cmp_lt_u32_e64 s[6:7], 22, v0
	s_waitcnt vmcnt(0)
	ds_write_b64 v58, v[56:57]
	s_waitcnt lgkmcnt(0)
	; wave barrier
	s_waitcnt lgkmcnt(0)
	s_and_saveexec_b64 s[10:11], s[6:7]
	s_cbranch_execz .LBB90_36
; %bb.27:
	s_andn2_b64 vcc, exec, s[8:9]
	s_cbranch_vccnz .LBB90_29
; %bb.28:
	buffer_load_dword v56, v59, s[0:3], 0 offen
	buffer_load_dword v57, v59, s[0:3], 0 offen offset:4
	ds_read_b64 v[84:85], v58
	s_waitcnt vmcnt(0) lgkmcnt(0)
	v_mul_f64 v[56:57], v[56:57], v[84:85]
	s_cbranch_execz .LBB90_30
	s_branch .LBB90_31
.LBB90_29:
                                        ; implicit-def: $vgpr56_vgpr57
.LBB90_30:
	ds_read_b64 v[56:57], v58
.LBB90_31:
	s_and_saveexec_b64 s[12:13], s[4:5]
	s_cbranch_execz .LBB90_35
; %bb.32:
	v_subrev_u32_e32 v83, 23, v0
	s_movk_i32 s14, 0x198
	s_mov_b64 s[4:5], 0
.LBB90_33:                              ; =>This Inner Loop Header: Depth=1
	buffer_load_dword v84, v82, s[0:3], 0 offen
	buffer_load_dword v85, v82, s[0:3], 0 offen offset:4
	v_mov_b32_e32 v86, s14
	ds_read_b64 v[86:87], v86
	v_add_u32_e32 v83, -1, v83
	s_add_i32 s14, s14, 8
	v_cmp_eq_u32_e32 vcc, 0, v83
	v_add_u32_e32 v82, 8, v82
	s_or_b64 s[4:5], vcc, s[4:5]
	s_waitcnt vmcnt(0) lgkmcnt(0)
	v_fmac_f64_e32 v[56:57], v[84:85], v[86:87]
	s_andn2_b64 exec, exec, s[4:5]
	s_cbranch_execnz .LBB90_33
; %bb.34:
	s_or_b64 exec, exec, s[4:5]
.LBB90_35:
	s_or_b64 exec, exec, s[12:13]
	v_mov_b32_e32 v82, 0
	ds_read_b64 v[82:83], v82 offset:176
	s_waitcnt lgkmcnt(0)
	v_mul_f64 v[56:57], v[56:57], v[82:83]
	buffer_store_dword v57, off, s[0:3], 0 offset:180
	buffer_store_dword v56, off, s[0:3], 0 offset:176
.LBB90_36:
	;; [unrolled: 58-line block ×8, first 2 shown]
	s_or_b64 exec, exec, s[10:11]
	buffer_load_dword v56, off, s[0:3], 0 offset:120
	buffer_load_dword v57, off, s[0:3], 0 offset:124
	v_cmp_lt_u32_e64 s[4:5], 15, v0
	s_waitcnt vmcnt(0)
	ds_write_b64 v58, v[56:57]
	s_waitcnt lgkmcnt(0)
	; wave barrier
	s_waitcnt lgkmcnt(0)
	s_and_saveexec_b64 s[10:11], s[4:5]
	s_cbranch_execz .LBB90_106
; %bb.97:
	s_andn2_b64 vcc, exec, s[8:9]
	s_cbranch_vccnz .LBB90_99
; %bb.98:
	buffer_load_dword v56, v59, s[0:3], 0 offen
	buffer_load_dword v57, v59, s[0:3], 0 offen offset:4
	ds_read_b64 v[76:77], v58
	s_waitcnt vmcnt(0) lgkmcnt(0)
	v_mul_f64 v[56:57], v[56:57], v[76:77]
	s_cbranch_execz .LBB90_100
	s_branch .LBB90_101
.LBB90_99:
                                        ; implicit-def: $vgpr56_vgpr57
.LBB90_100:
	ds_read_b64 v[56:57], v58
.LBB90_101:
	s_and_saveexec_b64 s[12:13], s[6:7]
	s_cbranch_execz .LBB90_105
; %bb.102:
	v_add_u32_e32 v76, -16, v0
	s_movk_i32 s14, 0x160
	s_mov_b64 s[6:7], 0
.LBB90_103:                             ; =>This Inner Loop Header: Depth=1
	buffer_load_dword v78, v75, s[0:3], 0 offen
	buffer_load_dword v79, v75, s[0:3], 0 offen offset:4
	v_mov_b32_e32 v77, s14
	ds_read_b64 v[80:81], v77
	v_add_u32_e32 v76, -1, v76
	s_add_i32 s14, s14, 8
	v_cmp_eq_u32_e32 vcc, 0, v76
	v_add_u32_e32 v75, 8, v75
	s_or_b64 s[6:7], vcc, s[6:7]
	s_waitcnt vmcnt(0) lgkmcnt(0)
	v_fmac_f64_e32 v[56:57], v[78:79], v[80:81]
	s_andn2_b64 exec, exec, s[6:7]
	s_cbranch_execnz .LBB90_103
; %bb.104:
	s_or_b64 exec, exec, s[6:7]
.LBB90_105:
	s_or_b64 exec, exec, s[12:13]
	v_mov_b32_e32 v75, 0
	ds_read_b64 v[76:77], v75 offset:120
	s_waitcnt lgkmcnt(0)
	v_mul_f64 v[56:57], v[56:57], v[76:77]
	buffer_store_dword v57, off, s[0:3], 0 offset:124
	buffer_store_dword v56, off, s[0:3], 0 offset:120
.LBB90_106:
	s_or_b64 exec, exec, s[10:11]
	buffer_load_dword v56, off, s[0:3], 0 offset:112
	buffer_load_dword v57, off, s[0:3], 0 offset:116
	v_cmp_lt_u32_e64 s[6:7], 14, v0
	s_waitcnt vmcnt(0)
	ds_write_b64 v58, v[56:57]
	s_waitcnt lgkmcnt(0)
	; wave barrier
	s_waitcnt lgkmcnt(0)
	s_and_saveexec_b64 s[10:11], s[6:7]
	s_cbranch_execz .LBB90_116
; %bb.107:
	s_andn2_b64 vcc, exec, s[8:9]
	s_cbranch_vccnz .LBB90_109
; %bb.108:
	buffer_load_dword v56, v59, s[0:3], 0 offen
	buffer_load_dword v57, v59, s[0:3], 0 offen offset:4
	ds_read_b64 v[76:77], v58
	s_waitcnt vmcnt(0) lgkmcnt(0)
	v_mul_f64 v[56:57], v[56:57], v[76:77]
	s_cbranch_execz .LBB90_110
	s_branch .LBB90_111
.LBB90_109:
                                        ; implicit-def: $vgpr56_vgpr57
.LBB90_110:
	ds_read_b64 v[56:57], v58
.LBB90_111:
	s_and_saveexec_b64 s[12:13], s[4:5]
	s_cbranch_execz .LBB90_115
; %bb.112:
	v_add_u32_e32 v75, -15, v0
	s_movk_i32 s14, 0x158
	s_mov_b64 s[4:5], 0
.LBB90_113:                             ; =>This Inner Loop Header: Depth=1
	buffer_load_dword v76, v74, s[0:3], 0 offen
	buffer_load_dword v77, v74, s[0:3], 0 offen offset:4
	v_mov_b32_e32 v78, s14
	ds_read_b64 v[78:79], v78
	v_add_u32_e32 v75, -1, v75
	s_add_i32 s14, s14, 8
	v_cmp_eq_u32_e32 vcc, 0, v75
	v_add_u32_e32 v74, 8, v74
	s_or_b64 s[4:5], vcc, s[4:5]
	s_waitcnt vmcnt(0) lgkmcnt(0)
	v_fmac_f64_e32 v[56:57], v[76:77], v[78:79]
	s_andn2_b64 exec, exec, s[4:5]
	s_cbranch_execnz .LBB90_113
; %bb.114:
	s_or_b64 exec, exec, s[4:5]
.LBB90_115:
	s_or_b64 exec, exec, s[12:13]
	v_mov_b32_e32 v74, 0
	ds_read_b64 v[74:75], v74 offset:112
	s_waitcnt lgkmcnt(0)
	v_mul_f64 v[56:57], v[56:57], v[74:75]
	buffer_store_dword v57, off, s[0:3], 0 offset:116
	buffer_store_dword v56, off, s[0:3], 0 offset:112
.LBB90_116:
	s_or_b64 exec, exec, s[10:11]
	buffer_load_dword v56, off, s[0:3], 0 offset:104
	buffer_load_dword v57, off, s[0:3], 0 offset:108
	v_cmp_lt_u32_e64 s[4:5], 13, v0
	s_waitcnt vmcnt(0)
	ds_write_b64 v58, v[56:57]
	s_waitcnt lgkmcnt(0)
	; wave barrier
	s_waitcnt lgkmcnt(0)
	s_and_saveexec_b64 s[10:11], s[4:5]
	s_cbranch_execz .LBB90_126
; %bb.117:
	s_andn2_b64 vcc, exec, s[8:9]
	s_cbranch_vccnz .LBB90_119
; %bb.118:
	buffer_load_dword v56, v59, s[0:3], 0 offen
	buffer_load_dword v57, v59, s[0:3], 0 offen offset:4
	ds_read_b64 v[74:75], v58
	s_waitcnt vmcnt(0) lgkmcnt(0)
	v_mul_f64 v[56:57], v[56:57], v[74:75]
	s_cbranch_execz .LBB90_120
	s_branch .LBB90_121
.LBB90_119:
                                        ; implicit-def: $vgpr56_vgpr57
.LBB90_120:
	ds_read_b64 v[56:57], v58
.LBB90_121:
	s_and_saveexec_b64 s[12:13], s[6:7]
	s_cbranch_execz .LBB90_125
; %bb.122:
	v_add_u32_e32 v74, -14, v0
	s_movk_i32 s14, 0x150
	s_mov_b64 s[6:7], 0
.LBB90_123:                             ; =>This Inner Loop Header: Depth=1
	buffer_load_dword v76, v73, s[0:3], 0 offen
	buffer_load_dword v77, v73, s[0:3], 0 offen offset:4
	v_mov_b32_e32 v75, s14
	ds_read_b64 v[78:79], v75
	v_add_u32_e32 v74, -1, v74
	s_add_i32 s14, s14, 8
	v_cmp_eq_u32_e32 vcc, 0, v74
	v_add_u32_e32 v73, 8, v73
	s_or_b64 s[6:7], vcc, s[6:7]
	s_waitcnt vmcnt(0) lgkmcnt(0)
	v_fmac_f64_e32 v[56:57], v[76:77], v[78:79]
	s_andn2_b64 exec, exec, s[6:7]
	s_cbranch_execnz .LBB90_123
; %bb.124:
	s_or_b64 exec, exec, s[6:7]
.LBB90_125:
	s_or_b64 exec, exec, s[12:13]
	v_mov_b32_e32 v73, 0
	ds_read_b64 v[74:75], v73 offset:104
	s_waitcnt lgkmcnt(0)
	v_mul_f64 v[56:57], v[56:57], v[74:75]
	buffer_store_dword v57, off, s[0:3], 0 offset:108
	buffer_store_dword v56, off, s[0:3], 0 offset:104
.LBB90_126:
	s_or_b64 exec, exec, s[10:11]
	buffer_load_dword v56, off, s[0:3], 0 offset:96
	buffer_load_dword v57, off, s[0:3], 0 offset:100
	v_cmp_lt_u32_e64 s[6:7], 12, v0
	s_waitcnt vmcnt(0)
	ds_write_b64 v58, v[56:57]
	s_waitcnt lgkmcnt(0)
	; wave barrier
	s_waitcnt lgkmcnt(0)
	s_and_saveexec_b64 s[10:11], s[6:7]
	s_cbranch_execz .LBB90_136
; %bb.127:
	s_andn2_b64 vcc, exec, s[8:9]
	s_cbranch_vccnz .LBB90_129
; %bb.128:
	buffer_load_dword v56, v59, s[0:3], 0 offen
	buffer_load_dword v57, v59, s[0:3], 0 offen offset:4
	ds_read_b64 v[74:75], v58
	s_waitcnt vmcnt(0) lgkmcnt(0)
	v_mul_f64 v[56:57], v[56:57], v[74:75]
	s_cbranch_execz .LBB90_130
	s_branch .LBB90_131
.LBB90_129:
                                        ; implicit-def: $vgpr56_vgpr57
.LBB90_130:
	ds_read_b64 v[56:57], v58
.LBB90_131:
	s_and_saveexec_b64 s[12:13], s[4:5]
	s_cbranch_execz .LBB90_135
; %bb.132:
	v_add_u32_e32 v73, -13, v0
	s_movk_i32 s14, 0x148
	s_mov_b64 s[4:5], 0
.LBB90_133:                             ; =>This Inner Loop Header: Depth=1
	buffer_load_dword v74, v72, s[0:3], 0 offen
	buffer_load_dword v75, v72, s[0:3], 0 offen offset:4
	v_mov_b32_e32 v76, s14
	ds_read_b64 v[76:77], v76
	v_add_u32_e32 v73, -1, v73
	s_add_i32 s14, s14, 8
	v_cmp_eq_u32_e32 vcc, 0, v73
	v_add_u32_e32 v72, 8, v72
	s_or_b64 s[4:5], vcc, s[4:5]
	s_waitcnt vmcnt(0) lgkmcnt(0)
	v_fmac_f64_e32 v[56:57], v[74:75], v[76:77]
	s_andn2_b64 exec, exec, s[4:5]
	s_cbranch_execnz .LBB90_133
; %bb.134:
	s_or_b64 exec, exec, s[4:5]
.LBB90_135:
	s_or_b64 exec, exec, s[12:13]
	v_mov_b32_e32 v72, 0
	ds_read_b64 v[72:73], v72 offset:96
	s_waitcnt lgkmcnt(0)
	v_mul_f64 v[56:57], v[56:57], v[72:73]
	buffer_store_dword v57, off, s[0:3], 0 offset:100
	buffer_store_dword v56, off, s[0:3], 0 offset:96
.LBB90_136:
	s_or_b64 exec, exec, s[10:11]
	buffer_load_dword v56, off, s[0:3], 0 offset:88
	buffer_load_dword v57, off, s[0:3], 0 offset:92
	v_cmp_lt_u32_e64 s[4:5], 11, v0
	s_waitcnt vmcnt(0)
	ds_write_b64 v58, v[56:57]
	s_waitcnt lgkmcnt(0)
	; wave barrier
	s_waitcnt lgkmcnt(0)
	s_and_saveexec_b64 s[10:11], s[4:5]
	s_cbranch_execz .LBB90_146
; %bb.137:
	s_andn2_b64 vcc, exec, s[8:9]
	s_cbranch_vccnz .LBB90_139
; %bb.138:
	buffer_load_dword v56, v59, s[0:3], 0 offen
	buffer_load_dword v57, v59, s[0:3], 0 offen offset:4
	ds_read_b64 v[72:73], v58
	s_waitcnt vmcnt(0) lgkmcnt(0)
	v_mul_f64 v[56:57], v[56:57], v[72:73]
	s_cbranch_execz .LBB90_140
	s_branch .LBB90_141
.LBB90_139:
                                        ; implicit-def: $vgpr56_vgpr57
.LBB90_140:
	ds_read_b64 v[56:57], v58
.LBB90_141:
	s_and_saveexec_b64 s[12:13], s[6:7]
	s_cbranch_execz .LBB90_145
; %bb.142:
	v_add_u32_e32 v72, -12, v0
	s_movk_i32 s14, 0x140
	s_mov_b64 s[6:7], 0
.LBB90_143:                             ; =>This Inner Loop Header: Depth=1
	buffer_load_dword v74, v71, s[0:3], 0 offen
	buffer_load_dword v75, v71, s[0:3], 0 offen offset:4
	v_mov_b32_e32 v73, s14
	ds_read_b64 v[76:77], v73
	v_add_u32_e32 v72, -1, v72
	s_add_i32 s14, s14, 8
	v_cmp_eq_u32_e32 vcc, 0, v72
	v_add_u32_e32 v71, 8, v71
	s_or_b64 s[6:7], vcc, s[6:7]
	s_waitcnt vmcnt(0) lgkmcnt(0)
	v_fmac_f64_e32 v[56:57], v[74:75], v[76:77]
	s_andn2_b64 exec, exec, s[6:7]
	s_cbranch_execnz .LBB90_143
; %bb.144:
	s_or_b64 exec, exec, s[6:7]
.LBB90_145:
	s_or_b64 exec, exec, s[12:13]
	v_mov_b32_e32 v71, 0
	ds_read_b64 v[72:73], v71 offset:88
	s_waitcnt lgkmcnt(0)
	v_mul_f64 v[56:57], v[56:57], v[72:73]
	buffer_store_dword v57, off, s[0:3], 0 offset:92
	buffer_store_dword v56, off, s[0:3], 0 offset:88
.LBB90_146:
	s_or_b64 exec, exec, s[10:11]
	buffer_load_dword v56, off, s[0:3], 0 offset:80
	buffer_load_dword v57, off, s[0:3], 0 offset:84
	v_cmp_lt_u32_e64 s[6:7], 10, v0
	s_waitcnt vmcnt(0)
	ds_write_b64 v58, v[56:57]
	s_waitcnt lgkmcnt(0)
	; wave barrier
	s_waitcnt lgkmcnt(0)
	s_and_saveexec_b64 s[10:11], s[6:7]
	s_cbranch_execz .LBB90_156
; %bb.147:
	s_andn2_b64 vcc, exec, s[8:9]
	s_cbranch_vccnz .LBB90_149
; %bb.148:
	buffer_load_dword v56, v59, s[0:3], 0 offen
	buffer_load_dword v57, v59, s[0:3], 0 offen offset:4
	ds_read_b64 v[72:73], v58
	s_waitcnt vmcnt(0) lgkmcnt(0)
	v_mul_f64 v[56:57], v[56:57], v[72:73]
	s_cbranch_execz .LBB90_150
	s_branch .LBB90_151
.LBB90_149:
                                        ; implicit-def: $vgpr56_vgpr57
.LBB90_150:
	ds_read_b64 v[56:57], v58
.LBB90_151:
	s_and_saveexec_b64 s[12:13], s[4:5]
	s_cbranch_execz .LBB90_155
; %bb.152:
	v_add_u32_e32 v71, -11, v0
	s_movk_i32 s14, 0x138
	s_mov_b64 s[4:5], 0
.LBB90_153:                             ; =>This Inner Loop Header: Depth=1
	buffer_load_dword v72, v70, s[0:3], 0 offen
	buffer_load_dword v73, v70, s[0:3], 0 offen offset:4
	v_mov_b32_e32 v74, s14
	ds_read_b64 v[74:75], v74
	v_add_u32_e32 v71, -1, v71
	s_add_i32 s14, s14, 8
	v_cmp_eq_u32_e32 vcc, 0, v71
	v_add_u32_e32 v70, 8, v70
	s_or_b64 s[4:5], vcc, s[4:5]
	s_waitcnt vmcnt(0) lgkmcnt(0)
	v_fmac_f64_e32 v[56:57], v[72:73], v[74:75]
	s_andn2_b64 exec, exec, s[4:5]
	s_cbranch_execnz .LBB90_153
; %bb.154:
	s_or_b64 exec, exec, s[4:5]
.LBB90_155:
	s_or_b64 exec, exec, s[12:13]
	v_mov_b32_e32 v70, 0
	ds_read_b64 v[70:71], v70 offset:80
	s_waitcnt lgkmcnt(0)
	v_mul_f64 v[56:57], v[56:57], v[70:71]
	buffer_store_dword v57, off, s[0:3], 0 offset:84
	buffer_store_dword v56, off, s[0:3], 0 offset:80
.LBB90_156:
	s_or_b64 exec, exec, s[10:11]
	buffer_load_dword v56, off, s[0:3], 0 offset:72
	buffer_load_dword v57, off, s[0:3], 0 offset:76
	v_cmp_lt_u32_e64 s[4:5], 9, v0
	s_waitcnt vmcnt(0)
	ds_write_b64 v58, v[56:57]
	s_waitcnt lgkmcnt(0)
	; wave barrier
	s_waitcnt lgkmcnt(0)
	s_and_saveexec_b64 s[10:11], s[4:5]
	s_cbranch_execz .LBB90_166
; %bb.157:
	s_andn2_b64 vcc, exec, s[8:9]
	s_cbranch_vccnz .LBB90_159
; %bb.158:
	buffer_load_dword v56, v59, s[0:3], 0 offen
	buffer_load_dword v57, v59, s[0:3], 0 offen offset:4
	ds_read_b64 v[70:71], v58
	s_waitcnt vmcnt(0) lgkmcnt(0)
	v_mul_f64 v[56:57], v[56:57], v[70:71]
	s_cbranch_execz .LBB90_160
	s_branch .LBB90_161
.LBB90_159:
                                        ; implicit-def: $vgpr56_vgpr57
.LBB90_160:
	ds_read_b64 v[56:57], v58
.LBB90_161:
	s_and_saveexec_b64 s[12:13], s[6:7]
	s_cbranch_execz .LBB90_165
; %bb.162:
	v_add_u32_e32 v70, -10, v0
	s_movk_i32 s14, 0x130
	s_mov_b64 s[6:7], 0
.LBB90_163:                             ; =>This Inner Loop Header: Depth=1
	buffer_load_dword v72, v69, s[0:3], 0 offen
	buffer_load_dword v73, v69, s[0:3], 0 offen offset:4
	v_mov_b32_e32 v71, s14
	ds_read_b64 v[74:75], v71
	v_add_u32_e32 v70, -1, v70
	s_add_i32 s14, s14, 8
	v_cmp_eq_u32_e32 vcc, 0, v70
	v_add_u32_e32 v69, 8, v69
	s_or_b64 s[6:7], vcc, s[6:7]
	s_waitcnt vmcnt(0) lgkmcnt(0)
	v_fmac_f64_e32 v[56:57], v[72:73], v[74:75]
	s_andn2_b64 exec, exec, s[6:7]
	s_cbranch_execnz .LBB90_163
; %bb.164:
	s_or_b64 exec, exec, s[6:7]
.LBB90_165:
	s_or_b64 exec, exec, s[12:13]
	v_mov_b32_e32 v69, 0
	ds_read_b64 v[70:71], v69 offset:72
	s_waitcnt lgkmcnt(0)
	v_mul_f64 v[56:57], v[56:57], v[70:71]
	buffer_store_dword v57, off, s[0:3], 0 offset:76
	buffer_store_dword v56, off, s[0:3], 0 offset:72
.LBB90_166:
	s_or_b64 exec, exec, s[10:11]
	buffer_load_dword v56, off, s[0:3], 0 offset:64
	buffer_load_dword v57, off, s[0:3], 0 offset:68
	v_cmp_lt_u32_e64 s[6:7], 8, v0
	s_waitcnt vmcnt(0)
	ds_write_b64 v58, v[56:57]
	s_waitcnt lgkmcnt(0)
	; wave barrier
	s_waitcnt lgkmcnt(0)
	s_and_saveexec_b64 s[10:11], s[6:7]
	s_cbranch_execz .LBB90_176
; %bb.167:
	s_andn2_b64 vcc, exec, s[8:9]
	s_cbranch_vccnz .LBB90_169
; %bb.168:
	buffer_load_dword v56, v59, s[0:3], 0 offen
	buffer_load_dword v57, v59, s[0:3], 0 offen offset:4
	ds_read_b64 v[70:71], v58
	s_waitcnt vmcnt(0) lgkmcnt(0)
	v_mul_f64 v[56:57], v[56:57], v[70:71]
	s_cbranch_execz .LBB90_170
	s_branch .LBB90_171
.LBB90_169:
                                        ; implicit-def: $vgpr56_vgpr57
.LBB90_170:
	ds_read_b64 v[56:57], v58
.LBB90_171:
	s_and_saveexec_b64 s[12:13], s[4:5]
	s_cbranch_execz .LBB90_175
; %bb.172:
	v_add_u32_e32 v69, -9, v0
	s_movk_i32 s14, 0x128
	s_mov_b64 s[4:5], 0
.LBB90_173:                             ; =>This Inner Loop Header: Depth=1
	buffer_load_dword v70, v68, s[0:3], 0 offen
	buffer_load_dword v71, v68, s[0:3], 0 offen offset:4
	v_mov_b32_e32 v72, s14
	ds_read_b64 v[72:73], v72
	v_add_u32_e32 v69, -1, v69
	s_add_i32 s14, s14, 8
	v_cmp_eq_u32_e32 vcc, 0, v69
	v_add_u32_e32 v68, 8, v68
	s_or_b64 s[4:5], vcc, s[4:5]
	s_waitcnt vmcnt(0) lgkmcnt(0)
	v_fmac_f64_e32 v[56:57], v[70:71], v[72:73]
	s_andn2_b64 exec, exec, s[4:5]
	s_cbranch_execnz .LBB90_173
; %bb.174:
	s_or_b64 exec, exec, s[4:5]
.LBB90_175:
	s_or_b64 exec, exec, s[12:13]
	v_mov_b32_e32 v68, 0
	ds_read_b64 v[68:69], v68 offset:64
	s_waitcnt lgkmcnt(0)
	v_mul_f64 v[56:57], v[56:57], v[68:69]
	buffer_store_dword v57, off, s[0:3], 0 offset:68
	buffer_store_dword v56, off, s[0:3], 0 offset:64
.LBB90_176:
	s_or_b64 exec, exec, s[10:11]
	buffer_load_dword v56, off, s[0:3], 0 offset:56
	buffer_load_dword v57, off, s[0:3], 0 offset:60
	v_cmp_lt_u32_e64 s[4:5], 7, v0
	s_waitcnt vmcnt(0)
	ds_write_b64 v58, v[56:57]
	s_waitcnt lgkmcnt(0)
	; wave barrier
	s_waitcnt lgkmcnt(0)
	s_and_saveexec_b64 s[10:11], s[4:5]
	s_cbranch_execz .LBB90_186
; %bb.177:
	s_andn2_b64 vcc, exec, s[8:9]
	s_cbranch_vccnz .LBB90_179
; %bb.178:
	buffer_load_dword v56, v59, s[0:3], 0 offen
	buffer_load_dword v57, v59, s[0:3], 0 offen offset:4
	ds_read_b64 v[68:69], v58
	s_waitcnt vmcnt(0) lgkmcnt(0)
	v_mul_f64 v[56:57], v[56:57], v[68:69]
	s_cbranch_execz .LBB90_180
	s_branch .LBB90_181
.LBB90_179:
                                        ; implicit-def: $vgpr56_vgpr57
.LBB90_180:
	ds_read_b64 v[56:57], v58
.LBB90_181:
	s_and_saveexec_b64 s[12:13], s[6:7]
	s_cbranch_execz .LBB90_185
; %bb.182:
	v_add_u32_e32 v68, -8, v0
	s_movk_i32 s14, 0x120
	s_mov_b64 s[6:7], 0
.LBB90_183:                             ; =>This Inner Loop Header: Depth=1
	buffer_load_dword v70, v67, s[0:3], 0 offen
	buffer_load_dword v71, v67, s[0:3], 0 offen offset:4
	v_mov_b32_e32 v69, s14
	ds_read_b64 v[72:73], v69
	v_add_u32_e32 v68, -1, v68
	s_add_i32 s14, s14, 8
	v_cmp_eq_u32_e32 vcc, 0, v68
	v_add_u32_e32 v67, 8, v67
	s_or_b64 s[6:7], vcc, s[6:7]
	s_waitcnt vmcnt(0) lgkmcnt(0)
	v_fmac_f64_e32 v[56:57], v[70:71], v[72:73]
	s_andn2_b64 exec, exec, s[6:7]
	s_cbranch_execnz .LBB90_183
; %bb.184:
	s_or_b64 exec, exec, s[6:7]
.LBB90_185:
	s_or_b64 exec, exec, s[12:13]
	v_mov_b32_e32 v67, 0
	ds_read_b64 v[68:69], v67 offset:56
	s_waitcnt lgkmcnt(0)
	v_mul_f64 v[56:57], v[56:57], v[68:69]
	buffer_store_dword v57, off, s[0:3], 0 offset:60
	buffer_store_dword v56, off, s[0:3], 0 offset:56
.LBB90_186:
	s_or_b64 exec, exec, s[10:11]
	buffer_load_dword v56, off, s[0:3], 0 offset:48
	buffer_load_dword v57, off, s[0:3], 0 offset:52
	v_cmp_lt_u32_e64 s[6:7], 6, v0
	s_waitcnt vmcnt(0)
	ds_write_b64 v58, v[56:57]
	s_waitcnt lgkmcnt(0)
	; wave barrier
	s_waitcnt lgkmcnt(0)
	s_and_saveexec_b64 s[10:11], s[6:7]
	s_cbranch_execz .LBB90_196
; %bb.187:
	s_andn2_b64 vcc, exec, s[8:9]
	s_cbranch_vccnz .LBB90_189
; %bb.188:
	buffer_load_dword v56, v59, s[0:3], 0 offen
	buffer_load_dword v57, v59, s[0:3], 0 offen offset:4
	ds_read_b64 v[68:69], v58
	s_waitcnt vmcnt(0) lgkmcnt(0)
	v_mul_f64 v[56:57], v[56:57], v[68:69]
	s_cbranch_execz .LBB90_190
	s_branch .LBB90_191
.LBB90_189:
                                        ; implicit-def: $vgpr56_vgpr57
.LBB90_190:
	ds_read_b64 v[56:57], v58
.LBB90_191:
	s_and_saveexec_b64 s[12:13], s[4:5]
	s_cbranch_execz .LBB90_195
; %bb.192:
	v_add_u32_e32 v67, -7, v0
	s_movk_i32 s14, 0x118
	s_mov_b64 s[4:5], 0
.LBB90_193:                             ; =>This Inner Loop Header: Depth=1
	buffer_load_dword v68, v66, s[0:3], 0 offen
	buffer_load_dword v69, v66, s[0:3], 0 offen offset:4
	v_mov_b32_e32 v70, s14
	ds_read_b64 v[70:71], v70
	v_add_u32_e32 v67, -1, v67
	s_add_i32 s14, s14, 8
	v_cmp_eq_u32_e32 vcc, 0, v67
	v_add_u32_e32 v66, 8, v66
	s_or_b64 s[4:5], vcc, s[4:5]
	s_waitcnt vmcnt(0) lgkmcnt(0)
	v_fmac_f64_e32 v[56:57], v[68:69], v[70:71]
	s_andn2_b64 exec, exec, s[4:5]
	s_cbranch_execnz .LBB90_193
; %bb.194:
	s_or_b64 exec, exec, s[4:5]
.LBB90_195:
	s_or_b64 exec, exec, s[12:13]
	v_mov_b32_e32 v66, 0
	ds_read_b64 v[66:67], v66 offset:48
	s_waitcnt lgkmcnt(0)
	v_mul_f64 v[56:57], v[56:57], v[66:67]
	buffer_store_dword v57, off, s[0:3], 0 offset:52
	buffer_store_dword v56, off, s[0:3], 0 offset:48
.LBB90_196:
	s_or_b64 exec, exec, s[10:11]
	buffer_load_dword v56, off, s[0:3], 0 offset:40
	buffer_load_dword v57, off, s[0:3], 0 offset:44
	v_cmp_lt_u32_e64 s[4:5], 5, v0
	s_waitcnt vmcnt(0)
	ds_write_b64 v58, v[56:57]
	s_waitcnt lgkmcnt(0)
	; wave barrier
	s_waitcnt lgkmcnt(0)
	s_and_saveexec_b64 s[10:11], s[4:5]
	s_cbranch_execz .LBB90_206
; %bb.197:
	s_andn2_b64 vcc, exec, s[8:9]
	s_cbranch_vccnz .LBB90_199
; %bb.198:
	buffer_load_dword v56, v59, s[0:3], 0 offen
	buffer_load_dword v57, v59, s[0:3], 0 offen offset:4
	ds_read_b64 v[66:67], v58
	s_waitcnt vmcnt(0) lgkmcnt(0)
	v_mul_f64 v[56:57], v[56:57], v[66:67]
	s_cbranch_execz .LBB90_200
	s_branch .LBB90_201
.LBB90_199:
                                        ; implicit-def: $vgpr56_vgpr57
.LBB90_200:
	ds_read_b64 v[56:57], v58
.LBB90_201:
	s_and_saveexec_b64 s[12:13], s[6:7]
	s_cbranch_execz .LBB90_205
; %bb.202:
	v_add_u32_e32 v66, -6, v0
	s_movk_i32 s14, 0x110
	s_mov_b64 s[6:7], 0
.LBB90_203:                             ; =>This Inner Loop Header: Depth=1
	buffer_load_dword v68, v65, s[0:3], 0 offen
	buffer_load_dword v69, v65, s[0:3], 0 offen offset:4
	v_mov_b32_e32 v67, s14
	ds_read_b64 v[70:71], v67
	v_add_u32_e32 v66, -1, v66
	s_add_i32 s14, s14, 8
	v_cmp_eq_u32_e32 vcc, 0, v66
	v_add_u32_e32 v65, 8, v65
	s_or_b64 s[6:7], vcc, s[6:7]
	s_waitcnt vmcnt(0) lgkmcnt(0)
	v_fmac_f64_e32 v[56:57], v[68:69], v[70:71]
	s_andn2_b64 exec, exec, s[6:7]
	s_cbranch_execnz .LBB90_203
; %bb.204:
	s_or_b64 exec, exec, s[6:7]
.LBB90_205:
	s_or_b64 exec, exec, s[12:13]
	v_mov_b32_e32 v65, 0
	ds_read_b64 v[66:67], v65 offset:40
	s_waitcnt lgkmcnt(0)
	v_mul_f64 v[56:57], v[56:57], v[66:67]
	buffer_store_dword v57, off, s[0:3], 0 offset:44
	buffer_store_dword v56, off, s[0:3], 0 offset:40
.LBB90_206:
	s_or_b64 exec, exec, s[10:11]
	buffer_load_dword v56, off, s[0:3], 0 offset:32
	buffer_load_dword v57, off, s[0:3], 0 offset:36
	v_cmp_lt_u32_e64 s[6:7], 4, v0
	s_waitcnt vmcnt(0)
	ds_write_b64 v58, v[56:57]
	s_waitcnt lgkmcnt(0)
	; wave barrier
	s_waitcnt lgkmcnt(0)
	s_and_saveexec_b64 s[10:11], s[6:7]
	s_cbranch_execz .LBB90_216
; %bb.207:
	s_andn2_b64 vcc, exec, s[8:9]
	s_cbranch_vccnz .LBB90_209
; %bb.208:
	buffer_load_dword v56, v59, s[0:3], 0 offen
	buffer_load_dword v57, v59, s[0:3], 0 offen offset:4
	ds_read_b64 v[66:67], v58
	s_waitcnt vmcnt(0) lgkmcnt(0)
	v_mul_f64 v[56:57], v[56:57], v[66:67]
	s_cbranch_execz .LBB90_210
	s_branch .LBB90_211
.LBB90_209:
                                        ; implicit-def: $vgpr56_vgpr57
.LBB90_210:
	ds_read_b64 v[56:57], v58
.LBB90_211:
	s_and_saveexec_b64 s[12:13], s[4:5]
	s_cbranch_execz .LBB90_215
; %bb.212:
	v_add_u32_e32 v65, -5, v0
	s_movk_i32 s14, 0x108
	s_mov_b64 s[4:5], 0
.LBB90_213:                             ; =>This Inner Loop Header: Depth=1
	buffer_load_dword v66, v64, s[0:3], 0 offen
	buffer_load_dword v67, v64, s[0:3], 0 offen offset:4
	v_mov_b32_e32 v68, s14
	ds_read_b64 v[68:69], v68
	v_add_u32_e32 v65, -1, v65
	s_add_i32 s14, s14, 8
	v_cmp_eq_u32_e32 vcc, 0, v65
	v_add_u32_e32 v64, 8, v64
	s_or_b64 s[4:5], vcc, s[4:5]
	s_waitcnt vmcnt(0) lgkmcnt(0)
	v_fmac_f64_e32 v[56:57], v[66:67], v[68:69]
	s_andn2_b64 exec, exec, s[4:5]
	s_cbranch_execnz .LBB90_213
; %bb.214:
	s_or_b64 exec, exec, s[4:5]
.LBB90_215:
	s_or_b64 exec, exec, s[12:13]
	v_mov_b32_e32 v64, 0
	ds_read_b64 v[64:65], v64 offset:32
	s_waitcnt lgkmcnt(0)
	v_mul_f64 v[56:57], v[56:57], v[64:65]
	buffer_store_dword v57, off, s[0:3], 0 offset:36
	buffer_store_dword v56, off, s[0:3], 0 offset:32
.LBB90_216:
	s_or_b64 exec, exec, s[10:11]
	buffer_load_dword v56, off, s[0:3], 0 offset:24
	buffer_load_dword v57, off, s[0:3], 0 offset:28
	v_cmp_lt_u32_e64 s[4:5], 3, v0
	s_waitcnt vmcnt(0)
	ds_write_b64 v58, v[56:57]
	s_waitcnt lgkmcnt(0)
	; wave barrier
	s_waitcnt lgkmcnt(0)
	s_and_saveexec_b64 s[10:11], s[4:5]
	s_cbranch_execz .LBB90_226
; %bb.217:
	s_andn2_b64 vcc, exec, s[8:9]
	s_cbranch_vccnz .LBB90_219
; %bb.218:
	buffer_load_dword v56, v59, s[0:3], 0 offen
	buffer_load_dword v57, v59, s[0:3], 0 offen offset:4
	ds_read_b64 v[64:65], v58
	s_waitcnt vmcnt(0) lgkmcnt(0)
	v_mul_f64 v[56:57], v[56:57], v[64:65]
	s_cbranch_execz .LBB90_220
	s_branch .LBB90_221
.LBB90_219:
                                        ; implicit-def: $vgpr56_vgpr57
.LBB90_220:
	ds_read_b64 v[56:57], v58
.LBB90_221:
	s_and_saveexec_b64 s[12:13], s[6:7]
	s_cbranch_execz .LBB90_225
; %bb.222:
	v_add_u32_e32 v64, -4, v0
	s_movk_i32 s14, 0x100
	s_mov_b64 s[6:7], 0
.LBB90_223:                             ; =>This Inner Loop Header: Depth=1
	buffer_load_dword v66, v63, s[0:3], 0 offen
	buffer_load_dword v67, v63, s[0:3], 0 offen offset:4
	v_mov_b32_e32 v65, s14
	ds_read_b64 v[68:69], v65
	v_add_u32_e32 v64, -1, v64
	s_add_i32 s14, s14, 8
	v_cmp_eq_u32_e32 vcc, 0, v64
	v_add_u32_e32 v63, 8, v63
	s_or_b64 s[6:7], vcc, s[6:7]
	s_waitcnt vmcnt(0) lgkmcnt(0)
	v_fmac_f64_e32 v[56:57], v[66:67], v[68:69]
	s_andn2_b64 exec, exec, s[6:7]
	s_cbranch_execnz .LBB90_223
; %bb.224:
	s_or_b64 exec, exec, s[6:7]
.LBB90_225:
	s_or_b64 exec, exec, s[12:13]
	v_mov_b32_e32 v63, 0
	ds_read_b64 v[64:65], v63 offset:24
	s_waitcnt lgkmcnt(0)
	v_mul_f64 v[56:57], v[56:57], v[64:65]
	buffer_store_dword v57, off, s[0:3], 0 offset:28
	buffer_store_dword v56, off, s[0:3], 0 offset:24
.LBB90_226:
	s_or_b64 exec, exec, s[10:11]
	buffer_load_dword v56, off, s[0:3], 0 offset:16
	buffer_load_dword v57, off, s[0:3], 0 offset:20
	v_cmp_lt_u32_e64 s[6:7], 2, v0
	s_waitcnt vmcnt(0)
	ds_write_b64 v58, v[56:57]
	s_waitcnt lgkmcnt(0)
	; wave barrier
	s_waitcnt lgkmcnt(0)
	s_and_saveexec_b64 s[10:11], s[6:7]
	s_cbranch_execz .LBB90_236
; %bb.227:
	s_andn2_b64 vcc, exec, s[8:9]
	s_cbranch_vccnz .LBB90_229
; %bb.228:
	buffer_load_dword v56, v59, s[0:3], 0 offen
	buffer_load_dword v57, v59, s[0:3], 0 offen offset:4
	ds_read_b64 v[64:65], v58
	s_waitcnt vmcnt(0) lgkmcnt(0)
	v_mul_f64 v[56:57], v[56:57], v[64:65]
	s_cbranch_execz .LBB90_230
	s_branch .LBB90_231
.LBB90_229:
                                        ; implicit-def: $vgpr56_vgpr57
.LBB90_230:
	ds_read_b64 v[56:57], v58
.LBB90_231:
	s_and_saveexec_b64 s[12:13], s[4:5]
	s_cbranch_execz .LBB90_235
; %bb.232:
	v_add_u32_e32 v63, -3, v0
	s_movk_i32 s14, 0xf8
	s_mov_b64 s[4:5], 0
.LBB90_233:                             ; =>This Inner Loop Header: Depth=1
	buffer_load_dword v64, v62, s[0:3], 0 offen
	buffer_load_dword v65, v62, s[0:3], 0 offen offset:4
	v_mov_b32_e32 v66, s14
	ds_read_b64 v[66:67], v66
	v_add_u32_e32 v63, -1, v63
	s_add_i32 s14, s14, 8
	v_cmp_eq_u32_e32 vcc, 0, v63
	v_add_u32_e32 v62, 8, v62
	s_or_b64 s[4:5], vcc, s[4:5]
	s_waitcnt vmcnt(0) lgkmcnt(0)
	v_fmac_f64_e32 v[56:57], v[64:65], v[66:67]
	s_andn2_b64 exec, exec, s[4:5]
	s_cbranch_execnz .LBB90_233
; %bb.234:
	s_or_b64 exec, exec, s[4:5]
.LBB90_235:
	s_or_b64 exec, exec, s[12:13]
	v_mov_b32_e32 v62, 0
	ds_read_b64 v[62:63], v62 offset:16
	s_waitcnt lgkmcnt(0)
	v_mul_f64 v[56:57], v[56:57], v[62:63]
	buffer_store_dword v57, off, s[0:3], 0 offset:20
	buffer_store_dword v56, off, s[0:3], 0 offset:16
.LBB90_236:
	s_or_b64 exec, exec, s[10:11]
	buffer_load_dword v56, off, s[0:3], 0 offset:8
	buffer_load_dword v57, off, s[0:3], 0 offset:12
	v_cmp_lt_u32_e64 s[4:5], 1, v0
	s_waitcnt vmcnt(0)
	ds_write_b64 v58, v[56:57]
	s_waitcnt lgkmcnt(0)
	; wave barrier
	s_waitcnt lgkmcnt(0)
	s_and_saveexec_b64 s[10:11], s[4:5]
	s_cbranch_execz .LBB90_246
; %bb.237:
	s_andn2_b64 vcc, exec, s[8:9]
	s_cbranch_vccnz .LBB90_239
; %bb.238:
	buffer_load_dword v56, v59, s[0:3], 0 offen
	buffer_load_dword v57, v59, s[0:3], 0 offen offset:4
	ds_read_b64 v[62:63], v58
	s_waitcnt vmcnt(0) lgkmcnt(0)
	v_mul_f64 v[56:57], v[56:57], v[62:63]
	s_cbranch_execz .LBB90_240
	s_branch .LBB90_241
.LBB90_239:
                                        ; implicit-def: $vgpr56_vgpr57
.LBB90_240:
	ds_read_b64 v[56:57], v58
.LBB90_241:
	s_and_saveexec_b64 s[12:13], s[6:7]
	s_cbranch_execz .LBB90_245
; %bb.242:
	v_add_u32_e32 v62, -2, v0
	s_movk_i32 s14, 0xf0
	s_mov_b64 s[6:7], 0
.LBB90_243:                             ; =>This Inner Loop Header: Depth=1
	buffer_load_dword v64, v61, s[0:3], 0 offen
	buffer_load_dword v65, v61, s[0:3], 0 offen offset:4
	v_mov_b32_e32 v63, s14
	ds_read_b64 v[66:67], v63
	v_add_u32_e32 v62, -1, v62
	s_add_i32 s14, s14, 8
	v_cmp_eq_u32_e32 vcc, 0, v62
	v_add_u32_e32 v61, 8, v61
	s_or_b64 s[6:7], vcc, s[6:7]
	s_waitcnt vmcnt(0) lgkmcnt(0)
	v_fmac_f64_e32 v[56:57], v[64:65], v[66:67]
	s_andn2_b64 exec, exec, s[6:7]
	s_cbranch_execnz .LBB90_243
; %bb.244:
	s_or_b64 exec, exec, s[6:7]
.LBB90_245:
	s_or_b64 exec, exec, s[12:13]
	v_mov_b32_e32 v61, 0
	ds_read_b64 v[62:63], v61 offset:8
	s_waitcnt lgkmcnt(0)
	v_mul_f64 v[56:57], v[56:57], v[62:63]
	buffer_store_dword v57, off, s[0:3], 0 offset:12
	buffer_store_dword v56, off, s[0:3], 0 offset:8
.LBB90_246:
	s_or_b64 exec, exec, s[10:11]
	buffer_load_dword v56, off, s[0:3], 0
	buffer_load_dword v57, off, s[0:3], 0 offset:4
	v_cmp_ne_u32_e32 vcc, 0, v0
	s_waitcnt vmcnt(0)
	ds_write_b64 v58, v[56:57]
	s_waitcnt lgkmcnt(0)
	; wave barrier
	s_waitcnt lgkmcnt(0)
	s_and_saveexec_b64 s[6:7], vcc
	s_cbranch_execz .LBB90_256
; %bb.247:
	s_andn2_b64 vcc, exec, s[8:9]
	s_cbranch_vccnz .LBB90_249
; %bb.248:
	buffer_load_dword v56, v59, s[0:3], 0 offen
	buffer_load_dword v57, v59, s[0:3], 0 offen offset:4
	ds_read_b64 v[62:63], v58
	s_waitcnt vmcnt(0) lgkmcnt(0)
	v_mul_f64 v[56:57], v[56:57], v[62:63]
	s_cbranch_execz .LBB90_250
	s_branch .LBB90_251
.LBB90_249:
                                        ; implicit-def: $vgpr56_vgpr57
.LBB90_250:
	ds_read_b64 v[56:57], v58
.LBB90_251:
	s_and_saveexec_b64 s[10:11], s[4:5]
	s_cbranch_execz .LBB90_255
; %bb.252:
	v_add_u32_e32 v61, -1, v0
	s_movk_i32 s12, 0xe8
	s_mov_b64 s[4:5], 0
.LBB90_253:                             ; =>This Inner Loop Header: Depth=1
	buffer_load_dword v62, v60, s[0:3], 0 offen
	buffer_load_dword v63, v60, s[0:3], 0 offen offset:4
	v_mov_b32_e32 v64, s12
	ds_read_b64 v[64:65], v64
	v_add_u32_e32 v61, -1, v61
	s_add_i32 s12, s12, 8
	v_cmp_eq_u32_e32 vcc, 0, v61
	v_add_u32_e32 v60, 8, v60
	s_or_b64 s[4:5], vcc, s[4:5]
	s_waitcnt vmcnt(0) lgkmcnt(0)
	v_fmac_f64_e32 v[56:57], v[62:63], v[64:65]
	s_andn2_b64 exec, exec, s[4:5]
	s_cbranch_execnz .LBB90_253
; %bb.254:
	s_or_b64 exec, exec, s[4:5]
.LBB90_255:
	s_or_b64 exec, exec, s[10:11]
	v_mov_b32_e32 v60, 0
	ds_read_b64 v[60:61], v60
	s_waitcnt lgkmcnt(0)
	v_mul_f64 v[56:57], v[56:57], v[60:61]
	buffer_store_dword v57, off, s[0:3], 0 offset:4
	buffer_store_dword v56, off, s[0:3], 0
.LBB90_256:
	s_or_b64 exec, exec, s[6:7]
	s_mov_b64 s[4:5], 0
.LBB90_257:
	s_and_b64 vcc, exec, s[4:5]
	s_cbranch_vccz .LBB90_511
; %bb.258:
	buffer_load_dword v56, off, s[0:3], 0 offset:8
	buffer_load_dword v57, off, s[0:3], 0 offset:12
	v_cmp_eq_u32_e64 s[6:7], 0, v0
	s_waitcnt vmcnt(0)
	ds_write_b64 v58, v[56:57]
	s_waitcnt lgkmcnt(0)
	; wave barrier
	s_waitcnt lgkmcnt(0)
	s_and_saveexec_b64 s[4:5], s[6:7]
	s_cbranch_execz .LBB90_264
; %bb.259:
	s_and_b64 vcc, exec, s[8:9]
	s_cbranch_vccz .LBB90_261
; %bb.260:
	buffer_load_dword v56, v59, s[0:3], 0 offen
	buffer_load_dword v57, v59, s[0:3], 0 offen offset:4
	ds_read_b64 v[60:61], v58
	s_waitcnt vmcnt(0) lgkmcnt(0)
	v_mul_f64 v[56:57], v[56:57], v[60:61]
	s_cbranch_execz .LBB90_262
	s_branch .LBB90_263
.LBB90_261:
                                        ; implicit-def: $vgpr56_vgpr57
.LBB90_262:
	ds_read_b64 v[56:57], v58
.LBB90_263:
	v_mov_b32_e32 v60, 0
	ds_read_b64 v[60:61], v60 offset:8
	s_waitcnt lgkmcnt(0)
	v_mul_f64 v[56:57], v[56:57], v[60:61]
	buffer_store_dword v57, off, s[0:3], 0 offset:12
	buffer_store_dword v56, off, s[0:3], 0 offset:8
.LBB90_264:
	s_or_b64 exec, exec, s[4:5]
	buffer_load_dword v56, off, s[0:3], 0 offset:16
	buffer_load_dword v57, off, s[0:3], 0 offset:20
	v_cndmask_b32_e64 v60, 0, 1, s[8:9]
	v_cmp_gt_u32_e32 vcc, 2, v0
	v_cmp_ne_u32_e64 s[4:5], 1, v60
	s_waitcnt vmcnt(0)
	ds_write_b64 v58, v[56:57]
	s_waitcnt lgkmcnt(0)
	; wave barrier
	s_waitcnt lgkmcnt(0)
	s_and_saveexec_b64 s[8:9], vcc
	s_cbranch_execz .LBB90_272
; %bb.265:
	s_and_b64 vcc, exec, s[4:5]
	s_cbranch_vccnz .LBB90_267
; %bb.266:
	buffer_load_dword v56, v59, s[0:3], 0 offen
	buffer_load_dword v57, v59, s[0:3], 0 offen offset:4
	ds_read_b64 v[60:61], v58
	s_waitcnt vmcnt(0) lgkmcnt(0)
	v_mul_f64 v[56:57], v[56:57], v[60:61]
	s_cbranch_execz .LBB90_268
	s_branch .LBB90_269
.LBB90_267:
                                        ; implicit-def: $vgpr56_vgpr57
.LBB90_268:
	ds_read_b64 v[56:57], v58
.LBB90_269:
	s_and_saveexec_b64 s[10:11], s[6:7]
	s_cbranch_execz .LBB90_271
; %bb.270:
	buffer_load_dword v60, v59, s[0:3], 0 offen offset:8
	buffer_load_dword v61, v59, s[0:3], 0 offen offset:12
	ds_read_b64 v[62:63], v58 offset:8
	s_waitcnt vmcnt(0) lgkmcnt(0)
	v_fmac_f64_e32 v[56:57], v[60:61], v[62:63]
.LBB90_271:
	s_or_b64 exec, exec, s[10:11]
	v_mov_b32_e32 v60, 0
	ds_read_b64 v[60:61], v60 offset:16
	s_waitcnt lgkmcnt(0)
	v_mul_f64 v[56:57], v[56:57], v[60:61]
	buffer_store_dword v57, off, s[0:3], 0 offset:20
	buffer_store_dword v56, off, s[0:3], 0 offset:16
.LBB90_272:
	s_or_b64 exec, exec, s[8:9]
	buffer_load_dword v56, off, s[0:3], 0 offset:24
	buffer_load_dword v57, off, s[0:3], 0 offset:28
	v_cmp_gt_u32_e32 vcc, 3, v0
	s_waitcnt vmcnt(0)
	ds_write_b64 v58, v[56:57]
	s_waitcnt lgkmcnt(0)
	; wave barrier
	s_waitcnt lgkmcnt(0)
	s_and_saveexec_b64 s[8:9], vcc
	s_cbranch_execz .LBB90_280
; %bb.273:
	s_and_b64 vcc, exec, s[4:5]
	s_cbranch_vccnz .LBB90_275
; %bb.274:
	buffer_load_dword v56, v59, s[0:3], 0 offen
	buffer_load_dword v57, v59, s[0:3], 0 offen offset:4
	ds_read_b64 v[60:61], v58
	s_waitcnt vmcnt(0) lgkmcnt(0)
	v_mul_f64 v[56:57], v[56:57], v[60:61]
	s_cbranch_execz .LBB90_276
	s_branch .LBB90_277
.LBB90_275:
                                        ; implicit-def: $vgpr56_vgpr57
.LBB90_276:
	ds_read_b64 v[56:57], v58
.LBB90_277:
	v_cmp_ne_u32_e32 vcc, 2, v0
	s_and_saveexec_b64 s[10:11], vcc
	s_cbranch_execz .LBB90_279
; %bb.278:
	buffer_load_dword v61, v59, s[0:3], 0 offen offset:12
	buffer_load_dword v62, off, s[0:3], 0 offset:16
	buffer_load_dword v60, v59, s[0:3], 0 offen offset:8
	buffer_load_dword v63, off, s[0:3], 0 offset:20
	v_mov_b32_e32 v66, 0
	ds_read_b64 v[64:65], v58 offset:8
	ds_read_b64 v[66:67], v66 offset:240
	s_waitcnt vmcnt(1) lgkmcnt(1)
	v_fmac_f64_e32 v[56:57], v[60:61], v[64:65]
	s_waitcnt vmcnt(0) lgkmcnt(0)
	v_fma_f64 v[60:61], v[62:63], v[66:67], v[56:57]
	v_cndmask_b32_e64 v57, v57, v61, s[6:7]
	v_cndmask_b32_e64 v56, v56, v60, s[6:7]
.LBB90_279:
	s_or_b64 exec, exec, s[10:11]
	v_mov_b32_e32 v60, 0
	ds_read_b64 v[60:61], v60 offset:24
	s_waitcnt lgkmcnt(0)
	v_mul_f64 v[56:57], v[56:57], v[60:61]
	buffer_store_dword v57, off, s[0:3], 0 offset:28
	buffer_store_dword v56, off, s[0:3], 0 offset:24
.LBB90_280:
	s_or_b64 exec, exec, s[8:9]
	buffer_load_dword v56, off, s[0:3], 0 offset:32
	buffer_load_dword v57, off, s[0:3], 0 offset:36
	v_cmp_gt_u32_e32 vcc, 4, v0
	s_waitcnt vmcnt(0)
	ds_write_b64 v58, v[56:57]
	s_waitcnt lgkmcnt(0)
	; wave barrier
	s_waitcnt lgkmcnt(0)
	s_and_saveexec_b64 s[6:7], vcc
	s_cbranch_execz .LBB90_290
; %bb.281:
	s_and_b64 vcc, exec, s[4:5]
	s_cbranch_vccnz .LBB90_283
; %bb.282:
	buffer_load_dword v56, v59, s[0:3], 0 offen
	buffer_load_dword v57, v59, s[0:3], 0 offen offset:4
	ds_read_b64 v[60:61], v58
	s_waitcnt vmcnt(0) lgkmcnt(0)
	v_mul_f64 v[56:57], v[56:57], v[60:61]
	s_cbranch_execz .LBB90_284
	s_branch .LBB90_285
.LBB90_283:
                                        ; implicit-def: $vgpr56_vgpr57
.LBB90_284:
	ds_read_b64 v[56:57], v58
.LBB90_285:
	v_cmp_ne_u32_e32 vcc, 3, v0
	s_and_saveexec_b64 s[8:9], vcc
	s_cbranch_execz .LBB90_289
; %bb.286:
	v_mov_b32_e32 v61, 0
	v_add_u32_e32 v60, 0xe8, v1
	v_add3_u32 v61, v1, v61, 8
	s_mov_b64 s[10:11], 0
	v_mov_b32_e32 v62, v0
.LBB90_287:                             ; =>This Inner Loop Header: Depth=1
	buffer_load_dword v64, v61, s[0:3], 0 offen
	buffer_load_dword v65, v61, s[0:3], 0 offen offset:4
	ds_read_b64 v[66:67], v60
	v_add_u32_e32 v62, 1, v62
	v_cmp_lt_u32_e32 vcc, 2, v62
	v_add_u32_e32 v60, 8, v60
	v_add_u32_e32 v61, 8, v61
	s_or_b64 s[10:11], vcc, s[10:11]
	s_waitcnt vmcnt(0) lgkmcnt(0)
	v_fmac_f64_e32 v[56:57], v[64:65], v[66:67]
	s_andn2_b64 exec, exec, s[10:11]
	s_cbranch_execnz .LBB90_287
; %bb.288:
	s_or_b64 exec, exec, s[10:11]
.LBB90_289:
	s_or_b64 exec, exec, s[8:9]
	v_mov_b32_e32 v60, 0
	ds_read_b64 v[60:61], v60 offset:32
	s_waitcnt lgkmcnt(0)
	v_mul_f64 v[56:57], v[56:57], v[60:61]
	buffer_store_dword v57, off, s[0:3], 0 offset:36
	buffer_store_dword v56, off, s[0:3], 0 offset:32
.LBB90_290:
	s_or_b64 exec, exec, s[6:7]
	buffer_load_dword v56, off, s[0:3], 0 offset:40
	buffer_load_dword v57, off, s[0:3], 0 offset:44
	v_cmp_gt_u32_e32 vcc, 5, v0
	s_waitcnt vmcnt(0)
	ds_write_b64 v58, v[56:57]
	s_waitcnt lgkmcnt(0)
	; wave barrier
	s_waitcnt lgkmcnt(0)
	s_and_saveexec_b64 s[6:7], vcc
	s_cbranch_execz .LBB90_300
; %bb.291:
	s_and_b64 vcc, exec, s[4:5]
	s_cbranch_vccnz .LBB90_293
; %bb.292:
	buffer_load_dword v56, v59, s[0:3], 0 offen
	buffer_load_dword v57, v59, s[0:3], 0 offen offset:4
	ds_read_b64 v[60:61], v58
	s_waitcnt vmcnt(0) lgkmcnt(0)
	v_mul_f64 v[56:57], v[56:57], v[60:61]
	s_cbranch_execz .LBB90_294
	s_branch .LBB90_295
.LBB90_293:
                                        ; implicit-def: $vgpr56_vgpr57
.LBB90_294:
	ds_read_b64 v[56:57], v58
.LBB90_295:
	v_cmp_ne_u32_e32 vcc, 4, v0
	s_and_saveexec_b64 s[8:9], vcc
	s_cbranch_execz .LBB90_299
; %bb.296:
	v_mov_b32_e32 v61, 0
	v_add_u32_e32 v60, 0xe8, v1
	v_add3_u32 v61, v1, v61, 8
	s_mov_b64 s[10:11], 0
	v_mov_b32_e32 v62, v0
.LBB90_297:                             ; =>This Inner Loop Header: Depth=1
	buffer_load_dword v64, v61, s[0:3], 0 offen
	buffer_load_dword v65, v61, s[0:3], 0 offen offset:4
	ds_read_b64 v[66:67], v60
	v_add_u32_e32 v62, 1, v62
	v_cmp_lt_u32_e32 vcc, 3, v62
	v_add_u32_e32 v60, 8, v60
	v_add_u32_e32 v61, 8, v61
	s_or_b64 s[10:11], vcc, s[10:11]
	s_waitcnt vmcnt(0) lgkmcnt(0)
	v_fmac_f64_e32 v[56:57], v[64:65], v[66:67]
	s_andn2_b64 exec, exec, s[10:11]
	s_cbranch_execnz .LBB90_297
; %bb.298:
	s_or_b64 exec, exec, s[10:11]
.LBB90_299:
	s_or_b64 exec, exec, s[8:9]
	v_mov_b32_e32 v60, 0
	ds_read_b64 v[60:61], v60 offset:40
	s_waitcnt lgkmcnt(0)
	v_mul_f64 v[56:57], v[56:57], v[60:61]
	buffer_store_dword v57, off, s[0:3], 0 offset:44
	buffer_store_dword v56, off, s[0:3], 0 offset:40
.LBB90_300:
	;; [unrolled: 60-line block ×21, first 2 shown]
	s_or_b64 exec, exec, s[6:7]
	buffer_load_dword v56, off, s[0:3], 0 offset:200
	buffer_load_dword v57, off, s[0:3], 0 offset:204
	v_cmp_gt_u32_e64 s[6:7], 25, v0
	s_waitcnt vmcnt(0)
	ds_write_b64 v58, v[56:57]
	s_waitcnt lgkmcnt(0)
	; wave barrier
	s_waitcnt lgkmcnt(0)
	s_and_saveexec_b64 s[8:9], s[6:7]
	s_cbranch_execz .LBB90_500
; %bb.491:
	s_and_b64 vcc, exec, s[4:5]
	s_cbranch_vccnz .LBB90_493
; %bb.492:
	buffer_load_dword v56, v59, s[0:3], 0 offen
	buffer_load_dword v57, v59, s[0:3], 0 offen offset:4
	ds_read_b64 v[60:61], v58
	s_waitcnt vmcnt(0) lgkmcnt(0)
	v_mul_f64 v[56:57], v[56:57], v[60:61]
	s_cbranch_execz .LBB90_494
	s_branch .LBB90_495
.LBB90_493:
                                        ; implicit-def: $vgpr56_vgpr57
.LBB90_494:
	ds_read_b64 v[56:57], v58
.LBB90_495:
	v_cmp_ne_u32_e32 vcc, 24, v0
	s_and_saveexec_b64 s[10:11], vcc
	s_cbranch_execz .LBB90_499
; %bb.496:
	v_mov_b32_e32 v61, 0
	v_add_u32_e32 v60, 0xe8, v1
	v_add3_u32 v61, v1, v61, 8
	s_mov_b64 s[12:13], 0
	v_mov_b32_e32 v62, v0
.LBB90_497:                             ; =>This Inner Loop Header: Depth=1
	buffer_load_dword v64, v61, s[0:3], 0 offen
	buffer_load_dword v65, v61, s[0:3], 0 offen offset:4
	ds_read_b64 v[66:67], v60
	v_add_u32_e32 v62, 1, v62
	v_cmp_lt_u32_e32 vcc, 23, v62
	v_add_u32_e32 v60, 8, v60
	v_add_u32_e32 v61, 8, v61
	s_or_b64 s[12:13], vcc, s[12:13]
	s_waitcnt vmcnt(0) lgkmcnt(0)
	v_fmac_f64_e32 v[56:57], v[64:65], v[66:67]
	s_andn2_b64 exec, exec, s[12:13]
	s_cbranch_execnz .LBB90_497
; %bb.498:
	s_or_b64 exec, exec, s[12:13]
.LBB90_499:
	s_or_b64 exec, exec, s[10:11]
	v_mov_b32_e32 v60, 0
	ds_read_b64 v[60:61], v60 offset:200
	s_waitcnt lgkmcnt(0)
	v_mul_f64 v[56:57], v[56:57], v[60:61]
	buffer_store_dword v57, off, s[0:3], 0 offset:204
	buffer_store_dword v56, off, s[0:3], 0 offset:200
.LBB90_500:
	s_or_b64 exec, exec, s[8:9]
	buffer_load_dword v56, off, s[0:3], 0 offset:208
	buffer_load_dword v57, off, s[0:3], 0 offset:212
	v_cmp_ne_u32_e32 vcc, 26, v0
	s_waitcnt vmcnt(0)
	ds_write_b64 v58, v[56:57]
	s_waitcnt lgkmcnt(0)
	; wave barrier
	s_waitcnt lgkmcnt(0)
	s_and_saveexec_b64 s[8:9], vcc
	s_cbranch_execz .LBB90_510
; %bb.501:
	s_and_b64 vcc, exec, s[4:5]
	s_cbranch_vccnz .LBB90_503
; %bb.502:
	buffer_load_dword v56, v59, s[0:3], 0 offen
	buffer_load_dword v57, v59, s[0:3], 0 offen offset:4
	ds_read_b64 v[60:61], v58
	s_waitcnt vmcnt(0) lgkmcnt(0)
	v_mul_f64 v[56:57], v[56:57], v[60:61]
	s_cbranch_execz .LBB90_504
	s_branch .LBB90_505
.LBB90_503:
                                        ; implicit-def: $vgpr56_vgpr57
.LBB90_504:
	ds_read_b64 v[56:57], v58
.LBB90_505:
	s_and_saveexec_b64 s[4:5], s[6:7]
	s_cbranch_execz .LBB90_509
; %bb.506:
	v_mov_b32_e32 v59, 0
	v_add_u32_e32 v58, 0xe8, v1
	v_add3_u32 v1, v1, v59, 8
	s_mov_b64 s[6:7], 0
.LBB90_507:                             ; =>This Inner Loop Header: Depth=1
	buffer_load_dword v60, v1, s[0:3], 0 offen
	buffer_load_dword v61, v1, s[0:3], 0 offen offset:4
	ds_read_b64 v[62:63], v58
	v_add_u32_e32 v0, 1, v0
	v_cmp_lt_u32_e32 vcc, 24, v0
	v_add_u32_e32 v58, 8, v58
	v_add_u32_e32 v1, 8, v1
	s_or_b64 s[6:7], vcc, s[6:7]
	s_waitcnt vmcnt(0) lgkmcnt(0)
	v_fmac_f64_e32 v[56:57], v[60:61], v[62:63]
	s_andn2_b64 exec, exec, s[6:7]
	s_cbranch_execnz .LBB90_507
; %bb.508:
	s_or_b64 exec, exec, s[6:7]
.LBB90_509:
	s_or_b64 exec, exec, s[4:5]
	v_mov_b32_e32 v0, 0
	ds_read_b64 v[0:1], v0 offset:208
	s_waitcnt lgkmcnt(0)
	v_mul_f64 v[0:1], v[56:57], v[0:1]
	buffer_store_dword v1, off, s[0:3], 0 offset:212
	buffer_store_dword v0, off, s[0:3], 0 offset:208
.LBB90_510:
	s_or_b64 exec, exec, s[8:9]
.LBB90_511:
	buffer_load_dword v0, off, s[0:3], 0
	buffer_load_dword v1, off, s[0:3], 0 offset:4
	buffer_load_dword v56, off, s[0:3], 0 offset:8
	buffer_load_dword v57, off, s[0:3], 0 offset:12
	buffer_load_dword v58, off, s[0:3], 0 offset:16
	buffer_load_dword v59, off, s[0:3], 0 offset:20
	buffer_load_dword v60, off, s[0:3], 0 offset:24
	buffer_load_dword v61, off, s[0:3], 0 offset:28
	buffer_load_dword v62, off, s[0:3], 0 offset:32
	buffer_load_dword v63, off, s[0:3], 0 offset:36
	buffer_load_dword v64, off, s[0:3], 0 offset:40
	buffer_load_dword v65, off, s[0:3], 0 offset:44
	buffer_load_dword v66, off, s[0:3], 0 offset:48
	buffer_load_dword v67, off, s[0:3], 0 offset:52
	buffer_load_dword v68, off, s[0:3], 0 offset:56
	buffer_load_dword v69, off, s[0:3], 0 offset:60
	buffer_load_dword v70, off, s[0:3], 0 offset:72
	buffer_load_dword v71, off, s[0:3], 0 offset:76
	buffer_load_dword v72, off, s[0:3], 0 offset:80
	buffer_load_dword v73, off, s[0:3], 0 offset:84
	buffer_load_dword v74, off, s[0:3], 0 offset:88
	buffer_load_dword v75, off, s[0:3], 0 offset:92
	buffer_load_dword v77, off, s[0:3], 0 offset:68
	buffer_load_dword v76, off, s[0:3], 0 offset:64
	buffer_load_dword v78, off, s[0:3], 0 offset:96
	buffer_load_dword v79, off, s[0:3], 0 offset:100
	buffer_load_dword v80, off, s[0:3], 0 offset:104
	buffer_load_dword v81, off, s[0:3], 0 offset:108
	buffer_load_dword v82, off, s[0:3], 0 offset:112
	buffer_load_dword v83, off, s[0:3], 0 offset:116
	buffer_load_dword v84, off, s[0:3], 0 offset:120
	buffer_load_dword v85, off, s[0:3], 0 offset:124
	buffer_load_dword v86, off, s[0:3], 0 offset:128
	buffer_load_dword v87, off, s[0:3], 0 offset:132
	buffer_load_dword v88, off, s[0:3], 0 offset:136
	buffer_load_dword v89, off, s[0:3], 0 offset:140
	buffer_load_dword v90, off, s[0:3], 0 offset:144
	buffer_load_dword v91, off, s[0:3], 0 offset:148
	buffer_load_dword v92, off, s[0:3], 0 offset:152
	buffer_load_dword v93, off, s[0:3], 0 offset:156
	buffer_load_dword v94, off, s[0:3], 0 offset:160
	buffer_load_dword v95, off, s[0:3], 0 offset:164
	buffer_load_dword v96, off, s[0:3], 0 offset:168
	buffer_load_dword v97, off, s[0:3], 0 offset:172
	buffer_load_dword v98, off, s[0:3], 0 offset:176
	buffer_load_dword v99, off, s[0:3], 0 offset:180
	buffer_load_dword v100, off, s[0:3], 0 offset:184
	buffer_load_dword v101, off, s[0:3], 0 offset:188
	buffer_load_dword v102, off, s[0:3], 0 offset:192
	buffer_load_dword v103, off, s[0:3], 0 offset:196
	buffer_load_dword v104, off, s[0:3], 0 offset:200
	buffer_load_dword v105, off, s[0:3], 0 offset:204
	buffer_load_dword v106, off, s[0:3], 0 offset:208
	buffer_load_dword v107, off, s[0:3], 0 offset:212
	s_waitcnt vmcnt(52)
	global_store_dwordx2 v[2:3], v[0:1], off
	s_waitcnt vmcnt(51)
	global_store_dwordx2 v[46:47], v[56:57], off
	;; [unrolled: 2-line block ×9, first 2 shown]
	global_store_dwordx2 v[18:19], v[70:71], off
	global_store_dwordx2 v[20:21], v[72:73], off
	;; [unrolled: 1-line block ×3, first 2 shown]
	s_waitcnt vmcnt(40)
	global_store_dwordx2 v[24:25], v[78:79], off
	s_waitcnt vmcnt(39)
	global_store_dwordx2 v[26:27], v[80:81], off
	;; [unrolled: 2-line block ×15, first 2 shown]
.LBB90_512:
	s_endpgm
	.section	.rodata,"a",@progbits
	.p2align	6, 0x0
	.amdhsa_kernel _ZN9rocsolver6v33100L18trti2_kernel_smallILi27EdPKPdEEv13rocblas_fill_17rocblas_diagonal_T1_iil
		.amdhsa_group_segment_fixed_size 440
		.amdhsa_private_segment_fixed_size 224
		.amdhsa_kernarg_size 32
		.amdhsa_user_sgpr_count 8
		.amdhsa_user_sgpr_private_segment_buffer 1
		.amdhsa_user_sgpr_dispatch_ptr 0
		.amdhsa_user_sgpr_queue_ptr 0
		.amdhsa_user_sgpr_kernarg_segment_ptr 1
		.amdhsa_user_sgpr_dispatch_id 0
		.amdhsa_user_sgpr_flat_scratch_init 1
		.amdhsa_user_sgpr_kernarg_preload_length 0
		.amdhsa_user_sgpr_kernarg_preload_offset 0
		.amdhsa_user_sgpr_private_segment_size 0
		.amdhsa_uses_dynamic_stack 0
		.amdhsa_system_sgpr_private_segment_wavefront_offset 1
		.amdhsa_system_sgpr_workgroup_id_x 1
		.amdhsa_system_sgpr_workgroup_id_y 0
		.amdhsa_system_sgpr_workgroup_id_z 0
		.amdhsa_system_sgpr_workgroup_info 0
		.amdhsa_system_vgpr_workitem_id 0
		.amdhsa_next_free_vgpr 110
		.amdhsa_next_free_sgpr 16
		.amdhsa_accum_offset 112
		.amdhsa_reserve_vcc 1
		.amdhsa_reserve_flat_scratch 0
		.amdhsa_float_round_mode_32 0
		.amdhsa_float_round_mode_16_64 0
		.amdhsa_float_denorm_mode_32 3
		.amdhsa_float_denorm_mode_16_64 3
		.amdhsa_dx10_clamp 1
		.amdhsa_ieee_mode 1
		.amdhsa_fp16_overflow 0
		.amdhsa_tg_split 0
		.amdhsa_exception_fp_ieee_invalid_op 0
		.amdhsa_exception_fp_denorm_src 0
		.amdhsa_exception_fp_ieee_div_zero 0
		.amdhsa_exception_fp_ieee_overflow 0
		.amdhsa_exception_fp_ieee_underflow 0
		.amdhsa_exception_fp_ieee_inexact 0
		.amdhsa_exception_int_div_zero 0
	.end_amdhsa_kernel
	.section	.text._ZN9rocsolver6v33100L18trti2_kernel_smallILi27EdPKPdEEv13rocblas_fill_17rocblas_diagonal_T1_iil,"axG",@progbits,_ZN9rocsolver6v33100L18trti2_kernel_smallILi27EdPKPdEEv13rocblas_fill_17rocblas_diagonal_T1_iil,comdat
.Lfunc_end90:
	.size	_ZN9rocsolver6v33100L18trti2_kernel_smallILi27EdPKPdEEv13rocblas_fill_17rocblas_diagonal_T1_iil, .Lfunc_end90-_ZN9rocsolver6v33100L18trti2_kernel_smallILi27EdPKPdEEv13rocblas_fill_17rocblas_diagonal_T1_iil
                                        ; -- End function
	.section	.AMDGPU.csdata,"",@progbits
; Kernel info:
; codeLenInByte = 15584
; NumSgprs: 20
; NumVgprs: 110
; NumAgprs: 0
; TotalNumVgprs: 110
; ScratchSize: 224
; MemoryBound: 0
; FloatMode: 240
; IeeeMode: 1
; LDSByteSize: 440 bytes/workgroup (compile time only)
; SGPRBlocks: 2
; VGPRBlocks: 13
; NumSGPRsForWavesPerEU: 20
; NumVGPRsForWavesPerEU: 110
; AccumOffset: 112
; Occupancy: 4
; WaveLimiterHint : 1
; COMPUTE_PGM_RSRC2:SCRATCH_EN: 1
; COMPUTE_PGM_RSRC2:USER_SGPR: 8
; COMPUTE_PGM_RSRC2:TRAP_HANDLER: 0
; COMPUTE_PGM_RSRC2:TGID_X_EN: 1
; COMPUTE_PGM_RSRC2:TGID_Y_EN: 0
; COMPUTE_PGM_RSRC2:TGID_Z_EN: 0
; COMPUTE_PGM_RSRC2:TIDIG_COMP_CNT: 0
; COMPUTE_PGM_RSRC3_GFX90A:ACCUM_OFFSET: 27
; COMPUTE_PGM_RSRC3_GFX90A:TG_SPLIT: 0
	.section	.text._ZN9rocsolver6v33100L18trti2_kernel_smallILi28EdPKPdEEv13rocblas_fill_17rocblas_diagonal_T1_iil,"axG",@progbits,_ZN9rocsolver6v33100L18trti2_kernel_smallILi28EdPKPdEEv13rocblas_fill_17rocblas_diagonal_T1_iil,comdat
	.globl	_ZN9rocsolver6v33100L18trti2_kernel_smallILi28EdPKPdEEv13rocblas_fill_17rocblas_diagonal_T1_iil ; -- Begin function _ZN9rocsolver6v33100L18trti2_kernel_smallILi28EdPKPdEEv13rocblas_fill_17rocblas_diagonal_T1_iil
	.p2align	8
	.type	_ZN9rocsolver6v33100L18trti2_kernel_smallILi28EdPKPdEEv13rocblas_fill_17rocblas_diagonal_T1_iil,@function
_ZN9rocsolver6v33100L18trti2_kernel_smallILi28EdPKPdEEv13rocblas_fill_17rocblas_diagonal_T1_iil: ; @_ZN9rocsolver6v33100L18trti2_kernel_smallILi28EdPKPdEEv13rocblas_fill_17rocblas_diagonal_T1_iil
; %bb.0:
	s_add_u32 s0, s0, s9
	s_addc_u32 s1, s1, 0
	v_cmp_gt_u32_e32 vcc, 28, v0
	s_and_saveexec_b64 s[6:7], vcc
	s_cbranch_execz .LBB91_532
; %bb.1:
	s_load_dwordx2 s[6:7], s[4:5], 0x10
	s_load_dwordx4 s[12:15], s[4:5], 0x0
	s_ashr_i32 s9, s8, 31
	s_lshl_b64 s[4:5], s[8:9], 3
	v_lshlrev_b32_e32 v1, 3, v0
	s_waitcnt lgkmcnt(0)
	s_ashr_i32 s9, s6, 31
	s_add_u32 s4, s14, s4
	s_addc_u32 s5, s15, s5
	s_load_dwordx2 s[4:5], s[4:5], 0x0
	s_mov_b32 s8, s6
	s_lshl_b64 s[8:9], s[8:9], 3
	s_waitcnt lgkmcnt(0)
	s_add_u32 s4, s4, s8
	s_addc_u32 s5, s5, s9
	s_add_i32 s6, s7, s7
	v_add_u32_e32 v4, s6, v0
	v_ashrrev_i32_e32 v5, 31, v4
	v_lshlrev_b64 v[2:3], 3, v[4:5]
	v_add_u32_e32 v6, s7, v4
	v_mov_b32_e32 v5, s5
	v_add_co_u32_e32 v2, vcc, s4, v2
	v_ashrrev_i32_e32 v7, 31, v6
	v_addc_co_u32_e32 v3, vcc, v5, v3, vcc
	v_lshlrev_b64 v[4:5], 3, v[6:7]
	v_add_u32_e32 v8, s7, v6
	v_mov_b32_e32 v7, s5
	v_add_co_u32_e32 v4, vcc, s4, v4
	v_ashrrev_i32_e32 v9, 31, v8
	v_addc_co_u32_e32 v5, vcc, v7, v5, vcc
	;; [unrolled: 6-line block ×21, first 2 shown]
	v_lshlrev_b64 v[44:45], 3, v[46:47]
	v_mov_b32_e32 v47, s5
	v_add_co_u32_e32 v44, vcc, s4, v44
	v_addc_co_u32_e32 v45, vcc, v47, v45, vcc
	v_mov_b32_e32 v49, s5
	v_add_co_u32_e32 v48, vcc, s4, v1
	s_ashr_i32 s9, s7, 31
	s_mov_b32 s8, s7
	v_add_u32_e32 v52, s7, v46
	v_addc_co_u32_e32 v49, vcc, 0, v49, vcc
	s_lshl_b64 s[8:9], s[8:9], 3
	v_ashrrev_i32_e32 v53, 31, v52
	v_mov_b32_e32 v51, s9
	v_add_co_u32_e32 v50, vcc, s8, v48
	v_lshlrev_b64 v[46:47], 3, v[52:53]
	v_addc_co_u32_e32 v51, vcc, v49, v51, vcc
	v_add_u32_e32 v54, s7, v52
	v_mov_b32_e32 v53, s5
	v_add_co_u32_e32 v46, vcc, s4, v46
	v_ashrrev_i32_e32 v55, 31, v54
	v_addc_co_u32_e32 v47, vcc, v53, v47, vcc
	v_lshlrev_b64 v[52:53], 3, v[54:55]
	v_add_u32_e32 v56, s7, v54
	v_mov_b32_e32 v55, s5
	v_add_co_u32_e32 v52, vcc, s4, v52
	v_ashrrev_i32_e32 v57, 31, v56
	v_addc_co_u32_e32 v53, vcc, v55, v53, vcc
	v_lshlrev_b64 v[54:55], 3, v[56:57]
	v_mov_b32_e32 v57, s5
	v_add_co_u32_e32 v54, vcc, s4, v54
	global_load_dwordx2 v[58:59], v1, s[4:5]
	global_load_dwordx2 v[60:61], v[50:51], off
	global_load_dwordx2 v[62:63], v[2:3], off
	;; [unrolled: 1-line block ×18, first 2 shown]
	v_addc_co_u32_e32 v55, vcc, v57, v55, vcc
	global_load_dwordx2 v[96:97], v[36:37], off
	global_load_dwordx2 v[98:99], v[38:39], off
	;; [unrolled: 1-line block ×8, first 2 shown]
	v_add_u32_e32 v56, s7, v56
	v_ashrrev_i32_e32 v57, 31, v56
	v_lshlrev_b64 v[56:57], 3, v[56:57]
	v_mov_b32_e32 v112, s5
	v_add_co_u32_e32 v56, vcc, s4, v56
	v_addc_co_u32_e32 v57, vcc, v112, v57, vcc
	global_load_dwordx2 v[112:113], v[56:57], off
	s_waitcnt vmcnt(27)
	buffer_store_dword v59, off, s[0:3], 0 offset:4
	buffer_store_dword v58, off, s[0:3], 0
	s_waitcnt vmcnt(28)
	buffer_store_dword v61, off, s[0:3], 0 offset:12
	buffer_store_dword v60, off, s[0:3], 0 offset:8
	s_waitcnt vmcnt(29)
	buffer_store_dword v63, off, s[0:3], 0 offset:20
	buffer_store_dword v62, off, s[0:3], 0 offset:16
	;; [unrolled: 3-line block ×27, first 2 shown]
	s_cmpk_lg_i32 s13, 0x84
	v_mov_b32_e32 v58, 0
	v_mov_b32_e32 v86, 0
	s_cselect_b64 s[8:9], -1, 0
	s_cmpk_eq_i32 s13, 0x84
	v_mov_b32_e32 v59, 0xbff00000
	s_cbranch_scc1 .LBB91_3
; %bb.2:
	v_lshl_add_u32 v68, v0, 3, v86
	buffer_load_dword v58, v68, s[0:3], 0 offen
	buffer_load_dword v59, v68, s[0:3], 0 offen offset:4
	s_waitcnt vmcnt(0)
	v_div_scale_f64 v[60:61], s[4:5], v[58:59], v[58:59], 1.0
	v_rcp_f64_e32 v[62:63], v[60:61]
	v_div_scale_f64 v[64:65], vcc, 1.0, v[58:59], 1.0
	v_fma_f64 v[66:67], -v[60:61], v[62:63], 1.0
	v_fmac_f64_e32 v[62:63], v[62:63], v[66:67]
	v_fma_f64 v[66:67], -v[60:61], v[62:63], 1.0
	v_fmac_f64_e32 v[62:63], v[62:63], v[66:67]
	v_mul_f64 v[66:67], v[64:65], v[62:63]
	v_fma_f64 v[60:61], -v[60:61], v[66:67], v[64:65]
	v_div_fmas_f64 v[60:61], v[60:61], v[62:63], v[66:67]
	v_div_fixup_f64 v[58:59], v[60:61], v[58:59], 1.0
	buffer_store_dword v58, v68, s[0:3], 0 offen
	buffer_store_dword v59, v68, s[0:3], 0 offen offset:4
	v_xor_b32_e32 v59, 0x80000000, v59
.LBB91_3:
	s_cmpk_eq_i32 s12, 0x79
	v_add_u32_e32 v60, 0xe0, v1
	v_add_u32_e32 v61, 0, v1
	s_mov_b64 s[4:5], -1
	ds_write_b64 v1, v[58:59]
	s_cbranch_scc1 .LBB91_267
; %bb.4:
	buffer_load_dword v58, off, s[0:3], 0 offset:208
	buffer_load_dword v59, off, s[0:3], 0 offset:212
	v_cmp_eq_u32_e64 s[4:5], 27, v0
	s_waitcnt vmcnt(0)
	ds_write_b64 v60, v[58:59]
	s_waitcnt lgkmcnt(0)
	; wave barrier
	s_waitcnt lgkmcnt(0)
	s_and_saveexec_b64 s[6:7], s[4:5]
	s_cbranch_execz .LBB91_10
; %bb.5:
	s_and_b64 vcc, exec, s[8:9]
	s_cbranch_vccz .LBB91_7
; %bb.6:
	buffer_load_dword v58, v61, s[0:3], 0 offen
	buffer_load_dword v59, v61, s[0:3], 0 offen offset:4
	ds_read_b64 v[62:63], v60
	s_waitcnt vmcnt(0) lgkmcnt(0)
	v_mul_f64 v[58:59], v[58:59], v[62:63]
	s_cbranch_execz .LBB91_8
	s_branch .LBB91_9
.LBB91_7:
                                        ; implicit-def: $vgpr58_vgpr59
.LBB91_8:
	ds_read_b64 v[58:59], v60
.LBB91_9:
	v_mov_b32_e32 v62, 0
	ds_read_b64 v[62:63], v62 offset:208
	s_waitcnt lgkmcnt(0)
	v_mul_f64 v[58:59], v[58:59], v[62:63]
	buffer_store_dword v59, off, s[0:3], 0 offset:212
	buffer_store_dword v58, off, s[0:3], 0 offset:208
.LBB91_10:
	s_or_b64 exec, exec, s[6:7]
	buffer_load_dword v58, off, s[0:3], 0 offset:200
	buffer_load_dword v59, off, s[0:3], 0 offset:204
	v_or_b32_e32 v62, 8, v86
	v_add_u32_e32 v63, 16, v86
	v_add_u32_e32 v64, 24, v86
	;; [unrolled: 1-line block ×24, first 2 shown]
	v_cmp_lt_u32_e64 s[6:7], 25, v0
	s_waitcnt vmcnt(0)
	ds_write_b64 v60, v[58:59]
	s_waitcnt lgkmcnt(0)
	; wave barrier
	s_waitcnt lgkmcnt(0)
	s_and_saveexec_b64 s[10:11], s[6:7]
	s_cbranch_execz .LBB91_16
; %bb.11:
	s_andn2_b64 vcc, exec, s[8:9]
	s_cbranch_vccnz .LBB91_13
; %bb.12:
	buffer_load_dword v58, v61, s[0:3], 0 offen
	buffer_load_dword v59, v61, s[0:3], 0 offen offset:4
	ds_read_b64 v[88:89], v60
	s_waitcnt vmcnt(0) lgkmcnt(0)
	v_mul_f64 v[58:59], v[58:59], v[88:89]
	s_cbranch_execz .LBB91_14
	s_branch .LBB91_15
.LBB91_13:
                                        ; implicit-def: $vgpr58_vgpr59
.LBB91_14:
	ds_read_b64 v[58:59], v60
.LBB91_15:
	buffer_load_dword v92, off, s[0:3], 0 offset:208
	buffer_load_dword v93, off, s[0:3], 0 offset:212
	v_mov_b32_e32 v87, 0
	ds_read2_b64 v[88:91], v87 offset0:25 offset1:54
	s_waitcnt vmcnt(0) lgkmcnt(0)
	v_fma_f64 v[90:91], v[92:93], v[90:91], v[58:59]
	v_cndmask_b32_e64 v59, v59, v91, s[4:5]
	v_cndmask_b32_e64 v58, v58, v90, s[4:5]
	v_mul_f64 v[58:59], v[58:59], v[88:89]
	buffer_store_dword v59, off, s[0:3], 0 offset:204
	buffer_store_dword v58, off, s[0:3], 0 offset:200
.LBB91_16:
	s_or_b64 exec, exec, s[10:11]
	buffer_load_dword v58, off, s[0:3], 0 offset:192
	buffer_load_dword v59, off, s[0:3], 0 offset:196
	v_cmp_lt_u32_e64 s[4:5], 24, v0
	s_waitcnt vmcnt(0)
	ds_write_b64 v60, v[58:59]
	s_waitcnt lgkmcnt(0)
	; wave barrier
	s_waitcnt lgkmcnt(0)
	s_and_saveexec_b64 s[10:11], s[4:5]
	s_cbranch_execz .LBB91_26
; %bb.17:
	s_andn2_b64 vcc, exec, s[8:9]
	s_cbranch_vccnz .LBB91_19
; %bb.18:
	buffer_load_dword v58, v61, s[0:3], 0 offen
	buffer_load_dword v59, v61, s[0:3], 0 offen offset:4
	ds_read_b64 v[88:89], v60
	s_waitcnt vmcnt(0) lgkmcnt(0)
	v_mul_f64 v[58:59], v[58:59], v[88:89]
	s_cbranch_execz .LBB91_20
	s_branch .LBB91_21
.LBB91_19:
                                        ; implicit-def: $vgpr58_vgpr59
.LBB91_20:
	ds_read_b64 v[58:59], v60
.LBB91_21:
	s_and_saveexec_b64 s[12:13], s[6:7]
	s_cbranch_execz .LBB91_25
; %bb.22:
	v_subrev_u32_e32 v87, 25, v0
	s_movk_i32 s14, 0x1a8
	s_mov_b64 s[6:7], 0
.LBB91_23:                              ; =>This Inner Loop Header: Depth=1
	buffer_load_dword v88, v86, s[0:3], 0 offen
	buffer_load_dword v89, v86, s[0:3], 0 offen offset:4
	v_mov_b32_e32 v90, s14
	ds_read_b64 v[90:91], v90
	v_add_u32_e32 v87, -1, v87
	s_add_i32 s14, s14, 8
	v_cmp_eq_u32_e32 vcc, 0, v87
	v_add_u32_e32 v86, 8, v86
	s_or_b64 s[6:7], vcc, s[6:7]
	s_waitcnt vmcnt(0) lgkmcnt(0)
	v_fmac_f64_e32 v[58:59], v[88:89], v[90:91]
	s_andn2_b64 exec, exec, s[6:7]
	s_cbranch_execnz .LBB91_23
; %bb.24:
	s_or_b64 exec, exec, s[6:7]
.LBB91_25:
	s_or_b64 exec, exec, s[12:13]
	v_mov_b32_e32 v86, 0
	ds_read_b64 v[86:87], v86 offset:192
	s_waitcnt lgkmcnt(0)
	v_mul_f64 v[58:59], v[58:59], v[86:87]
	buffer_store_dword v59, off, s[0:3], 0 offset:196
	buffer_store_dword v58, off, s[0:3], 0 offset:192
.LBB91_26:
	s_or_b64 exec, exec, s[10:11]
	buffer_load_dword v58, off, s[0:3], 0 offset:184
	buffer_load_dword v59, off, s[0:3], 0 offset:188
	v_cmp_lt_u32_e64 s[6:7], 23, v0
	s_waitcnt vmcnt(0)
	ds_write_b64 v60, v[58:59]
	s_waitcnt lgkmcnt(0)
	; wave barrier
	s_waitcnt lgkmcnt(0)
	s_and_saveexec_b64 s[10:11], s[6:7]
	s_cbranch_execz .LBB91_36
; %bb.27:
	s_andn2_b64 vcc, exec, s[8:9]
	s_cbranch_vccnz .LBB91_29
; %bb.28:
	buffer_load_dword v58, v61, s[0:3], 0 offen
	buffer_load_dword v59, v61, s[0:3], 0 offen offset:4
	ds_read_b64 v[86:87], v60
	s_waitcnt vmcnt(0) lgkmcnt(0)
	v_mul_f64 v[58:59], v[58:59], v[86:87]
	s_cbranch_execz .LBB91_30
	s_branch .LBB91_31
.LBB91_29:
                                        ; implicit-def: $vgpr58_vgpr59
.LBB91_30:
	ds_read_b64 v[58:59], v60
.LBB91_31:
	s_and_saveexec_b64 s[12:13], s[4:5]
	s_cbranch_execz .LBB91_35
; %bb.32:
	v_subrev_u32_e32 v86, 24, v0
	s_movk_i32 s14, 0x1a0
	s_mov_b64 s[4:5], 0
.LBB91_33:                              ; =>This Inner Loop Header: Depth=1
	buffer_load_dword v88, v85, s[0:3], 0 offen
	buffer_load_dword v89, v85, s[0:3], 0 offen offset:4
	v_mov_b32_e32 v87, s14
	ds_read_b64 v[90:91], v87
	v_add_u32_e32 v86, -1, v86
	s_add_i32 s14, s14, 8
	v_cmp_eq_u32_e32 vcc, 0, v86
	v_add_u32_e32 v85, 8, v85
	s_or_b64 s[4:5], vcc, s[4:5]
	s_waitcnt vmcnt(0) lgkmcnt(0)
	v_fmac_f64_e32 v[58:59], v[88:89], v[90:91]
	s_andn2_b64 exec, exec, s[4:5]
	s_cbranch_execnz .LBB91_33
; %bb.34:
	s_or_b64 exec, exec, s[4:5]
.LBB91_35:
	s_or_b64 exec, exec, s[12:13]
	v_mov_b32_e32 v85, 0
	ds_read_b64 v[86:87], v85 offset:184
	s_waitcnt lgkmcnt(0)
	v_mul_f64 v[58:59], v[58:59], v[86:87]
	buffer_store_dword v59, off, s[0:3], 0 offset:188
	buffer_store_dword v58, off, s[0:3], 0 offset:184
.LBB91_36:
	s_or_b64 exec, exec, s[10:11]
	buffer_load_dword v58, off, s[0:3], 0 offset:176
	buffer_load_dword v59, off, s[0:3], 0 offset:180
	v_cmp_lt_u32_e64 s[4:5], 22, v0
	s_waitcnt vmcnt(0)
	ds_write_b64 v60, v[58:59]
	s_waitcnt lgkmcnt(0)
	; wave barrier
	s_waitcnt lgkmcnt(0)
	s_and_saveexec_b64 s[10:11], s[4:5]
	s_cbranch_execz .LBB91_46
; %bb.37:
	s_andn2_b64 vcc, exec, s[8:9]
	s_cbranch_vccnz .LBB91_39
; %bb.38:
	buffer_load_dword v58, v61, s[0:3], 0 offen
	buffer_load_dword v59, v61, s[0:3], 0 offen offset:4
	ds_read_b64 v[86:87], v60
	s_waitcnt vmcnt(0) lgkmcnt(0)
	v_mul_f64 v[58:59], v[58:59], v[86:87]
	s_cbranch_execz .LBB91_40
	s_branch .LBB91_41
.LBB91_39:
                                        ; implicit-def: $vgpr58_vgpr59
.LBB91_40:
	ds_read_b64 v[58:59], v60
.LBB91_41:
	s_and_saveexec_b64 s[12:13], s[6:7]
	s_cbranch_execz .LBB91_45
; %bb.42:
	v_subrev_u32_e32 v85, 23, v0
	s_movk_i32 s14, 0x198
	s_mov_b64 s[6:7], 0
.LBB91_43:                              ; =>This Inner Loop Header: Depth=1
	buffer_load_dword v86, v84, s[0:3], 0 offen
	buffer_load_dword v87, v84, s[0:3], 0 offen offset:4
	v_mov_b32_e32 v88, s14
	ds_read_b64 v[88:89], v88
	v_add_u32_e32 v85, -1, v85
	s_add_i32 s14, s14, 8
	v_cmp_eq_u32_e32 vcc, 0, v85
	v_add_u32_e32 v84, 8, v84
	s_or_b64 s[6:7], vcc, s[6:7]
	s_waitcnt vmcnt(0) lgkmcnt(0)
	v_fmac_f64_e32 v[58:59], v[86:87], v[88:89]
	s_andn2_b64 exec, exec, s[6:7]
	s_cbranch_execnz .LBB91_43
; %bb.44:
	s_or_b64 exec, exec, s[6:7]
.LBB91_45:
	s_or_b64 exec, exec, s[12:13]
	v_mov_b32_e32 v84, 0
	ds_read_b64 v[84:85], v84 offset:176
	s_waitcnt lgkmcnt(0)
	v_mul_f64 v[58:59], v[58:59], v[84:85]
	buffer_store_dword v59, off, s[0:3], 0 offset:180
	buffer_store_dword v58, off, s[0:3], 0 offset:176
.LBB91_46:
	s_or_b64 exec, exec, s[10:11]
	buffer_load_dword v58, off, s[0:3], 0 offset:168
	buffer_load_dword v59, off, s[0:3], 0 offset:172
	v_cmp_lt_u32_e64 s[6:7], 21, v0
	s_waitcnt vmcnt(0)
	ds_write_b64 v60, v[58:59]
	s_waitcnt lgkmcnt(0)
	; wave barrier
	s_waitcnt lgkmcnt(0)
	s_and_saveexec_b64 s[10:11], s[6:7]
	s_cbranch_execz .LBB91_56
; %bb.47:
	s_andn2_b64 vcc, exec, s[8:9]
	s_cbranch_vccnz .LBB91_49
; %bb.48:
	buffer_load_dword v58, v61, s[0:3], 0 offen
	buffer_load_dword v59, v61, s[0:3], 0 offen offset:4
	ds_read_b64 v[84:85], v60
	s_waitcnt vmcnt(0) lgkmcnt(0)
	v_mul_f64 v[58:59], v[58:59], v[84:85]
	s_cbranch_execz .LBB91_50
	s_branch .LBB91_51
.LBB91_49:
                                        ; implicit-def: $vgpr58_vgpr59
.LBB91_50:
	ds_read_b64 v[58:59], v60
.LBB91_51:
	s_and_saveexec_b64 s[12:13], s[4:5]
	s_cbranch_execz .LBB91_55
; %bb.52:
	v_subrev_u32_e32 v84, 22, v0
	s_movk_i32 s14, 0x190
	s_mov_b64 s[4:5], 0
.LBB91_53:                              ; =>This Inner Loop Header: Depth=1
	buffer_load_dword v86, v83, s[0:3], 0 offen
	buffer_load_dword v87, v83, s[0:3], 0 offen offset:4
	v_mov_b32_e32 v85, s14
	ds_read_b64 v[88:89], v85
	v_add_u32_e32 v84, -1, v84
	s_add_i32 s14, s14, 8
	v_cmp_eq_u32_e32 vcc, 0, v84
	v_add_u32_e32 v83, 8, v83
	s_or_b64 s[4:5], vcc, s[4:5]
	s_waitcnt vmcnt(0) lgkmcnt(0)
	v_fmac_f64_e32 v[58:59], v[86:87], v[88:89]
	s_andn2_b64 exec, exec, s[4:5]
	s_cbranch_execnz .LBB91_53
; %bb.54:
	s_or_b64 exec, exec, s[4:5]
.LBB91_55:
	s_or_b64 exec, exec, s[12:13]
	v_mov_b32_e32 v83, 0
	ds_read_b64 v[84:85], v83 offset:168
	s_waitcnt lgkmcnt(0)
	v_mul_f64 v[58:59], v[58:59], v[84:85]
	buffer_store_dword v59, off, s[0:3], 0 offset:172
	buffer_store_dword v58, off, s[0:3], 0 offset:168
.LBB91_56:
	s_or_b64 exec, exec, s[10:11]
	buffer_load_dword v58, off, s[0:3], 0 offset:160
	buffer_load_dword v59, off, s[0:3], 0 offset:164
	v_cmp_lt_u32_e64 s[4:5], 20, v0
	s_waitcnt vmcnt(0)
	ds_write_b64 v60, v[58:59]
	s_waitcnt lgkmcnt(0)
	; wave barrier
	s_waitcnt lgkmcnt(0)
	s_and_saveexec_b64 s[10:11], s[4:5]
	s_cbranch_execz .LBB91_66
; %bb.57:
	s_andn2_b64 vcc, exec, s[8:9]
	s_cbranch_vccnz .LBB91_59
; %bb.58:
	buffer_load_dword v58, v61, s[0:3], 0 offen
	buffer_load_dword v59, v61, s[0:3], 0 offen offset:4
	ds_read_b64 v[84:85], v60
	s_waitcnt vmcnt(0) lgkmcnt(0)
	v_mul_f64 v[58:59], v[58:59], v[84:85]
	s_cbranch_execz .LBB91_60
	s_branch .LBB91_61
.LBB91_59:
                                        ; implicit-def: $vgpr58_vgpr59
.LBB91_60:
	ds_read_b64 v[58:59], v60
.LBB91_61:
	s_and_saveexec_b64 s[12:13], s[6:7]
	s_cbranch_execz .LBB91_65
; %bb.62:
	v_subrev_u32_e32 v83, 21, v0
	s_movk_i32 s14, 0x188
	s_mov_b64 s[6:7], 0
.LBB91_63:                              ; =>This Inner Loop Header: Depth=1
	buffer_load_dword v84, v82, s[0:3], 0 offen
	buffer_load_dword v85, v82, s[0:3], 0 offen offset:4
	v_mov_b32_e32 v86, s14
	ds_read_b64 v[86:87], v86
	v_add_u32_e32 v83, -1, v83
	s_add_i32 s14, s14, 8
	v_cmp_eq_u32_e32 vcc, 0, v83
	v_add_u32_e32 v82, 8, v82
	s_or_b64 s[6:7], vcc, s[6:7]
	s_waitcnt vmcnt(0) lgkmcnt(0)
	v_fmac_f64_e32 v[58:59], v[84:85], v[86:87]
	s_andn2_b64 exec, exec, s[6:7]
	s_cbranch_execnz .LBB91_63
; %bb.64:
	s_or_b64 exec, exec, s[6:7]
.LBB91_65:
	s_or_b64 exec, exec, s[12:13]
	v_mov_b32_e32 v82, 0
	ds_read_b64 v[82:83], v82 offset:160
	s_waitcnt lgkmcnt(0)
	v_mul_f64 v[58:59], v[58:59], v[82:83]
	buffer_store_dword v59, off, s[0:3], 0 offset:164
	buffer_store_dword v58, off, s[0:3], 0 offset:160
.LBB91_66:
	s_or_b64 exec, exec, s[10:11]
	buffer_load_dword v58, off, s[0:3], 0 offset:152
	buffer_load_dword v59, off, s[0:3], 0 offset:156
	v_cmp_lt_u32_e64 s[6:7], 19, v0
	s_waitcnt vmcnt(0)
	ds_write_b64 v60, v[58:59]
	s_waitcnt lgkmcnt(0)
	; wave barrier
	s_waitcnt lgkmcnt(0)
	s_and_saveexec_b64 s[10:11], s[6:7]
	s_cbranch_execz .LBB91_76
; %bb.67:
	s_andn2_b64 vcc, exec, s[8:9]
	s_cbranch_vccnz .LBB91_69
; %bb.68:
	buffer_load_dword v58, v61, s[0:3], 0 offen
	buffer_load_dword v59, v61, s[0:3], 0 offen offset:4
	ds_read_b64 v[82:83], v60
	s_waitcnt vmcnt(0) lgkmcnt(0)
	v_mul_f64 v[58:59], v[58:59], v[82:83]
	s_cbranch_execz .LBB91_70
	s_branch .LBB91_71
.LBB91_69:
                                        ; implicit-def: $vgpr58_vgpr59
.LBB91_70:
	ds_read_b64 v[58:59], v60
.LBB91_71:
	s_and_saveexec_b64 s[12:13], s[4:5]
	s_cbranch_execz .LBB91_75
; %bb.72:
	v_subrev_u32_e32 v82, 20, v0
	s_movk_i32 s14, 0x180
	s_mov_b64 s[4:5], 0
.LBB91_73:                              ; =>This Inner Loop Header: Depth=1
	buffer_load_dword v84, v81, s[0:3], 0 offen
	buffer_load_dword v85, v81, s[0:3], 0 offen offset:4
	v_mov_b32_e32 v83, s14
	ds_read_b64 v[86:87], v83
	v_add_u32_e32 v82, -1, v82
	s_add_i32 s14, s14, 8
	v_cmp_eq_u32_e32 vcc, 0, v82
	v_add_u32_e32 v81, 8, v81
	s_or_b64 s[4:5], vcc, s[4:5]
	s_waitcnt vmcnt(0) lgkmcnt(0)
	v_fmac_f64_e32 v[58:59], v[84:85], v[86:87]
	s_andn2_b64 exec, exec, s[4:5]
	s_cbranch_execnz .LBB91_73
; %bb.74:
	s_or_b64 exec, exec, s[4:5]
.LBB91_75:
	s_or_b64 exec, exec, s[12:13]
	v_mov_b32_e32 v81, 0
	ds_read_b64 v[82:83], v81 offset:152
	s_waitcnt lgkmcnt(0)
	v_mul_f64 v[58:59], v[58:59], v[82:83]
	buffer_store_dword v59, off, s[0:3], 0 offset:156
	buffer_store_dword v58, off, s[0:3], 0 offset:152
.LBB91_76:
	s_or_b64 exec, exec, s[10:11]
	buffer_load_dword v58, off, s[0:3], 0 offset:144
	buffer_load_dword v59, off, s[0:3], 0 offset:148
	v_cmp_lt_u32_e64 s[4:5], 18, v0
	s_waitcnt vmcnt(0)
	ds_write_b64 v60, v[58:59]
	s_waitcnt lgkmcnt(0)
	; wave barrier
	s_waitcnt lgkmcnt(0)
	s_and_saveexec_b64 s[10:11], s[4:5]
	s_cbranch_execz .LBB91_86
; %bb.77:
	s_andn2_b64 vcc, exec, s[8:9]
	s_cbranch_vccnz .LBB91_79
; %bb.78:
	buffer_load_dword v58, v61, s[0:3], 0 offen
	buffer_load_dword v59, v61, s[0:3], 0 offen offset:4
	ds_read_b64 v[82:83], v60
	s_waitcnt vmcnt(0) lgkmcnt(0)
	v_mul_f64 v[58:59], v[58:59], v[82:83]
	s_cbranch_execz .LBB91_80
	s_branch .LBB91_81
.LBB91_79:
                                        ; implicit-def: $vgpr58_vgpr59
.LBB91_80:
	ds_read_b64 v[58:59], v60
.LBB91_81:
	s_and_saveexec_b64 s[12:13], s[6:7]
	s_cbranch_execz .LBB91_85
; %bb.82:
	v_subrev_u32_e32 v81, 19, v0
	s_movk_i32 s14, 0x178
	s_mov_b64 s[6:7], 0
.LBB91_83:                              ; =>This Inner Loop Header: Depth=1
	buffer_load_dword v82, v80, s[0:3], 0 offen
	buffer_load_dword v83, v80, s[0:3], 0 offen offset:4
	v_mov_b32_e32 v84, s14
	ds_read_b64 v[84:85], v84
	v_add_u32_e32 v81, -1, v81
	s_add_i32 s14, s14, 8
	v_cmp_eq_u32_e32 vcc, 0, v81
	v_add_u32_e32 v80, 8, v80
	s_or_b64 s[6:7], vcc, s[6:7]
	s_waitcnt vmcnt(0) lgkmcnt(0)
	v_fmac_f64_e32 v[58:59], v[82:83], v[84:85]
	s_andn2_b64 exec, exec, s[6:7]
	s_cbranch_execnz .LBB91_83
; %bb.84:
	s_or_b64 exec, exec, s[6:7]
.LBB91_85:
	s_or_b64 exec, exec, s[12:13]
	v_mov_b32_e32 v80, 0
	ds_read_b64 v[80:81], v80 offset:144
	s_waitcnt lgkmcnt(0)
	v_mul_f64 v[58:59], v[58:59], v[80:81]
	buffer_store_dword v59, off, s[0:3], 0 offset:148
	buffer_store_dword v58, off, s[0:3], 0 offset:144
.LBB91_86:
	s_or_b64 exec, exec, s[10:11]
	buffer_load_dword v58, off, s[0:3], 0 offset:136
	buffer_load_dword v59, off, s[0:3], 0 offset:140
	v_cmp_lt_u32_e64 s[6:7], 17, v0
	s_waitcnt vmcnt(0)
	ds_write_b64 v60, v[58:59]
	s_waitcnt lgkmcnt(0)
	; wave barrier
	s_waitcnt lgkmcnt(0)
	s_and_saveexec_b64 s[10:11], s[6:7]
	s_cbranch_execz .LBB91_96
; %bb.87:
	s_andn2_b64 vcc, exec, s[8:9]
	s_cbranch_vccnz .LBB91_89
; %bb.88:
	buffer_load_dword v58, v61, s[0:3], 0 offen
	buffer_load_dword v59, v61, s[0:3], 0 offen offset:4
	ds_read_b64 v[80:81], v60
	s_waitcnt vmcnt(0) lgkmcnt(0)
	v_mul_f64 v[58:59], v[58:59], v[80:81]
	s_cbranch_execz .LBB91_90
	s_branch .LBB91_91
.LBB91_89:
                                        ; implicit-def: $vgpr58_vgpr59
.LBB91_90:
	ds_read_b64 v[58:59], v60
.LBB91_91:
	s_and_saveexec_b64 s[12:13], s[4:5]
	s_cbranch_execz .LBB91_95
; %bb.92:
	v_subrev_u32_e32 v80, 18, v0
	s_movk_i32 s14, 0x170
	s_mov_b64 s[4:5], 0
.LBB91_93:                              ; =>This Inner Loop Header: Depth=1
	buffer_load_dword v82, v79, s[0:3], 0 offen
	buffer_load_dword v83, v79, s[0:3], 0 offen offset:4
	v_mov_b32_e32 v81, s14
	ds_read_b64 v[84:85], v81
	v_add_u32_e32 v80, -1, v80
	s_add_i32 s14, s14, 8
	v_cmp_eq_u32_e32 vcc, 0, v80
	v_add_u32_e32 v79, 8, v79
	s_or_b64 s[4:5], vcc, s[4:5]
	s_waitcnt vmcnt(0) lgkmcnt(0)
	v_fmac_f64_e32 v[58:59], v[82:83], v[84:85]
	s_andn2_b64 exec, exec, s[4:5]
	s_cbranch_execnz .LBB91_93
; %bb.94:
	s_or_b64 exec, exec, s[4:5]
.LBB91_95:
	s_or_b64 exec, exec, s[12:13]
	v_mov_b32_e32 v79, 0
	ds_read_b64 v[80:81], v79 offset:136
	s_waitcnt lgkmcnt(0)
	v_mul_f64 v[58:59], v[58:59], v[80:81]
	buffer_store_dword v59, off, s[0:3], 0 offset:140
	buffer_store_dword v58, off, s[0:3], 0 offset:136
.LBB91_96:
	s_or_b64 exec, exec, s[10:11]
	buffer_load_dword v58, off, s[0:3], 0 offset:128
	buffer_load_dword v59, off, s[0:3], 0 offset:132
	v_cmp_lt_u32_e64 s[4:5], 16, v0
	s_waitcnt vmcnt(0)
	ds_write_b64 v60, v[58:59]
	s_waitcnt lgkmcnt(0)
	; wave barrier
	s_waitcnt lgkmcnt(0)
	s_and_saveexec_b64 s[10:11], s[4:5]
	s_cbranch_execz .LBB91_106
; %bb.97:
	s_andn2_b64 vcc, exec, s[8:9]
	s_cbranch_vccnz .LBB91_99
; %bb.98:
	buffer_load_dword v58, v61, s[0:3], 0 offen
	buffer_load_dword v59, v61, s[0:3], 0 offen offset:4
	ds_read_b64 v[80:81], v60
	s_waitcnt vmcnt(0) lgkmcnt(0)
	v_mul_f64 v[58:59], v[58:59], v[80:81]
	s_cbranch_execz .LBB91_100
	s_branch .LBB91_101
.LBB91_99:
                                        ; implicit-def: $vgpr58_vgpr59
.LBB91_100:
	ds_read_b64 v[58:59], v60
.LBB91_101:
	s_and_saveexec_b64 s[12:13], s[6:7]
	s_cbranch_execz .LBB91_105
; %bb.102:
	v_subrev_u32_e32 v79, 17, v0
	s_movk_i32 s14, 0x168
	s_mov_b64 s[6:7], 0
.LBB91_103:                             ; =>This Inner Loop Header: Depth=1
	buffer_load_dword v80, v78, s[0:3], 0 offen
	buffer_load_dword v81, v78, s[0:3], 0 offen offset:4
	v_mov_b32_e32 v82, s14
	ds_read_b64 v[82:83], v82
	v_add_u32_e32 v79, -1, v79
	s_add_i32 s14, s14, 8
	v_cmp_eq_u32_e32 vcc, 0, v79
	v_add_u32_e32 v78, 8, v78
	s_or_b64 s[6:7], vcc, s[6:7]
	s_waitcnt vmcnt(0) lgkmcnt(0)
	v_fmac_f64_e32 v[58:59], v[80:81], v[82:83]
	s_andn2_b64 exec, exec, s[6:7]
	s_cbranch_execnz .LBB91_103
; %bb.104:
	s_or_b64 exec, exec, s[6:7]
.LBB91_105:
	s_or_b64 exec, exec, s[12:13]
	v_mov_b32_e32 v78, 0
	ds_read_b64 v[78:79], v78 offset:128
	s_waitcnt lgkmcnt(0)
	v_mul_f64 v[58:59], v[58:59], v[78:79]
	buffer_store_dword v59, off, s[0:3], 0 offset:132
	buffer_store_dword v58, off, s[0:3], 0 offset:128
.LBB91_106:
	s_or_b64 exec, exec, s[10:11]
	buffer_load_dword v58, off, s[0:3], 0 offset:120
	buffer_load_dword v59, off, s[0:3], 0 offset:124
	v_cmp_lt_u32_e64 s[6:7], 15, v0
	s_waitcnt vmcnt(0)
	ds_write_b64 v60, v[58:59]
	s_waitcnt lgkmcnt(0)
	; wave barrier
	s_waitcnt lgkmcnt(0)
	s_and_saveexec_b64 s[10:11], s[6:7]
	s_cbranch_execz .LBB91_116
; %bb.107:
	s_andn2_b64 vcc, exec, s[8:9]
	s_cbranch_vccnz .LBB91_109
; %bb.108:
	buffer_load_dword v58, v61, s[0:3], 0 offen
	buffer_load_dword v59, v61, s[0:3], 0 offen offset:4
	ds_read_b64 v[78:79], v60
	s_waitcnt vmcnt(0) lgkmcnt(0)
	v_mul_f64 v[58:59], v[58:59], v[78:79]
	s_cbranch_execz .LBB91_110
	s_branch .LBB91_111
.LBB91_109:
                                        ; implicit-def: $vgpr58_vgpr59
.LBB91_110:
	ds_read_b64 v[58:59], v60
.LBB91_111:
	s_and_saveexec_b64 s[12:13], s[4:5]
	s_cbranch_execz .LBB91_115
; %bb.112:
	v_add_u32_e32 v78, -16, v0
	s_movk_i32 s14, 0x160
	s_mov_b64 s[4:5], 0
.LBB91_113:                             ; =>This Inner Loop Header: Depth=1
	buffer_load_dword v80, v77, s[0:3], 0 offen
	buffer_load_dword v81, v77, s[0:3], 0 offen offset:4
	v_mov_b32_e32 v79, s14
	ds_read_b64 v[82:83], v79
	v_add_u32_e32 v78, -1, v78
	s_add_i32 s14, s14, 8
	v_cmp_eq_u32_e32 vcc, 0, v78
	v_add_u32_e32 v77, 8, v77
	s_or_b64 s[4:5], vcc, s[4:5]
	s_waitcnt vmcnt(0) lgkmcnt(0)
	v_fmac_f64_e32 v[58:59], v[80:81], v[82:83]
	s_andn2_b64 exec, exec, s[4:5]
	s_cbranch_execnz .LBB91_113
; %bb.114:
	s_or_b64 exec, exec, s[4:5]
.LBB91_115:
	s_or_b64 exec, exec, s[12:13]
	v_mov_b32_e32 v77, 0
	ds_read_b64 v[78:79], v77 offset:120
	s_waitcnt lgkmcnt(0)
	v_mul_f64 v[58:59], v[58:59], v[78:79]
	buffer_store_dword v59, off, s[0:3], 0 offset:124
	buffer_store_dword v58, off, s[0:3], 0 offset:120
.LBB91_116:
	s_or_b64 exec, exec, s[10:11]
	buffer_load_dword v58, off, s[0:3], 0 offset:112
	buffer_load_dword v59, off, s[0:3], 0 offset:116
	v_cmp_lt_u32_e64 s[4:5], 14, v0
	s_waitcnt vmcnt(0)
	ds_write_b64 v60, v[58:59]
	s_waitcnt lgkmcnt(0)
	; wave barrier
	s_waitcnt lgkmcnt(0)
	s_and_saveexec_b64 s[10:11], s[4:5]
	s_cbranch_execz .LBB91_126
; %bb.117:
	s_andn2_b64 vcc, exec, s[8:9]
	s_cbranch_vccnz .LBB91_119
; %bb.118:
	buffer_load_dword v58, v61, s[0:3], 0 offen
	buffer_load_dword v59, v61, s[0:3], 0 offen offset:4
	ds_read_b64 v[78:79], v60
	s_waitcnt vmcnt(0) lgkmcnt(0)
	v_mul_f64 v[58:59], v[58:59], v[78:79]
	s_cbranch_execz .LBB91_120
	s_branch .LBB91_121
.LBB91_119:
                                        ; implicit-def: $vgpr58_vgpr59
.LBB91_120:
	ds_read_b64 v[58:59], v60
.LBB91_121:
	s_and_saveexec_b64 s[12:13], s[6:7]
	s_cbranch_execz .LBB91_125
; %bb.122:
	v_add_u32_e32 v77, -15, v0
	s_movk_i32 s14, 0x158
	s_mov_b64 s[6:7], 0
.LBB91_123:                             ; =>This Inner Loop Header: Depth=1
	buffer_load_dword v78, v76, s[0:3], 0 offen
	buffer_load_dword v79, v76, s[0:3], 0 offen offset:4
	v_mov_b32_e32 v80, s14
	ds_read_b64 v[80:81], v80
	v_add_u32_e32 v77, -1, v77
	s_add_i32 s14, s14, 8
	v_cmp_eq_u32_e32 vcc, 0, v77
	v_add_u32_e32 v76, 8, v76
	s_or_b64 s[6:7], vcc, s[6:7]
	s_waitcnt vmcnt(0) lgkmcnt(0)
	v_fmac_f64_e32 v[58:59], v[78:79], v[80:81]
	s_andn2_b64 exec, exec, s[6:7]
	s_cbranch_execnz .LBB91_123
; %bb.124:
	s_or_b64 exec, exec, s[6:7]
.LBB91_125:
	s_or_b64 exec, exec, s[12:13]
	v_mov_b32_e32 v76, 0
	ds_read_b64 v[76:77], v76 offset:112
	s_waitcnt lgkmcnt(0)
	v_mul_f64 v[58:59], v[58:59], v[76:77]
	buffer_store_dword v59, off, s[0:3], 0 offset:116
	buffer_store_dword v58, off, s[0:3], 0 offset:112
.LBB91_126:
	;; [unrolled: 58-line block ×15, first 2 shown]
	s_or_b64 exec, exec, s[10:11]
	buffer_load_dword v58, off, s[0:3], 0
	buffer_load_dword v59, off, s[0:3], 0 offset:4
	v_cmp_ne_u32_e32 vcc, 0, v0
	s_waitcnt vmcnt(0)
	ds_write_b64 v60, v[58:59]
	s_waitcnt lgkmcnt(0)
	; wave barrier
	s_waitcnt lgkmcnt(0)
	s_and_saveexec_b64 s[4:5], vcc
	s_cbranch_execz .LBB91_266
; %bb.257:
	s_andn2_b64 vcc, exec, s[8:9]
	s_cbranch_vccnz .LBB91_259
; %bb.258:
	buffer_load_dword v58, v61, s[0:3], 0 offen
	buffer_load_dword v59, v61, s[0:3], 0 offen offset:4
	ds_read_b64 v[64:65], v60
	s_waitcnt vmcnt(0) lgkmcnt(0)
	v_mul_f64 v[58:59], v[58:59], v[64:65]
	s_cbranch_execz .LBB91_260
	s_branch .LBB91_261
.LBB91_259:
                                        ; implicit-def: $vgpr58_vgpr59
.LBB91_260:
	ds_read_b64 v[58:59], v60
.LBB91_261:
	s_and_saveexec_b64 s[10:11], s[6:7]
	s_cbranch_execz .LBB91_265
; %bb.262:
	v_add_u32_e32 v63, -1, v0
	s_movk_i32 s12, 0xe8
	s_mov_b64 s[6:7], 0
.LBB91_263:                             ; =>This Inner Loop Header: Depth=1
	buffer_load_dword v64, v62, s[0:3], 0 offen
	buffer_load_dword v65, v62, s[0:3], 0 offen offset:4
	v_mov_b32_e32 v66, s12
	ds_read_b64 v[66:67], v66
	v_add_u32_e32 v63, -1, v63
	s_add_i32 s12, s12, 8
	v_cmp_eq_u32_e32 vcc, 0, v63
	v_add_u32_e32 v62, 8, v62
	s_or_b64 s[6:7], vcc, s[6:7]
	s_waitcnt vmcnt(0) lgkmcnt(0)
	v_fmac_f64_e32 v[58:59], v[64:65], v[66:67]
	s_andn2_b64 exec, exec, s[6:7]
	s_cbranch_execnz .LBB91_263
; %bb.264:
	s_or_b64 exec, exec, s[6:7]
.LBB91_265:
	s_or_b64 exec, exec, s[10:11]
	v_mov_b32_e32 v62, 0
	ds_read_b64 v[62:63], v62
	s_waitcnt lgkmcnt(0)
	v_mul_f64 v[58:59], v[58:59], v[62:63]
	buffer_store_dword v59, off, s[0:3], 0 offset:4
	buffer_store_dword v58, off, s[0:3], 0
.LBB91_266:
	s_or_b64 exec, exec, s[4:5]
	s_mov_b64 s[4:5], 0
.LBB91_267:
	s_and_b64 vcc, exec, s[4:5]
	s_cbranch_vccz .LBB91_531
; %bb.268:
	buffer_load_dword v58, off, s[0:3], 0 offset:8
	buffer_load_dword v59, off, s[0:3], 0 offset:12
	v_cmp_eq_u32_e64 s[6:7], 0, v0
	s_waitcnt vmcnt(0)
	ds_write_b64 v60, v[58:59]
	s_waitcnt lgkmcnt(0)
	; wave barrier
	s_waitcnt lgkmcnt(0)
	s_and_saveexec_b64 s[4:5], s[6:7]
	s_cbranch_execz .LBB91_274
; %bb.269:
	s_and_b64 vcc, exec, s[8:9]
	s_cbranch_vccz .LBB91_271
; %bb.270:
	buffer_load_dword v58, v61, s[0:3], 0 offen
	buffer_load_dword v59, v61, s[0:3], 0 offen offset:4
	ds_read_b64 v[62:63], v60
	s_waitcnt vmcnt(0) lgkmcnt(0)
	v_mul_f64 v[58:59], v[58:59], v[62:63]
	s_cbranch_execz .LBB91_272
	s_branch .LBB91_273
.LBB91_271:
                                        ; implicit-def: $vgpr58_vgpr59
.LBB91_272:
	ds_read_b64 v[58:59], v60
.LBB91_273:
	v_mov_b32_e32 v62, 0
	ds_read_b64 v[62:63], v62 offset:8
	s_waitcnt lgkmcnt(0)
	v_mul_f64 v[58:59], v[58:59], v[62:63]
	buffer_store_dword v59, off, s[0:3], 0 offset:12
	buffer_store_dword v58, off, s[0:3], 0 offset:8
.LBB91_274:
	s_or_b64 exec, exec, s[4:5]
	buffer_load_dword v58, off, s[0:3], 0 offset:16
	buffer_load_dword v59, off, s[0:3], 0 offset:20
	v_cndmask_b32_e64 v62, 0, 1, s[8:9]
	v_cmp_gt_u32_e32 vcc, 2, v0
	v_cmp_ne_u32_e64 s[4:5], 1, v62
	s_waitcnt vmcnt(0)
	ds_write_b64 v60, v[58:59]
	s_waitcnt lgkmcnt(0)
	; wave barrier
	s_waitcnt lgkmcnt(0)
	s_and_saveexec_b64 s[8:9], vcc
	s_cbranch_execz .LBB91_282
; %bb.275:
	s_and_b64 vcc, exec, s[4:5]
	s_cbranch_vccnz .LBB91_277
; %bb.276:
	buffer_load_dword v58, v61, s[0:3], 0 offen
	buffer_load_dword v59, v61, s[0:3], 0 offen offset:4
	ds_read_b64 v[62:63], v60
	s_waitcnt vmcnt(0) lgkmcnt(0)
	v_mul_f64 v[58:59], v[58:59], v[62:63]
	s_cbranch_execz .LBB91_278
	s_branch .LBB91_279
.LBB91_277:
                                        ; implicit-def: $vgpr58_vgpr59
.LBB91_278:
	ds_read_b64 v[58:59], v60
.LBB91_279:
	s_and_saveexec_b64 s[10:11], s[6:7]
	s_cbranch_execz .LBB91_281
; %bb.280:
	buffer_load_dword v62, v61, s[0:3], 0 offen offset:8
	buffer_load_dword v63, v61, s[0:3], 0 offen offset:12
	ds_read_b64 v[64:65], v60 offset:8
	s_waitcnt vmcnt(0) lgkmcnt(0)
	v_fmac_f64_e32 v[58:59], v[62:63], v[64:65]
.LBB91_281:
	s_or_b64 exec, exec, s[10:11]
	v_mov_b32_e32 v62, 0
	ds_read_b64 v[62:63], v62 offset:16
	s_waitcnt lgkmcnt(0)
	v_mul_f64 v[58:59], v[58:59], v[62:63]
	buffer_store_dword v59, off, s[0:3], 0 offset:20
	buffer_store_dword v58, off, s[0:3], 0 offset:16
.LBB91_282:
	s_or_b64 exec, exec, s[8:9]
	buffer_load_dword v58, off, s[0:3], 0 offset:24
	buffer_load_dword v59, off, s[0:3], 0 offset:28
	v_cmp_gt_u32_e32 vcc, 3, v0
	s_waitcnt vmcnt(0)
	ds_write_b64 v60, v[58:59]
	s_waitcnt lgkmcnt(0)
	; wave barrier
	s_waitcnt lgkmcnt(0)
	s_and_saveexec_b64 s[8:9], vcc
	s_cbranch_execz .LBB91_290
; %bb.283:
	s_and_b64 vcc, exec, s[4:5]
	s_cbranch_vccnz .LBB91_285
; %bb.284:
	buffer_load_dword v58, v61, s[0:3], 0 offen
	buffer_load_dword v59, v61, s[0:3], 0 offen offset:4
	ds_read_b64 v[62:63], v60
	s_waitcnt vmcnt(0) lgkmcnt(0)
	v_mul_f64 v[58:59], v[58:59], v[62:63]
	s_cbranch_execz .LBB91_286
	s_branch .LBB91_287
.LBB91_285:
                                        ; implicit-def: $vgpr58_vgpr59
.LBB91_286:
	ds_read_b64 v[58:59], v60
.LBB91_287:
	v_cmp_ne_u32_e32 vcc, 2, v0
	s_and_saveexec_b64 s[10:11], vcc
	s_cbranch_execz .LBB91_289
; %bb.288:
	buffer_load_dword v63, v61, s[0:3], 0 offen offset:12
	buffer_load_dword v64, off, s[0:3], 0 offset:16
	buffer_load_dword v62, v61, s[0:3], 0 offen offset:8
	buffer_load_dword v65, off, s[0:3], 0 offset:20
	v_mov_b32_e32 v68, 0
	ds_read_b64 v[66:67], v60 offset:8
	ds_read_b64 v[68:69], v68 offset:240
	s_waitcnt vmcnt(1) lgkmcnt(1)
	v_fmac_f64_e32 v[58:59], v[62:63], v[66:67]
	s_waitcnt vmcnt(0) lgkmcnt(0)
	v_fma_f64 v[62:63], v[64:65], v[68:69], v[58:59]
	v_cndmask_b32_e64 v59, v59, v63, s[6:7]
	v_cndmask_b32_e64 v58, v58, v62, s[6:7]
.LBB91_289:
	s_or_b64 exec, exec, s[10:11]
	v_mov_b32_e32 v62, 0
	ds_read_b64 v[62:63], v62 offset:24
	s_waitcnt lgkmcnt(0)
	v_mul_f64 v[58:59], v[58:59], v[62:63]
	buffer_store_dword v59, off, s[0:3], 0 offset:28
	buffer_store_dword v58, off, s[0:3], 0 offset:24
.LBB91_290:
	s_or_b64 exec, exec, s[8:9]
	buffer_load_dword v58, off, s[0:3], 0 offset:32
	buffer_load_dword v59, off, s[0:3], 0 offset:36
	v_cmp_gt_u32_e32 vcc, 4, v0
	s_waitcnt vmcnt(0)
	ds_write_b64 v60, v[58:59]
	s_waitcnt lgkmcnt(0)
	; wave barrier
	s_waitcnt lgkmcnt(0)
	s_and_saveexec_b64 s[6:7], vcc
	s_cbranch_execz .LBB91_300
; %bb.291:
	s_and_b64 vcc, exec, s[4:5]
	s_cbranch_vccnz .LBB91_293
; %bb.292:
	buffer_load_dword v58, v61, s[0:3], 0 offen
	buffer_load_dword v59, v61, s[0:3], 0 offen offset:4
	ds_read_b64 v[62:63], v60
	s_waitcnt vmcnt(0) lgkmcnt(0)
	v_mul_f64 v[58:59], v[58:59], v[62:63]
	s_cbranch_execz .LBB91_294
	s_branch .LBB91_295
.LBB91_293:
                                        ; implicit-def: $vgpr58_vgpr59
.LBB91_294:
	ds_read_b64 v[58:59], v60
.LBB91_295:
	v_cmp_ne_u32_e32 vcc, 3, v0
	s_and_saveexec_b64 s[8:9], vcc
	s_cbranch_execz .LBB91_299
; %bb.296:
	v_mov_b32_e32 v63, 0
	v_add_u32_e32 v62, 0xe8, v1
	v_add3_u32 v63, v1, v63, 8
	s_mov_b64 s[10:11], 0
	v_mov_b32_e32 v64, v0
.LBB91_297:                             ; =>This Inner Loop Header: Depth=1
	buffer_load_dword v66, v63, s[0:3], 0 offen
	buffer_load_dword v67, v63, s[0:3], 0 offen offset:4
	ds_read_b64 v[68:69], v62
	v_add_u32_e32 v64, 1, v64
	v_cmp_lt_u32_e32 vcc, 2, v64
	v_add_u32_e32 v62, 8, v62
	v_add_u32_e32 v63, 8, v63
	s_or_b64 s[10:11], vcc, s[10:11]
	s_waitcnt vmcnt(0) lgkmcnt(0)
	v_fmac_f64_e32 v[58:59], v[66:67], v[68:69]
	s_andn2_b64 exec, exec, s[10:11]
	s_cbranch_execnz .LBB91_297
; %bb.298:
	s_or_b64 exec, exec, s[10:11]
.LBB91_299:
	s_or_b64 exec, exec, s[8:9]
	v_mov_b32_e32 v62, 0
	ds_read_b64 v[62:63], v62 offset:32
	s_waitcnt lgkmcnt(0)
	v_mul_f64 v[58:59], v[58:59], v[62:63]
	buffer_store_dword v59, off, s[0:3], 0 offset:36
	buffer_store_dword v58, off, s[0:3], 0 offset:32
.LBB91_300:
	s_or_b64 exec, exec, s[6:7]
	buffer_load_dword v58, off, s[0:3], 0 offset:40
	buffer_load_dword v59, off, s[0:3], 0 offset:44
	v_cmp_gt_u32_e32 vcc, 5, v0
	s_waitcnt vmcnt(0)
	ds_write_b64 v60, v[58:59]
	s_waitcnt lgkmcnt(0)
	; wave barrier
	s_waitcnt lgkmcnt(0)
	s_and_saveexec_b64 s[6:7], vcc
	s_cbranch_execz .LBB91_310
; %bb.301:
	s_and_b64 vcc, exec, s[4:5]
	s_cbranch_vccnz .LBB91_303
; %bb.302:
	buffer_load_dword v58, v61, s[0:3], 0 offen
	buffer_load_dword v59, v61, s[0:3], 0 offen offset:4
	ds_read_b64 v[62:63], v60
	s_waitcnt vmcnt(0) lgkmcnt(0)
	v_mul_f64 v[58:59], v[58:59], v[62:63]
	s_cbranch_execz .LBB91_304
	s_branch .LBB91_305
.LBB91_303:
                                        ; implicit-def: $vgpr58_vgpr59
.LBB91_304:
	ds_read_b64 v[58:59], v60
.LBB91_305:
	v_cmp_ne_u32_e32 vcc, 4, v0
	s_and_saveexec_b64 s[8:9], vcc
	s_cbranch_execz .LBB91_309
; %bb.306:
	v_mov_b32_e32 v63, 0
	v_add_u32_e32 v62, 0xe8, v1
	v_add3_u32 v63, v1, v63, 8
	s_mov_b64 s[10:11], 0
	v_mov_b32_e32 v64, v0
.LBB91_307:                             ; =>This Inner Loop Header: Depth=1
	buffer_load_dword v66, v63, s[0:3], 0 offen
	buffer_load_dword v67, v63, s[0:3], 0 offen offset:4
	ds_read_b64 v[68:69], v62
	v_add_u32_e32 v64, 1, v64
	v_cmp_lt_u32_e32 vcc, 3, v64
	v_add_u32_e32 v62, 8, v62
	v_add_u32_e32 v63, 8, v63
	s_or_b64 s[10:11], vcc, s[10:11]
	s_waitcnt vmcnt(0) lgkmcnt(0)
	v_fmac_f64_e32 v[58:59], v[66:67], v[68:69]
	s_andn2_b64 exec, exec, s[10:11]
	s_cbranch_execnz .LBB91_307
; %bb.308:
	s_or_b64 exec, exec, s[10:11]
.LBB91_309:
	s_or_b64 exec, exec, s[8:9]
	v_mov_b32_e32 v62, 0
	ds_read_b64 v[62:63], v62 offset:40
	s_waitcnt lgkmcnt(0)
	v_mul_f64 v[58:59], v[58:59], v[62:63]
	buffer_store_dword v59, off, s[0:3], 0 offset:44
	buffer_store_dword v58, off, s[0:3], 0 offset:40
.LBB91_310:
	;; [unrolled: 60-line block ×22, first 2 shown]
	s_or_b64 exec, exec, s[6:7]
	buffer_load_dword v58, off, s[0:3], 0 offset:208
	buffer_load_dword v59, off, s[0:3], 0 offset:212
	v_cmp_gt_u32_e64 s[6:7], 26, v0
	s_waitcnt vmcnt(0)
	ds_write_b64 v60, v[58:59]
	s_waitcnt lgkmcnt(0)
	; wave barrier
	s_waitcnt lgkmcnt(0)
	s_and_saveexec_b64 s[8:9], s[6:7]
	s_cbranch_execz .LBB91_520
; %bb.511:
	s_and_b64 vcc, exec, s[4:5]
	s_cbranch_vccnz .LBB91_513
; %bb.512:
	buffer_load_dword v58, v61, s[0:3], 0 offen
	buffer_load_dword v59, v61, s[0:3], 0 offen offset:4
	ds_read_b64 v[62:63], v60
	s_waitcnt vmcnt(0) lgkmcnt(0)
	v_mul_f64 v[58:59], v[58:59], v[62:63]
	s_cbranch_execz .LBB91_514
	s_branch .LBB91_515
.LBB91_513:
                                        ; implicit-def: $vgpr58_vgpr59
.LBB91_514:
	ds_read_b64 v[58:59], v60
.LBB91_515:
	v_cmp_ne_u32_e32 vcc, 25, v0
	s_and_saveexec_b64 s[10:11], vcc
	s_cbranch_execz .LBB91_519
; %bb.516:
	v_mov_b32_e32 v63, 0
	v_add_u32_e32 v62, 0xe8, v1
	v_add3_u32 v63, v1, v63, 8
	s_mov_b64 s[12:13], 0
	v_mov_b32_e32 v64, v0
.LBB91_517:                             ; =>This Inner Loop Header: Depth=1
	buffer_load_dword v66, v63, s[0:3], 0 offen
	buffer_load_dword v67, v63, s[0:3], 0 offen offset:4
	ds_read_b64 v[68:69], v62
	v_add_u32_e32 v64, 1, v64
	v_cmp_lt_u32_e32 vcc, 24, v64
	v_add_u32_e32 v62, 8, v62
	v_add_u32_e32 v63, 8, v63
	s_or_b64 s[12:13], vcc, s[12:13]
	s_waitcnt vmcnt(0) lgkmcnt(0)
	v_fmac_f64_e32 v[58:59], v[66:67], v[68:69]
	s_andn2_b64 exec, exec, s[12:13]
	s_cbranch_execnz .LBB91_517
; %bb.518:
	s_or_b64 exec, exec, s[12:13]
.LBB91_519:
	s_or_b64 exec, exec, s[10:11]
	v_mov_b32_e32 v62, 0
	ds_read_b64 v[62:63], v62 offset:208
	s_waitcnt lgkmcnt(0)
	v_mul_f64 v[58:59], v[58:59], v[62:63]
	buffer_store_dword v59, off, s[0:3], 0 offset:212
	buffer_store_dword v58, off, s[0:3], 0 offset:208
.LBB91_520:
	s_or_b64 exec, exec, s[8:9]
	buffer_load_dword v58, off, s[0:3], 0 offset:216
	buffer_load_dword v59, off, s[0:3], 0 offset:220
	v_cmp_ne_u32_e32 vcc, 27, v0
	s_waitcnt vmcnt(0)
	ds_write_b64 v60, v[58:59]
	s_waitcnt lgkmcnt(0)
	; wave barrier
	s_waitcnt lgkmcnt(0)
	s_and_saveexec_b64 s[8:9], vcc
	s_cbranch_execz .LBB91_530
; %bb.521:
	s_and_b64 vcc, exec, s[4:5]
	s_cbranch_vccnz .LBB91_523
; %bb.522:
	buffer_load_dword v58, v61, s[0:3], 0 offen
	buffer_load_dword v59, v61, s[0:3], 0 offen offset:4
	ds_read_b64 v[62:63], v60
	s_waitcnt vmcnt(0) lgkmcnt(0)
	v_mul_f64 v[58:59], v[58:59], v[62:63]
	s_cbranch_execz .LBB91_524
	s_branch .LBB91_525
.LBB91_523:
                                        ; implicit-def: $vgpr58_vgpr59
.LBB91_524:
	ds_read_b64 v[58:59], v60
.LBB91_525:
	s_and_saveexec_b64 s[4:5], s[6:7]
	s_cbranch_execz .LBB91_529
; %bb.526:
	v_mov_b32_e32 v61, 0
	v_add_u32_e32 v60, 0xe8, v1
	v_add3_u32 v1, v1, v61, 8
	s_mov_b64 s[6:7], 0
.LBB91_527:                             ; =>This Inner Loop Header: Depth=1
	buffer_load_dword v62, v1, s[0:3], 0 offen
	buffer_load_dword v63, v1, s[0:3], 0 offen offset:4
	ds_read_b64 v[64:65], v60
	v_add_u32_e32 v0, 1, v0
	v_cmp_lt_u32_e32 vcc, 25, v0
	v_add_u32_e32 v60, 8, v60
	v_add_u32_e32 v1, 8, v1
	s_or_b64 s[6:7], vcc, s[6:7]
	s_waitcnt vmcnt(0) lgkmcnt(0)
	v_fmac_f64_e32 v[58:59], v[62:63], v[64:65]
	s_andn2_b64 exec, exec, s[6:7]
	s_cbranch_execnz .LBB91_527
; %bb.528:
	s_or_b64 exec, exec, s[6:7]
.LBB91_529:
	s_or_b64 exec, exec, s[4:5]
	v_mov_b32_e32 v0, 0
	ds_read_b64 v[0:1], v0 offset:216
	s_waitcnt lgkmcnt(0)
	v_mul_f64 v[0:1], v[58:59], v[0:1]
	buffer_store_dword v1, off, s[0:3], 0 offset:220
	buffer_store_dword v0, off, s[0:3], 0 offset:216
.LBB91_530:
	s_or_b64 exec, exec, s[8:9]
.LBB91_531:
	buffer_load_dword v0, off, s[0:3], 0
	buffer_load_dword v1, off, s[0:3], 0 offset:4
	buffer_load_dword v58, off, s[0:3], 0 offset:8
	;; [unrolled: 1-line block ×55, first 2 shown]
	s_waitcnt vmcnt(54)
	global_store_dwordx2 v[48:49], v[0:1], off
	s_waitcnt vmcnt(53)
	global_store_dwordx2 v[50:51], v[58:59], off
	;; [unrolled: 2-line block ×9, first 2 shown]
	global_store_dwordx2 v[16:17], v[72:73], off
	global_store_dwordx2 v[18:19], v[74:75], off
	;; [unrolled: 1-line block ×3, first 2 shown]
	s_waitcnt vmcnt(42)
	global_store_dwordx2 v[22:23], v[80:81], off
	s_waitcnt vmcnt(41)
	global_store_dwordx2 v[24:25], v[82:83], off
	s_waitcnt vmcnt(40)
	global_store_dwordx2 v[26:27], v[84:85], off
	s_waitcnt vmcnt(39)
	global_store_dwordx2 v[28:29], v[86:87], off
	s_waitcnt vmcnt(38)
	global_store_dwordx2 v[30:31], v[88:89], off
	s_waitcnt vmcnt(37)
	global_store_dwordx2 v[32:33], v[90:91], off
	s_waitcnt vmcnt(36)
	global_store_dwordx2 v[34:35], v[92:93], off
	s_waitcnt vmcnt(35)
	global_store_dwordx2 v[36:37], v[94:95], off
	s_waitcnt vmcnt(34)
	global_store_dwordx2 v[38:39], v[96:97], off
	s_waitcnt vmcnt(33)
	global_store_dwordx2 v[40:41], v[98:99], off
	s_waitcnt vmcnt(32)
	global_store_dwordx2 v[42:43], v[100:101], off
	s_waitcnt vmcnt(31)
	global_store_dwordx2 v[44:45], v[102:103], off
	s_waitcnt vmcnt(30)
	global_store_dwordx2 v[46:47], v[104:105], off
	s_waitcnt vmcnt(29)
	global_store_dwordx2 v[52:53], v[106:107], off
	s_waitcnt vmcnt(28)
	global_store_dwordx2 v[54:55], v[108:109], off
	s_waitcnt vmcnt(27)
	global_store_dwordx2 v[56:57], v[110:111], off
.LBB91_532:
	s_endpgm
	.section	.rodata,"a",@progbits
	.p2align	6, 0x0
	.amdhsa_kernel _ZN9rocsolver6v33100L18trti2_kernel_smallILi28EdPKPdEEv13rocblas_fill_17rocblas_diagonal_T1_iil
		.amdhsa_group_segment_fixed_size 448
		.amdhsa_private_segment_fixed_size 240
		.amdhsa_kernarg_size 32
		.amdhsa_user_sgpr_count 8
		.amdhsa_user_sgpr_private_segment_buffer 1
		.amdhsa_user_sgpr_dispatch_ptr 0
		.amdhsa_user_sgpr_queue_ptr 0
		.amdhsa_user_sgpr_kernarg_segment_ptr 1
		.amdhsa_user_sgpr_dispatch_id 0
		.amdhsa_user_sgpr_flat_scratch_init 1
		.amdhsa_user_sgpr_kernarg_preload_length 0
		.amdhsa_user_sgpr_kernarg_preload_offset 0
		.amdhsa_user_sgpr_private_segment_size 0
		.amdhsa_uses_dynamic_stack 0
		.amdhsa_system_sgpr_private_segment_wavefront_offset 1
		.amdhsa_system_sgpr_workgroup_id_x 1
		.amdhsa_system_sgpr_workgroup_id_y 0
		.amdhsa_system_sgpr_workgroup_id_z 0
		.amdhsa_system_sgpr_workgroup_info 0
		.amdhsa_system_vgpr_workitem_id 0
		.amdhsa_next_free_vgpr 114
		.amdhsa_next_free_sgpr 16
		.amdhsa_accum_offset 116
		.amdhsa_reserve_vcc 1
		.amdhsa_reserve_flat_scratch 0
		.amdhsa_float_round_mode_32 0
		.amdhsa_float_round_mode_16_64 0
		.amdhsa_float_denorm_mode_32 3
		.amdhsa_float_denorm_mode_16_64 3
		.amdhsa_dx10_clamp 1
		.amdhsa_ieee_mode 1
		.amdhsa_fp16_overflow 0
		.amdhsa_tg_split 0
		.amdhsa_exception_fp_ieee_invalid_op 0
		.amdhsa_exception_fp_denorm_src 0
		.amdhsa_exception_fp_ieee_div_zero 0
		.amdhsa_exception_fp_ieee_overflow 0
		.amdhsa_exception_fp_ieee_underflow 0
		.amdhsa_exception_fp_ieee_inexact 0
		.amdhsa_exception_int_div_zero 0
	.end_amdhsa_kernel
	.section	.text._ZN9rocsolver6v33100L18trti2_kernel_smallILi28EdPKPdEEv13rocblas_fill_17rocblas_diagonal_T1_iil,"axG",@progbits,_ZN9rocsolver6v33100L18trti2_kernel_smallILi28EdPKPdEEv13rocblas_fill_17rocblas_diagonal_T1_iil,comdat
.Lfunc_end91:
	.size	_ZN9rocsolver6v33100L18trti2_kernel_smallILi28EdPKPdEEv13rocblas_fill_17rocblas_diagonal_T1_iil, .Lfunc_end91-_ZN9rocsolver6v33100L18trti2_kernel_smallILi28EdPKPdEEv13rocblas_fill_17rocblas_diagonal_T1_iil
                                        ; -- End function
	.section	.AMDGPU.csdata,"",@progbits
; Kernel info:
; codeLenInByte = 16200
; NumSgprs: 20
; NumVgprs: 114
; NumAgprs: 0
; TotalNumVgprs: 114
; ScratchSize: 240
; MemoryBound: 0
; FloatMode: 240
; IeeeMode: 1
; LDSByteSize: 448 bytes/workgroup (compile time only)
; SGPRBlocks: 2
; VGPRBlocks: 14
; NumSGPRsForWavesPerEU: 20
; NumVGPRsForWavesPerEU: 114
; AccumOffset: 116
; Occupancy: 4
; WaveLimiterHint : 1
; COMPUTE_PGM_RSRC2:SCRATCH_EN: 1
; COMPUTE_PGM_RSRC2:USER_SGPR: 8
; COMPUTE_PGM_RSRC2:TRAP_HANDLER: 0
; COMPUTE_PGM_RSRC2:TGID_X_EN: 1
; COMPUTE_PGM_RSRC2:TGID_Y_EN: 0
; COMPUTE_PGM_RSRC2:TGID_Z_EN: 0
; COMPUTE_PGM_RSRC2:TIDIG_COMP_CNT: 0
; COMPUTE_PGM_RSRC3_GFX90A:ACCUM_OFFSET: 28
; COMPUTE_PGM_RSRC3_GFX90A:TG_SPLIT: 0
	.section	.text._ZN9rocsolver6v33100L18trti2_kernel_smallILi29EdPKPdEEv13rocblas_fill_17rocblas_diagonal_T1_iil,"axG",@progbits,_ZN9rocsolver6v33100L18trti2_kernel_smallILi29EdPKPdEEv13rocblas_fill_17rocblas_diagonal_T1_iil,comdat
	.globl	_ZN9rocsolver6v33100L18trti2_kernel_smallILi29EdPKPdEEv13rocblas_fill_17rocblas_diagonal_T1_iil ; -- Begin function _ZN9rocsolver6v33100L18trti2_kernel_smallILi29EdPKPdEEv13rocblas_fill_17rocblas_diagonal_T1_iil
	.p2align	8
	.type	_ZN9rocsolver6v33100L18trti2_kernel_smallILi29EdPKPdEEv13rocblas_fill_17rocblas_diagonal_T1_iil,@function
_ZN9rocsolver6v33100L18trti2_kernel_smallILi29EdPKPdEEv13rocblas_fill_17rocblas_diagonal_T1_iil: ; @_ZN9rocsolver6v33100L18trti2_kernel_smallILi29EdPKPdEEv13rocblas_fill_17rocblas_diagonal_T1_iil
; %bb.0:
	s_add_u32 s0, s0, s9
	s_addc_u32 s1, s1, 0
	v_cmp_gt_u32_e32 vcc, 29, v0
	s_and_saveexec_b64 s[6:7], vcc
	s_cbranch_execz .LBB92_552
; %bb.1:
	s_load_dwordx2 s[6:7], s[4:5], 0x10
	s_load_dwordx4 s[12:15], s[4:5], 0x0
	s_ashr_i32 s9, s8, 31
	s_lshl_b64 s[4:5], s[8:9], 3
	v_lshlrev_b32_e32 v1, 3, v0
	s_waitcnt lgkmcnt(0)
	s_ashr_i32 s9, s6, 31
	s_add_u32 s4, s14, s4
	s_addc_u32 s5, s15, s5
	s_load_dwordx2 s[4:5], s[4:5], 0x0
	s_mov_b32 s8, s6
	s_lshl_b64 s[8:9], s[8:9], 3
	s_waitcnt lgkmcnt(0)
	s_add_u32 s4, s4, s8
	s_addc_u32 s5, s5, s9
	s_add_i32 s6, s7, s7
	v_add_u32_e32 v4, s6, v0
	v_ashrrev_i32_e32 v5, 31, v4
	v_lshlrev_b64 v[2:3], 3, v[4:5]
	v_add_u32_e32 v6, s7, v4
	v_mov_b32_e32 v5, s5
	v_add_co_u32_e32 v2, vcc, s4, v2
	v_ashrrev_i32_e32 v7, 31, v6
	v_addc_co_u32_e32 v3, vcc, v5, v3, vcc
	v_lshlrev_b64 v[4:5], 3, v[6:7]
	v_add_u32_e32 v8, s7, v6
	v_mov_b32_e32 v7, s5
	v_add_co_u32_e32 v4, vcc, s4, v4
	v_ashrrev_i32_e32 v9, 31, v8
	v_addc_co_u32_e32 v5, vcc, v7, v5, vcc
	;; [unrolled: 6-line block ×22, first 2 shown]
	v_lshlrev_b64 v[46:47], 3, v[48:49]
	v_mov_b32_e32 v49, s5
	v_add_co_u32_e32 v46, vcc, s4, v46
	v_addc_co_u32_e32 v47, vcc, v49, v47, vcc
	v_mov_b32_e32 v51, s5
	v_add_co_u32_e32 v50, vcc, s4, v1
	s_ashr_i32 s9, s7, 31
	s_mov_b32 s8, s7
	v_add_u32_e32 v54, s7, v48
	v_addc_co_u32_e32 v51, vcc, 0, v51, vcc
	s_lshl_b64 s[8:9], s[8:9], 3
	v_ashrrev_i32_e32 v55, 31, v54
	v_mov_b32_e32 v53, s9
	v_add_co_u32_e32 v52, vcc, s8, v50
	v_lshlrev_b64 v[48:49], 3, v[54:55]
	v_addc_co_u32_e32 v53, vcc, v51, v53, vcc
	v_add_u32_e32 v56, s7, v54
	v_mov_b32_e32 v55, s5
	v_add_co_u32_e32 v48, vcc, s4, v48
	v_ashrrev_i32_e32 v57, 31, v56
	v_addc_co_u32_e32 v49, vcc, v55, v49, vcc
	v_lshlrev_b64 v[54:55], 3, v[56:57]
	v_add_u32_e32 v58, s7, v56
	v_mov_b32_e32 v57, s5
	v_add_co_u32_e32 v54, vcc, s4, v54
	v_ashrrev_i32_e32 v59, 31, v58
	v_addc_co_u32_e32 v55, vcc, v57, v55, vcc
	v_lshlrev_b64 v[56:57], 3, v[58:59]
	v_mov_b32_e32 v59, s5
	v_add_co_u32_e32 v56, vcc, s4, v56
	global_load_dwordx2 v[60:61], v1, s[4:5]
	global_load_dwordx2 v[62:63], v[52:53], off
	global_load_dwordx2 v[64:65], v[2:3], off
	;; [unrolled: 1-line block ×19, first 2 shown]
	v_addc_co_u32_e32 v57, vcc, v59, v57, vcc
	global_load_dwordx2 v[100:101], v[38:39], off
	global_load_dwordx2 v[102:103], v[40:41], off
	;; [unrolled: 1-line block ×8, first 2 shown]
	v_add_u32_e32 v58, s7, v58
	v_ashrrev_i32_e32 v59, 31, v58
	v_lshlrev_b64 v[58:59], 3, v[58:59]
	v_mov_b32_e32 v116, s5
	v_add_co_u32_e32 v58, vcc, s4, v58
	v_addc_co_u32_e32 v59, vcc, v116, v59, vcc
	global_load_dwordx2 v[116:117], v[58:59], off
	s_waitcnt vmcnt(28)
	buffer_store_dword v61, off, s[0:3], 0 offset:4
	buffer_store_dword v60, off, s[0:3], 0
	s_waitcnt vmcnt(29)
	buffer_store_dword v63, off, s[0:3], 0 offset:12
	buffer_store_dword v62, off, s[0:3], 0 offset:8
	s_waitcnt vmcnt(30)
	buffer_store_dword v65, off, s[0:3], 0 offset:20
	buffer_store_dword v64, off, s[0:3], 0 offset:16
	;; [unrolled: 3-line block ×28, first 2 shown]
	s_cmpk_lg_i32 s13, 0x84
	v_mov_b32_e32 v60, 0
	s_cselect_b64 s[8:9], -1, 0
	s_cmpk_eq_i32 s13, 0x84
	v_mov_b32_e32 v89, 0
	v_mov_b32_e32 v61, 0xbff00000
	s_cbranch_scc1 .LBB92_3
; %bb.2:
	v_lshl_add_u32 v70, v0, 3, v89
	buffer_load_dword v60, v70, s[0:3], 0 offen
	buffer_load_dword v61, v70, s[0:3], 0 offen offset:4
	s_waitcnt vmcnt(0)
	v_div_scale_f64 v[62:63], s[4:5], v[60:61], v[60:61], 1.0
	v_rcp_f64_e32 v[64:65], v[62:63]
	v_div_scale_f64 v[66:67], vcc, 1.0, v[60:61], 1.0
	v_fma_f64 v[68:69], -v[62:63], v[64:65], 1.0
	v_fmac_f64_e32 v[64:65], v[64:65], v[68:69]
	v_fma_f64 v[68:69], -v[62:63], v[64:65], 1.0
	v_fmac_f64_e32 v[64:65], v[64:65], v[68:69]
	v_mul_f64 v[68:69], v[66:67], v[64:65]
	v_fma_f64 v[62:63], -v[62:63], v[68:69], v[66:67]
	v_div_fmas_f64 v[62:63], v[62:63], v[64:65], v[68:69]
	v_div_fixup_f64 v[60:61], v[62:63], v[60:61], 1.0
	buffer_store_dword v60, v70, s[0:3], 0 offen
	buffer_store_dword v61, v70, s[0:3], 0 offen offset:4
	v_xor_b32_e32 v61, 0x80000000, v61
.LBB92_3:
	s_cmpk_eq_i32 s12, 0x79
	v_add_u32_e32 v62, 0xf0, v1
	v_add_u32_e32 v63, 0, v1
	s_mov_b64 s[4:5], -1
	ds_write_b64 v1, v[60:61]
	s_cbranch_scc1 .LBB92_277
; %bb.4:
	buffer_load_dword v60, off, s[0:3], 0 offset:216
	buffer_load_dword v61, off, s[0:3], 0 offset:220
	v_cmp_eq_u32_e64 s[4:5], 28, v0
	s_waitcnt vmcnt(0)
	ds_write_b64 v62, v[60:61]
	s_waitcnt lgkmcnt(0)
	; wave barrier
	s_waitcnt lgkmcnt(0)
	s_and_saveexec_b64 s[6:7], s[4:5]
	s_cbranch_execz .LBB92_10
; %bb.5:
	s_and_b64 vcc, exec, s[8:9]
	s_cbranch_vccz .LBB92_7
; %bb.6:
	buffer_load_dword v60, v63, s[0:3], 0 offen
	buffer_load_dword v61, v63, s[0:3], 0 offen offset:4
	ds_read_b64 v[64:65], v62
	s_waitcnt vmcnt(0) lgkmcnt(0)
	v_mul_f64 v[60:61], v[60:61], v[64:65]
	s_cbranch_execz .LBB92_8
	s_branch .LBB92_9
.LBB92_7:
                                        ; implicit-def: $vgpr60_vgpr61
.LBB92_8:
	ds_read_b64 v[60:61], v62
.LBB92_9:
	v_mov_b32_e32 v64, 0
	ds_read_b64 v[64:65], v64 offset:216
	s_waitcnt lgkmcnt(0)
	v_mul_f64 v[60:61], v[60:61], v[64:65]
	buffer_store_dword v61, off, s[0:3], 0 offset:220
	buffer_store_dword v60, off, s[0:3], 0 offset:216
.LBB92_10:
	s_or_b64 exec, exec, s[6:7]
	buffer_load_dword v60, off, s[0:3], 0 offset:208
	buffer_load_dword v61, off, s[0:3], 0 offset:212
	v_or_b32_e32 v64, 8, v89
	v_add_u32_e32 v65, 16, v89
	v_add_u32_e32 v66, 24, v89
	;; [unrolled: 1-line block ×25, first 2 shown]
	v_cmp_lt_u32_e64 s[6:7], 26, v0
	s_waitcnt vmcnt(0)
	ds_write_b64 v62, v[60:61]
	s_waitcnt lgkmcnt(0)
	; wave barrier
	s_waitcnt lgkmcnt(0)
	s_and_saveexec_b64 s[10:11], s[6:7]
	s_cbranch_execz .LBB92_16
; %bb.11:
	s_andn2_b64 vcc, exec, s[8:9]
	s_cbranch_vccnz .LBB92_13
; %bb.12:
	buffer_load_dword v60, v63, s[0:3], 0 offen
	buffer_load_dword v61, v63, s[0:3], 0 offen offset:4
	ds_read_b64 v[90:91], v62
	s_waitcnt vmcnt(0) lgkmcnt(0)
	v_mul_f64 v[60:61], v[60:61], v[90:91]
	s_cbranch_execz .LBB92_14
	s_branch .LBB92_15
.LBB92_13:
                                        ; implicit-def: $vgpr60_vgpr61
.LBB92_14:
	ds_read_b64 v[60:61], v62
.LBB92_15:
	buffer_load_dword v94, off, s[0:3], 0 offset:216
	buffer_load_dword v95, off, s[0:3], 0 offset:220
	v_mov_b32_e32 v90, 0
	ds_read2_b64 v[90:93], v90 offset0:26 offset1:57
	s_waitcnt vmcnt(0) lgkmcnt(0)
	v_fma_f64 v[92:93], v[94:95], v[92:93], v[60:61]
	v_cndmask_b32_e64 v61, v61, v93, s[4:5]
	v_cndmask_b32_e64 v60, v60, v92, s[4:5]
	v_mul_f64 v[60:61], v[60:61], v[90:91]
	buffer_store_dword v61, off, s[0:3], 0 offset:212
	buffer_store_dword v60, off, s[0:3], 0 offset:208
.LBB92_16:
	s_or_b64 exec, exec, s[10:11]
	buffer_load_dword v60, off, s[0:3], 0 offset:200
	buffer_load_dword v61, off, s[0:3], 0 offset:204
	v_cmp_lt_u32_e64 s[4:5], 25, v0
	s_waitcnt vmcnt(0)
	ds_write_b64 v62, v[60:61]
	s_waitcnt lgkmcnt(0)
	; wave barrier
	s_waitcnt lgkmcnt(0)
	s_and_saveexec_b64 s[10:11], s[4:5]
	s_cbranch_execz .LBB92_26
; %bb.17:
	s_andn2_b64 vcc, exec, s[8:9]
	s_cbranch_vccnz .LBB92_19
; %bb.18:
	buffer_load_dword v60, v63, s[0:3], 0 offen
	buffer_load_dword v61, v63, s[0:3], 0 offen offset:4
	ds_read_b64 v[90:91], v62
	s_waitcnt vmcnt(0) lgkmcnt(0)
	v_mul_f64 v[60:61], v[60:61], v[90:91]
	s_cbranch_execz .LBB92_20
	s_branch .LBB92_21
.LBB92_19:
                                        ; implicit-def: $vgpr60_vgpr61
.LBB92_20:
	ds_read_b64 v[60:61], v62
.LBB92_21:
	s_and_saveexec_b64 s[12:13], s[6:7]
	s_cbranch_execz .LBB92_25
; %bb.22:
	v_subrev_u32_e32 v90, 26, v0
	s_movk_i32 s14, 0x1c0
	s_mov_b64 s[6:7], 0
.LBB92_23:                              ; =>This Inner Loop Header: Depth=1
	buffer_load_dword v92, v89, s[0:3], 0 offen
	buffer_load_dword v93, v89, s[0:3], 0 offen offset:4
	v_mov_b32_e32 v91, s14
	ds_read_b64 v[94:95], v91
	v_add_u32_e32 v90, -1, v90
	s_add_i32 s14, s14, 8
	v_cmp_eq_u32_e32 vcc, 0, v90
	v_add_u32_e32 v89, 8, v89
	s_or_b64 s[6:7], vcc, s[6:7]
	s_waitcnt vmcnt(0) lgkmcnt(0)
	v_fmac_f64_e32 v[60:61], v[92:93], v[94:95]
	s_andn2_b64 exec, exec, s[6:7]
	s_cbranch_execnz .LBB92_23
; %bb.24:
	s_or_b64 exec, exec, s[6:7]
.LBB92_25:
	s_or_b64 exec, exec, s[12:13]
	v_mov_b32_e32 v89, 0
	ds_read_b64 v[90:91], v89 offset:200
	s_waitcnt lgkmcnt(0)
	v_mul_f64 v[60:61], v[60:61], v[90:91]
	buffer_store_dword v61, off, s[0:3], 0 offset:204
	buffer_store_dword v60, off, s[0:3], 0 offset:200
.LBB92_26:
	s_or_b64 exec, exec, s[10:11]
	buffer_load_dword v60, off, s[0:3], 0 offset:192
	buffer_load_dword v61, off, s[0:3], 0 offset:196
	v_cmp_lt_u32_e64 s[6:7], 24, v0
	s_waitcnt vmcnt(0)
	ds_write_b64 v62, v[60:61]
	s_waitcnt lgkmcnt(0)
	; wave barrier
	s_waitcnt lgkmcnt(0)
	s_and_saveexec_b64 s[10:11], s[6:7]
	s_cbranch_execz .LBB92_36
; %bb.27:
	s_andn2_b64 vcc, exec, s[8:9]
	s_cbranch_vccnz .LBB92_29
; %bb.28:
	buffer_load_dword v60, v63, s[0:3], 0 offen
	buffer_load_dword v61, v63, s[0:3], 0 offen offset:4
	ds_read_b64 v[90:91], v62
	s_waitcnt vmcnt(0) lgkmcnt(0)
	v_mul_f64 v[60:61], v[60:61], v[90:91]
	s_cbranch_execz .LBB92_30
	s_branch .LBB92_31
.LBB92_29:
                                        ; implicit-def: $vgpr60_vgpr61
.LBB92_30:
	ds_read_b64 v[60:61], v62
.LBB92_31:
	s_and_saveexec_b64 s[12:13], s[4:5]
	s_cbranch_execz .LBB92_35
; %bb.32:
	v_subrev_u32_e32 v89, 25, v0
	s_movk_i32 s14, 0x1b8
	s_mov_b64 s[4:5], 0
.LBB92_33:                              ; =>This Inner Loop Header: Depth=1
	buffer_load_dword v90, v88, s[0:3], 0 offen
	buffer_load_dword v91, v88, s[0:3], 0 offen offset:4
	v_mov_b32_e32 v92, s14
	ds_read_b64 v[92:93], v92
	v_add_u32_e32 v89, -1, v89
	s_add_i32 s14, s14, 8
	v_cmp_eq_u32_e32 vcc, 0, v89
	v_add_u32_e32 v88, 8, v88
	s_or_b64 s[4:5], vcc, s[4:5]
	s_waitcnt vmcnt(0) lgkmcnt(0)
	v_fmac_f64_e32 v[60:61], v[90:91], v[92:93]
	s_andn2_b64 exec, exec, s[4:5]
	s_cbranch_execnz .LBB92_33
; %bb.34:
	s_or_b64 exec, exec, s[4:5]
.LBB92_35:
	s_or_b64 exec, exec, s[12:13]
	v_mov_b32_e32 v88, 0
	ds_read_b64 v[88:89], v88 offset:192
	s_waitcnt lgkmcnt(0)
	v_mul_f64 v[60:61], v[60:61], v[88:89]
	buffer_store_dword v61, off, s[0:3], 0 offset:196
	buffer_store_dword v60, off, s[0:3], 0 offset:192
.LBB92_36:
	;; [unrolled: 58-line block ×8, first 2 shown]
	s_or_b64 exec, exec, s[10:11]
	buffer_load_dword v60, off, s[0:3], 0 offset:136
	buffer_load_dword v61, off, s[0:3], 0 offset:140
	v_cmp_lt_u32_e64 s[4:5], 17, v0
	s_waitcnt vmcnt(0)
	ds_write_b64 v62, v[60:61]
	s_waitcnt lgkmcnt(0)
	; wave barrier
	s_waitcnt lgkmcnt(0)
	s_and_saveexec_b64 s[10:11], s[4:5]
	s_cbranch_execz .LBB92_106
; %bb.97:
	s_andn2_b64 vcc, exec, s[8:9]
	s_cbranch_vccnz .LBB92_99
; %bb.98:
	buffer_load_dword v60, v63, s[0:3], 0 offen
	buffer_load_dword v61, v63, s[0:3], 0 offen offset:4
	ds_read_b64 v[82:83], v62
	s_waitcnt vmcnt(0) lgkmcnt(0)
	v_mul_f64 v[60:61], v[60:61], v[82:83]
	s_cbranch_execz .LBB92_100
	s_branch .LBB92_101
.LBB92_99:
                                        ; implicit-def: $vgpr60_vgpr61
.LBB92_100:
	ds_read_b64 v[60:61], v62
.LBB92_101:
	s_and_saveexec_b64 s[12:13], s[6:7]
	s_cbranch_execz .LBB92_105
; %bb.102:
	v_subrev_u32_e32 v82, 18, v0
	s_movk_i32 s14, 0x180
	s_mov_b64 s[6:7], 0
.LBB92_103:                             ; =>This Inner Loop Header: Depth=1
	buffer_load_dword v84, v81, s[0:3], 0 offen
	buffer_load_dword v85, v81, s[0:3], 0 offen offset:4
	v_mov_b32_e32 v83, s14
	ds_read_b64 v[86:87], v83
	v_add_u32_e32 v82, -1, v82
	s_add_i32 s14, s14, 8
	v_cmp_eq_u32_e32 vcc, 0, v82
	v_add_u32_e32 v81, 8, v81
	s_or_b64 s[6:7], vcc, s[6:7]
	s_waitcnt vmcnt(0) lgkmcnt(0)
	v_fmac_f64_e32 v[60:61], v[84:85], v[86:87]
	s_andn2_b64 exec, exec, s[6:7]
	s_cbranch_execnz .LBB92_103
; %bb.104:
	s_or_b64 exec, exec, s[6:7]
.LBB92_105:
	s_or_b64 exec, exec, s[12:13]
	v_mov_b32_e32 v81, 0
	ds_read_b64 v[82:83], v81 offset:136
	s_waitcnt lgkmcnt(0)
	v_mul_f64 v[60:61], v[60:61], v[82:83]
	buffer_store_dword v61, off, s[0:3], 0 offset:140
	buffer_store_dword v60, off, s[0:3], 0 offset:136
.LBB92_106:
	s_or_b64 exec, exec, s[10:11]
	buffer_load_dword v60, off, s[0:3], 0 offset:128
	buffer_load_dword v61, off, s[0:3], 0 offset:132
	v_cmp_lt_u32_e64 s[6:7], 16, v0
	s_waitcnt vmcnt(0)
	ds_write_b64 v62, v[60:61]
	s_waitcnt lgkmcnt(0)
	; wave barrier
	s_waitcnt lgkmcnt(0)
	s_and_saveexec_b64 s[10:11], s[6:7]
	s_cbranch_execz .LBB92_116
; %bb.107:
	s_andn2_b64 vcc, exec, s[8:9]
	s_cbranch_vccnz .LBB92_109
; %bb.108:
	buffer_load_dword v60, v63, s[0:3], 0 offen
	buffer_load_dword v61, v63, s[0:3], 0 offen offset:4
	ds_read_b64 v[82:83], v62
	s_waitcnt vmcnt(0) lgkmcnt(0)
	v_mul_f64 v[60:61], v[60:61], v[82:83]
	s_cbranch_execz .LBB92_110
	s_branch .LBB92_111
.LBB92_109:
                                        ; implicit-def: $vgpr60_vgpr61
.LBB92_110:
	ds_read_b64 v[60:61], v62
.LBB92_111:
	s_and_saveexec_b64 s[12:13], s[4:5]
	s_cbranch_execz .LBB92_115
; %bb.112:
	v_subrev_u32_e32 v81, 17, v0
	s_movk_i32 s14, 0x178
	s_mov_b64 s[4:5], 0
.LBB92_113:                             ; =>This Inner Loop Header: Depth=1
	buffer_load_dword v82, v80, s[0:3], 0 offen
	buffer_load_dword v83, v80, s[0:3], 0 offen offset:4
	v_mov_b32_e32 v84, s14
	ds_read_b64 v[84:85], v84
	v_add_u32_e32 v81, -1, v81
	s_add_i32 s14, s14, 8
	v_cmp_eq_u32_e32 vcc, 0, v81
	v_add_u32_e32 v80, 8, v80
	s_or_b64 s[4:5], vcc, s[4:5]
	s_waitcnt vmcnt(0) lgkmcnt(0)
	v_fmac_f64_e32 v[60:61], v[82:83], v[84:85]
	s_andn2_b64 exec, exec, s[4:5]
	s_cbranch_execnz .LBB92_113
; %bb.114:
	s_or_b64 exec, exec, s[4:5]
.LBB92_115:
	s_or_b64 exec, exec, s[12:13]
	v_mov_b32_e32 v80, 0
	ds_read_b64 v[80:81], v80 offset:128
	s_waitcnt lgkmcnt(0)
	v_mul_f64 v[60:61], v[60:61], v[80:81]
	buffer_store_dword v61, off, s[0:3], 0 offset:132
	buffer_store_dword v60, off, s[0:3], 0 offset:128
.LBB92_116:
	s_or_b64 exec, exec, s[10:11]
	buffer_load_dword v60, off, s[0:3], 0 offset:120
	buffer_load_dword v61, off, s[0:3], 0 offset:124
	v_cmp_lt_u32_e64 s[4:5], 15, v0
	s_waitcnt vmcnt(0)
	ds_write_b64 v62, v[60:61]
	s_waitcnt lgkmcnt(0)
	; wave barrier
	s_waitcnt lgkmcnt(0)
	s_and_saveexec_b64 s[10:11], s[4:5]
	s_cbranch_execz .LBB92_126
; %bb.117:
	s_andn2_b64 vcc, exec, s[8:9]
	s_cbranch_vccnz .LBB92_119
; %bb.118:
	buffer_load_dword v60, v63, s[0:3], 0 offen
	buffer_load_dword v61, v63, s[0:3], 0 offen offset:4
	ds_read_b64 v[80:81], v62
	s_waitcnt vmcnt(0) lgkmcnt(0)
	v_mul_f64 v[60:61], v[60:61], v[80:81]
	s_cbranch_execz .LBB92_120
	s_branch .LBB92_121
.LBB92_119:
                                        ; implicit-def: $vgpr60_vgpr61
.LBB92_120:
	ds_read_b64 v[60:61], v62
.LBB92_121:
	s_and_saveexec_b64 s[12:13], s[6:7]
	s_cbranch_execz .LBB92_125
; %bb.122:
	v_add_u32_e32 v80, -16, v0
	s_movk_i32 s14, 0x170
	s_mov_b64 s[6:7], 0
.LBB92_123:                             ; =>This Inner Loop Header: Depth=1
	buffer_load_dword v82, v79, s[0:3], 0 offen
	buffer_load_dword v83, v79, s[0:3], 0 offen offset:4
	v_mov_b32_e32 v81, s14
	ds_read_b64 v[84:85], v81
	v_add_u32_e32 v80, -1, v80
	s_add_i32 s14, s14, 8
	v_cmp_eq_u32_e32 vcc, 0, v80
	v_add_u32_e32 v79, 8, v79
	s_or_b64 s[6:7], vcc, s[6:7]
	s_waitcnt vmcnt(0) lgkmcnt(0)
	v_fmac_f64_e32 v[60:61], v[82:83], v[84:85]
	s_andn2_b64 exec, exec, s[6:7]
	s_cbranch_execnz .LBB92_123
; %bb.124:
	s_or_b64 exec, exec, s[6:7]
.LBB92_125:
	s_or_b64 exec, exec, s[12:13]
	v_mov_b32_e32 v79, 0
	ds_read_b64 v[80:81], v79 offset:120
	s_waitcnt lgkmcnt(0)
	v_mul_f64 v[60:61], v[60:61], v[80:81]
	buffer_store_dword v61, off, s[0:3], 0 offset:124
	buffer_store_dword v60, off, s[0:3], 0 offset:120
.LBB92_126:
	s_or_b64 exec, exec, s[10:11]
	buffer_load_dword v60, off, s[0:3], 0 offset:112
	buffer_load_dword v61, off, s[0:3], 0 offset:116
	v_cmp_lt_u32_e64 s[6:7], 14, v0
	s_waitcnt vmcnt(0)
	ds_write_b64 v62, v[60:61]
	s_waitcnt lgkmcnt(0)
	; wave barrier
	s_waitcnt lgkmcnt(0)
	s_and_saveexec_b64 s[10:11], s[6:7]
	s_cbranch_execz .LBB92_136
; %bb.127:
	s_andn2_b64 vcc, exec, s[8:9]
	s_cbranch_vccnz .LBB92_129
; %bb.128:
	buffer_load_dword v60, v63, s[0:3], 0 offen
	buffer_load_dword v61, v63, s[0:3], 0 offen offset:4
	ds_read_b64 v[80:81], v62
	s_waitcnt vmcnt(0) lgkmcnt(0)
	v_mul_f64 v[60:61], v[60:61], v[80:81]
	s_cbranch_execz .LBB92_130
	s_branch .LBB92_131
.LBB92_129:
                                        ; implicit-def: $vgpr60_vgpr61
.LBB92_130:
	ds_read_b64 v[60:61], v62
.LBB92_131:
	s_and_saveexec_b64 s[12:13], s[4:5]
	s_cbranch_execz .LBB92_135
; %bb.132:
	v_add_u32_e32 v79, -15, v0
	s_movk_i32 s14, 0x168
	s_mov_b64 s[4:5], 0
.LBB92_133:                             ; =>This Inner Loop Header: Depth=1
	buffer_load_dword v80, v78, s[0:3], 0 offen
	buffer_load_dword v81, v78, s[0:3], 0 offen offset:4
	v_mov_b32_e32 v82, s14
	ds_read_b64 v[82:83], v82
	v_add_u32_e32 v79, -1, v79
	s_add_i32 s14, s14, 8
	v_cmp_eq_u32_e32 vcc, 0, v79
	v_add_u32_e32 v78, 8, v78
	s_or_b64 s[4:5], vcc, s[4:5]
	s_waitcnt vmcnt(0) lgkmcnt(0)
	v_fmac_f64_e32 v[60:61], v[80:81], v[82:83]
	s_andn2_b64 exec, exec, s[4:5]
	s_cbranch_execnz .LBB92_133
; %bb.134:
	s_or_b64 exec, exec, s[4:5]
.LBB92_135:
	s_or_b64 exec, exec, s[12:13]
	v_mov_b32_e32 v78, 0
	ds_read_b64 v[78:79], v78 offset:112
	s_waitcnt lgkmcnt(0)
	v_mul_f64 v[60:61], v[60:61], v[78:79]
	buffer_store_dword v61, off, s[0:3], 0 offset:116
	buffer_store_dword v60, off, s[0:3], 0 offset:112
.LBB92_136:
	;; [unrolled: 58-line block ×15, first 2 shown]
	s_or_b64 exec, exec, s[10:11]
	buffer_load_dword v60, off, s[0:3], 0
	buffer_load_dword v61, off, s[0:3], 0 offset:4
	v_cmp_ne_u32_e32 vcc, 0, v0
	s_waitcnt vmcnt(0)
	ds_write_b64 v62, v[60:61]
	s_waitcnt lgkmcnt(0)
	; wave barrier
	s_waitcnt lgkmcnt(0)
	s_and_saveexec_b64 s[6:7], vcc
	s_cbranch_execz .LBB92_276
; %bb.267:
	s_andn2_b64 vcc, exec, s[8:9]
	s_cbranch_vccnz .LBB92_269
; %bb.268:
	buffer_load_dword v60, v63, s[0:3], 0 offen
	buffer_load_dword v61, v63, s[0:3], 0 offen offset:4
	ds_read_b64 v[66:67], v62
	s_waitcnt vmcnt(0) lgkmcnt(0)
	v_mul_f64 v[60:61], v[60:61], v[66:67]
	s_cbranch_execz .LBB92_270
	s_branch .LBB92_271
.LBB92_269:
                                        ; implicit-def: $vgpr60_vgpr61
.LBB92_270:
	ds_read_b64 v[60:61], v62
.LBB92_271:
	s_and_saveexec_b64 s[10:11], s[4:5]
	s_cbranch_execz .LBB92_275
; %bb.272:
	v_add_u32_e32 v65, -1, v0
	s_movk_i32 s12, 0xf8
	s_mov_b64 s[4:5], 0
.LBB92_273:                             ; =>This Inner Loop Header: Depth=1
	buffer_load_dword v66, v64, s[0:3], 0 offen
	buffer_load_dword v67, v64, s[0:3], 0 offen offset:4
	v_mov_b32_e32 v68, s12
	ds_read_b64 v[68:69], v68
	v_add_u32_e32 v65, -1, v65
	s_add_i32 s12, s12, 8
	v_cmp_eq_u32_e32 vcc, 0, v65
	v_add_u32_e32 v64, 8, v64
	s_or_b64 s[4:5], vcc, s[4:5]
	s_waitcnt vmcnt(0) lgkmcnt(0)
	v_fmac_f64_e32 v[60:61], v[66:67], v[68:69]
	s_andn2_b64 exec, exec, s[4:5]
	s_cbranch_execnz .LBB92_273
; %bb.274:
	s_or_b64 exec, exec, s[4:5]
.LBB92_275:
	s_or_b64 exec, exec, s[10:11]
	v_mov_b32_e32 v64, 0
	ds_read_b64 v[64:65], v64
	s_waitcnt lgkmcnt(0)
	v_mul_f64 v[60:61], v[60:61], v[64:65]
	buffer_store_dword v61, off, s[0:3], 0 offset:4
	buffer_store_dword v60, off, s[0:3], 0
.LBB92_276:
	s_or_b64 exec, exec, s[6:7]
	s_mov_b64 s[4:5], 0
.LBB92_277:
	s_and_b64 vcc, exec, s[4:5]
	s_cbranch_vccz .LBB92_551
; %bb.278:
	buffer_load_dword v60, off, s[0:3], 0 offset:8
	buffer_load_dword v61, off, s[0:3], 0 offset:12
	v_cmp_eq_u32_e64 s[6:7], 0, v0
	s_waitcnt vmcnt(0)
	ds_write_b64 v62, v[60:61]
	s_waitcnt lgkmcnt(0)
	; wave barrier
	s_waitcnt lgkmcnt(0)
	s_and_saveexec_b64 s[4:5], s[6:7]
	s_cbranch_execz .LBB92_284
; %bb.279:
	s_and_b64 vcc, exec, s[8:9]
	s_cbranch_vccz .LBB92_281
; %bb.280:
	buffer_load_dword v60, v63, s[0:3], 0 offen
	buffer_load_dword v61, v63, s[0:3], 0 offen offset:4
	ds_read_b64 v[64:65], v62
	s_waitcnt vmcnt(0) lgkmcnt(0)
	v_mul_f64 v[60:61], v[60:61], v[64:65]
	s_cbranch_execz .LBB92_282
	s_branch .LBB92_283
.LBB92_281:
                                        ; implicit-def: $vgpr60_vgpr61
.LBB92_282:
	ds_read_b64 v[60:61], v62
.LBB92_283:
	v_mov_b32_e32 v64, 0
	ds_read_b64 v[64:65], v64 offset:8
	s_waitcnt lgkmcnt(0)
	v_mul_f64 v[60:61], v[60:61], v[64:65]
	buffer_store_dword v61, off, s[0:3], 0 offset:12
	buffer_store_dword v60, off, s[0:3], 0 offset:8
.LBB92_284:
	s_or_b64 exec, exec, s[4:5]
	buffer_load_dword v60, off, s[0:3], 0 offset:16
	buffer_load_dword v61, off, s[0:3], 0 offset:20
	v_cndmask_b32_e64 v64, 0, 1, s[8:9]
	v_cmp_gt_u32_e32 vcc, 2, v0
	v_cmp_ne_u32_e64 s[4:5], 1, v64
	s_waitcnt vmcnt(0)
	ds_write_b64 v62, v[60:61]
	s_waitcnt lgkmcnt(0)
	; wave barrier
	s_waitcnt lgkmcnt(0)
	s_and_saveexec_b64 s[8:9], vcc
	s_cbranch_execz .LBB92_292
; %bb.285:
	s_and_b64 vcc, exec, s[4:5]
	s_cbranch_vccnz .LBB92_287
; %bb.286:
	buffer_load_dword v60, v63, s[0:3], 0 offen
	buffer_load_dword v61, v63, s[0:3], 0 offen offset:4
	ds_read_b64 v[64:65], v62
	s_waitcnt vmcnt(0) lgkmcnt(0)
	v_mul_f64 v[60:61], v[60:61], v[64:65]
	s_cbranch_execz .LBB92_288
	s_branch .LBB92_289
.LBB92_287:
                                        ; implicit-def: $vgpr60_vgpr61
.LBB92_288:
	ds_read_b64 v[60:61], v62
.LBB92_289:
	s_and_saveexec_b64 s[10:11], s[6:7]
	s_cbranch_execz .LBB92_291
; %bb.290:
	buffer_load_dword v64, v63, s[0:3], 0 offen offset:8
	buffer_load_dword v65, v63, s[0:3], 0 offen offset:12
	ds_read_b64 v[66:67], v62 offset:8
	s_waitcnt vmcnt(0) lgkmcnt(0)
	v_fmac_f64_e32 v[60:61], v[64:65], v[66:67]
.LBB92_291:
	s_or_b64 exec, exec, s[10:11]
	v_mov_b32_e32 v64, 0
	ds_read_b64 v[64:65], v64 offset:16
	s_waitcnt lgkmcnt(0)
	v_mul_f64 v[60:61], v[60:61], v[64:65]
	buffer_store_dword v61, off, s[0:3], 0 offset:20
	buffer_store_dword v60, off, s[0:3], 0 offset:16
.LBB92_292:
	s_or_b64 exec, exec, s[8:9]
	buffer_load_dword v60, off, s[0:3], 0 offset:24
	buffer_load_dword v61, off, s[0:3], 0 offset:28
	v_cmp_gt_u32_e32 vcc, 3, v0
	s_waitcnt vmcnt(0)
	ds_write_b64 v62, v[60:61]
	s_waitcnt lgkmcnt(0)
	; wave barrier
	s_waitcnt lgkmcnt(0)
	s_and_saveexec_b64 s[8:9], vcc
	s_cbranch_execz .LBB92_300
; %bb.293:
	s_and_b64 vcc, exec, s[4:5]
	s_cbranch_vccnz .LBB92_295
; %bb.294:
	buffer_load_dword v60, v63, s[0:3], 0 offen
	buffer_load_dword v61, v63, s[0:3], 0 offen offset:4
	ds_read_b64 v[64:65], v62
	s_waitcnt vmcnt(0) lgkmcnt(0)
	v_mul_f64 v[60:61], v[60:61], v[64:65]
	s_cbranch_execz .LBB92_296
	s_branch .LBB92_297
.LBB92_295:
                                        ; implicit-def: $vgpr60_vgpr61
.LBB92_296:
	ds_read_b64 v[60:61], v62
.LBB92_297:
	v_cmp_ne_u32_e32 vcc, 2, v0
	s_and_saveexec_b64 s[10:11], vcc
	s_cbranch_execz .LBB92_299
; %bb.298:
	buffer_load_dword v65, v63, s[0:3], 0 offen offset:12
	buffer_load_dword v66, off, s[0:3], 0 offset:16
	buffer_load_dword v64, v63, s[0:3], 0 offen offset:8
	buffer_load_dword v67, off, s[0:3], 0 offset:20
	v_mov_b32_e32 v70, 0
	ds_read_b64 v[68:69], v62 offset:8
	ds_read_b64 v[70:71], v70 offset:256
	s_waitcnt vmcnt(1) lgkmcnt(1)
	v_fmac_f64_e32 v[60:61], v[64:65], v[68:69]
	s_waitcnt vmcnt(0) lgkmcnt(0)
	v_fma_f64 v[64:65], v[66:67], v[70:71], v[60:61]
	v_cndmask_b32_e64 v61, v61, v65, s[6:7]
	v_cndmask_b32_e64 v60, v60, v64, s[6:7]
.LBB92_299:
	s_or_b64 exec, exec, s[10:11]
	v_mov_b32_e32 v64, 0
	ds_read_b64 v[64:65], v64 offset:24
	s_waitcnt lgkmcnt(0)
	v_mul_f64 v[60:61], v[60:61], v[64:65]
	buffer_store_dword v61, off, s[0:3], 0 offset:28
	buffer_store_dword v60, off, s[0:3], 0 offset:24
.LBB92_300:
	s_or_b64 exec, exec, s[8:9]
	buffer_load_dword v60, off, s[0:3], 0 offset:32
	buffer_load_dword v61, off, s[0:3], 0 offset:36
	v_cmp_gt_u32_e32 vcc, 4, v0
	s_waitcnt vmcnt(0)
	ds_write_b64 v62, v[60:61]
	s_waitcnt lgkmcnt(0)
	; wave barrier
	s_waitcnt lgkmcnt(0)
	s_and_saveexec_b64 s[6:7], vcc
	s_cbranch_execz .LBB92_310
; %bb.301:
	s_and_b64 vcc, exec, s[4:5]
	s_cbranch_vccnz .LBB92_303
; %bb.302:
	buffer_load_dword v60, v63, s[0:3], 0 offen
	buffer_load_dword v61, v63, s[0:3], 0 offen offset:4
	ds_read_b64 v[64:65], v62
	s_waitcnt vmcnt(0) lgkmcnt(0)
	v_mul_f64 v[60:61], v[60:61], v[64:65]
	s_cbranch_execz .LBB92_304
	s_branch .LBB92_305
.LBB92_303:
                                        ; implicit-def: $vgpr60_vgpr61
.LBB92_304:
	ds_read_b64 v[60:61], v62
.LBB92_305:
	v_cmp_ne_u32_e32 vcc, 3, v0
	s_and_saveexec_b64 s[8:9], vcc
	s_cbranch_execz .LBB92_309
; %bb.306:
	v_mov_b32_e32 v65, 0
	v_add_u32_e32 v64, 0xf8, v1
	v_add3_u32 v65, v1, v65, 8
	s_mov_b64 s[10:11], 0
	v_mov_b32_e32 v66, v0
.LBB92_307:                             ; =>This Inner Loop Header: Depth=1
	buffer_load_dword v68, v65, s[0:3], 0 offen
	buffer_load_dword v69, v65, s[0:3], 0 offen offset:4
	ds_read_b64 v[70:71], v64
	v_add_u32_e32 v66, 1, v66
	v_cmp_lt_u32_e32 vcc, 2, v66
	v_add_u32_e32 v64, 8, v64
	v_add_u32_e32 v65, 8, v65
	s_or_b64 s[10:11], vcc, s[10:11]
	s_waitcnt vmcnt(0) lgkmcnt(0)
	v_fmac_f64_e32 v[60:61], v[68:69], v[70:71]
	s_andn2_b64 exec, exec, s[10:11]
	s_cbranch_execnz .LBB92_307
; %bb.308:
	s_or_b64 exec, exec, s[10:11]
.LBB92_309:
	s_or_b64 exec, exec, s[8:9]
	v_mov_b32_e32 v64, 0
	ds_read_b64 v[64:65], v64 offset:32
	s_waitcnt lgkmcnt(0)
	v_mul_f64 v[60:61], v[60:61], v[64:65]
	buffer_store_dword v61, off, s[0:3], 0 offset:36
	buffer_store_dword v60, off, s[0:3], 0 offset:32
.LBB92_310:
	s_or_b64 exec, exec, s[6:7]
	buffer_load_dword v60, off, s[0:3], 0 offset:40
	buffer_load_dword v61, off, s[0:3], 0 offset:44
	v_cmp_gt_u32_e32 vcc, 5, v0
	s_waitcnt vmcnt(0)
	ds_write_b64 v62, v[60:61]
	s_waitcnt lgkmcnt(0)
	; wave barrier
	s_waitcnt lgkmcnt(0)
	s_and_saveexec_b64 s[6:7], vcc
	s_cbranch_execz .LBB92_320
; %bb.311:
	s_and_b64 vcc, exec, s[4:5]
	s_cbranch_vccnz .LBB92_313
; %bb.312:
	buffer_load_dword v60, v63, s[0:3], 0 offen
	buffer_load_dword v61, v63, s[0:3], 0 offen offset:4
	ds_read_b64 v[64:65], v62
	s_waitcnt vmcnt(0) lgkmcnt(0)
	v_mul_f64 v[60:61], v[60:61], v[64:65]
	s_cbranch_execz .LBB92_314
	s_branch .LBB92_315
.LBB92_313:
                                        ; implicit-def: $vgpr60_vgpr61
.LBB92_314:
	ds_read_b64 v[60:61], v62
.LBB92_315:
	v_cmp_ne_u32_e32 vcc, 4, v0
	s_and_saveexec_b64 s[8:9], vcc
	s_cbranch_execz .LBB92_319
; %bb.316:
	v_mov_b32_e32 v65, 0
	v_add_u32_e32 v64, 0xf8, v1
	v_add3_u32 v65, v1, v65, 8
	s_mov_b64 s[10:11], 0
	v_mov_b32_e32 v66, v0
.LBB92_317:                             ; =>This Inner Loop Header: Depth=1
	buffer_load_dword v68, v65, s[0:3], 0 offen
	buffer_load_dword v69, v65, s[0:3], 0 offen offset:4
	ds_read_b64 v[70:71], v64
	v_add_u32_e32 v66, 1, v66
	v_cmp_lt_u32_e32 vcc, 3, v66
	v_add_u32_e32 v64, 8, v64
	v_add_u32_e32 v65, 8, v65
	s_or_b64 s[10:11], vcc, s[10:11]
	s_waitcnt vmcnt(0) lgkmcnt(0)
	v_fmac_f64_e32 v[60:61], v[68:69], v[70:71]
	s_andn2_b64 exec, exec, s[10:11]
	s_cbranch_execnz .LBB92_317
; %bb.318:
	s_or_b64 exec, exec, s[10:11]
.LBB92_319:
	s_or_b64 exec, exec, s[8:9]
	v_mov_b32_e32 v64, 0
	ds_read_b64 v[64:65], v64 offset:40
	s_waitcnt lgkmcnt(0)
	v_mul_f64 v[60:61], v[60:61], v[64:65]
	buffer_store_dword v61, off, s[0:3], 0 offset:44
	buffer_store_dword v60, off, s[0:3], 0 offset:40
.LBB92_320:
	;; [unrolled: 60-line block ×23, first 2 shown]
	s_or_b64 exec, exec, s[6:7]
	buffer_load_dword v60, off, s[0:3], 0 offset:216
	buffer_load_dword v61, off, s[0:3], 0 offset:220
	v_cmp_gt_u32_e64 s[6:7], 27, v0
	s_waitcnt vmcnt(0)
	ds_write_b64 v62, v[60:61]
	s_waitcnt lgkmcnt(0)
	; wave barrier
	s_waitcnt lgkmcnt(0)
	s_and_saveexec_b64 s[8:9], s[6:7]
	s_cbranch_execz .LBB92_540
; %bb.531:
	s_and_b64 vcc, exec, s[4:5]
	s_cbranch_vccnz .LBB92_533
; %bb.532:
	buffer_load_dword v60, v63, s[0:3], 0 offen
	buffer_load_dword v61, v63, s[0:3], 0 offen offset:4
	ds_read_b64 v[64:65], v62
	s_waitcnt vmcnt(0) lgkmcnt(0)
	v_mul_f64 v[60:61], v[60:61], v[64:65]
	s_cbranch_execz .LBB92_534
	s_branch .LBB92_535
.LBB92_533:
                                        ; implicit-def: $vgpr60_vgpr61
.LBB92_534:
	ds_read_b64 v[60:61], v62
.LBB92_535:
	v_cmp_ne_u32_e32 vcc, 26, v0
	s_and_saveexec_b64 s[10:11], vcc
	s_cbranch_execz .LBB92_539
; %bb.536:
	v_mov_b32_e32 v65, 0
	v_add_u32_e32 v64, 0xf8, v1
	v_add3_u32 v65, v1, v65, 8
	s_mov_b64 s[12:13], 0
	v_mov_b32_e32 v66, v0
.LBB92_537:                             ; =>This Inner Loop Header: Depth=1
	buffer_load_dword v68, v65, s[0:3], 0 offen
	buffer_load_dword v69, v65, s[0:3], 0 offen offset:4
	ds_read_b64 v[70:71], v64
	v_add_u32_e32 v66, 1, v66
	v_cmp_lt_u32_e32 vcc, 25, v66
	v_add_u32_e32 v64, 8, v64
	v_add_u32_e32 v65, 8, v65
	s_or_b64 s[12:13], vcc, s[12:13]
	s_waitcnt vmcnt(0) lgkmcnt(0)
	v_fmac_f64_e32 v[60:61], v[68:69], v[70:71]
	s_andn2_b64 exec, exec, s[12:13]
	s_cbranch_execnz .LBB92_537
; %bb.538:
	s_or_b64 exec, exec, s[12:13]
.LBB92_539:
	s_or_b64 exec, exec, s[10:11]
	v_mov_b32_e32 v64, 0
	ds_read_b64 v[64:65], v64 offset:216
	s_waitcnt lgkmcnt(0)
	v_mul_f64 v[60:61], v[60:61], v[64:65]
	buffer_store_dword v61, off, s[0:3], 0 offset:220
	buffer_store_dword v60, off, s[0:3], 0 offset:216
.LBB92_540:
	s_or_b64 exec, exec, s[8:9]
	buffer_load_dword v60, off, s[0:3], 0 offset:224
	buffer_load_dword v61, off, s[0:3], 0 offset:228
	v_cmp_ne_u32_e32 vcc, 28, v0
	s_waitcnt vmcnt(0)
	ds_write_b64 v62, v[60:61]
	s_waitcnt lgkmcnt(0)
	; wave barrier
	s_waitcnt lgkmcnt(0)
	s_and_saveexec_b64 s[8:9], vcc
	s_cbranch_execz .LBB92_550
; %bb.541:
	s_and_b64 vcc, exec, s[4:5]
	s_cbranch_vccnz .LBB92_543
; %bb.542:
	buffer_load_dword v60, v63, s[0:3], 0 offen
	buffer_load_dword v61, v63, s[0:3], 0 offen offset:4
	ds_read_b64 v[64:65], v62
	s_waitcnt vmcnt(0) lgkmcnt(0)
	v_mul_f64 v[60:61], v[60:61], v[64:65]
	s_cbranch_execz .LBB92_544
	s_branch .LBB92_545
.LBB92_543:
                                        ; implicit-def: $vgpr60_vgpr61
.LBB92_544:
	ds_read_b64 v[60:61], v62
.LBB92_545:
	s_and_saveexec_b64 s[4:5], s[6:7]
	s_cbranch_execz .LBB92_549
; %bb.546:
	v_mov_b32_e32 v63, 0
	v_add_u32_e32 v62, 0xf8, v1
	v_add3_u32 v1, v1, v63, 8
	s_mov_b64 s[6:7], 0
.LBB92_547:                             ; =>This Inner Loop Header: Depth=1
	buffer_load_dword v64, v1, s[0:3], 0 offen
	buffer_load_dword v65, v1, s[0:3], 0 offen offset:4
	ds_read_b64 v[66:67], v62
	v_add_u32_e32 v0, 1, v0
	v_cmp_lt_u32_e32 vcc, 26, v0
	v_add_u32_e32 v62, 8, v62
	v_add_u32_e32 v1, 8, v1
	s_or_b64 s[6:7], vcc, s[6:7]
	s_waitcnt vmcnt(0) lgkmcnt(0)
	v_fmac_f64_e32 v[60:61], v[64:65], v[66:67]
	s_andn2_b64 exec, exec, s[6:7]
	s_cbranch_execnz .LBB92_547
; %bb.548:
	s_or_b64 exec, exec, s[6:7]
.LBB92_549:
	s_or_b64 exec, exec, s[4:5]
	v_mov_b32_e32 v0, 0
	ds_read_b64 v[0:1], v0 offset:224
	s_waitcnt lgkmcnt(0)
	v_mul_f64 v[0:1], v[60:61], v[0:1]
	buffer_store_dword v1, off, s[0:3], 0 offset:228
	buffer_store_dword v0, off, s[0:3], 0 offset:224
.LBB92_550:
	s_or_b64 exec, exec, s[8:9]
.LBB92_551:
	buffer_load_dword v0, off, s[0:3], 0
	buffer_load_dword v1, off, s[0:3], 0 offset:4
	buffer_load_dword v60, off, s[0:3], 0 offset:8
	;; [unrolled: 1-line block ×57, first 2 shown]
	s_waitcnt vmcnt(56)
	global_store_dwordx2 v[50:51], v[0:1], off
	s_waitcnt vmcnt(55)
	global_store_dwordx2 v[52:53], v[60:61], off
	;; [unrolled: 2-line block ×9, first 2 shown]
	global_store_dwordx2 v[16:17], v[74:75], off
	global_store_dwordx2 v[18:19], v[76:77], off
	;; [unrolled: 1-line block ×3, first 2 shown]
	s_waitcnt vmcnt(44)
	global_store_dwordx2 v[22:23], v[82:83], off
	s_waitcnt vmcnt(43)
	global_store_dwordx2 v[24:25], v[84:85], off
	;; [unrolled: 2-line block ×17, first 2 shown]
.LBB92_552:
	s_endpgm
	.section	.rodata,"a",@progbits
	.p2align	6, 0x0
	.amdhsa_kernel _ZN9rocsolver6v33100L18trti2_kernel_smallILi29EdPKPdEEv13rocblas_fill_17rocblas_diagonal_T1_iil
		.amdhsa_group_segment_fixed_size 472
		.amdhsa_private_segment_fixed_size 240
		.amdhsa_kernarg_size 32
		.amdhsa_user_sgpr_count 8
		.amdhsa_user_sgpr_private_segment_buffer 1
		.amdhsa_user_sgpr_dispatch_ptr 0
		.amdhsa_user_sgpr_queue_ptr 0
		.amdhsa_user_sgpr_kernarg_segment_ptr 1
		.amdhsa_user_sgpr_dispatch_id 0
		.amdhsa_user_sgpr_flat_scratch_init 1
		.amdhsa_user_sgpr_kernarg_preload_length 0
		.amdhsa_user_sgpr_kernarg_preload_offset 0
		.amdhsa_user_sgpr_private_segment_size 0
		.amdhsa_uses_dynamic_stack 0
		.amdhsa_system_sgpr_private_segment_wavefront_offset 1
		.amdhsa_system_sgpr_workgroup_id_x 1
		.amdhsa_system_sgpr_workgroup_id_y 0
		.amdhsa_system_sgpr_workgroup_id_z 0
		.amdhsa_system_sgpr_workgroup_info 0
		.amdhsa_system_vgpr_workitem_id 0
		.amdhsa_next_free_vgpr 118
		.amdhsa_next_free_sgpr 16
		.amdhsa_accum_offset 120
		.amdhsa_reserve_vcc 1
		.amdhsa_reserve_flat_scratch 0
		.amdhsa_float_round_mode_32 0
		.amdhsa_float_round_mode_16_64 0
		.amdhsa_float_denorm_mode_32 3
		.amdhsa_float_denorm_mode_16_64 3
		.amdhsa_dx10_clamp 1
		.amdhsa_ieee_mode 1
		.amdhsa_fp16_overflow 0
		.amdhsa_tg_split 0
		.amdhsa_exception_fp_ieee_invalid_op 0
		.amdhsa_exception_fp_denorm_src 0
		.amdhsa_exception_fp_ieee_div_zero 0
		.amdhsa_exception_fp_ieee_overflow 0
		.amdhsa_exception_fp_ieee_underflow 0
		.amdhsa_exception_fp_ieee_inexact 0
		.amdhsa_exception_int_div_zero 0
	.end_amdhsa_kernel
	.section	.text._ZN9rocsolver6v33100L18trti2_kernel_smallILi29EdPKPdEEv13rocblas_fill_17rocblas_diagonal_T1_iil,"axG",@progbits,_ZN9rocsolver6v33100L18trti2_kernel_smallILi29EdPKPdEEv13rocblas_fill_17rocblas_diagonal_T1_iil,comdat
.Lfunc_end92:
	.size	_ZN9rocsolver6v33100L18trti2_kernel_smallILi29EdPKPdEEv13rocblas_fill_17rocblas_diagonal_T1_iil, .Lfunc_end92-_ZN9rocsolver6v33100L18trti2_kernel_smallILi29EdPKPdEEv13rocblas_fill_17rocblas_diagonal_T1_iil
                                        ; -- End function
	.section	.AMDGPU.csdata,"",@progbits
; Kernel info:
; codeLenInByte = 16800
; NumSgprs: 20
; NumVgprs: 118
; NumAgprs: 0
; TotalNumVgprs: 118
; ScratchSize: 240
; MemoryBound: 0
; FloatMode: 240
; IeeeMode: 1
; LDSByteSize: 472 bytes/workgroup (compile time only)
; SGPRBlocks: 2
; VGPRBlocks: 14
; NumSGPRsForWavesPerEU: 20
; NumVGPRsForWavesPerEU: 118
; AccumOffset: 120
; Occupancy: 4
; WaveLimiterHint : 1
; COMPUTE_PGM_RSRC2:SCRATCH_EN: 1
; COMPUTE_PGM_RSRC2:USER_SGPR: 8
; COMPUTE_PGM_RSRC2:TRAP_HANDLER: 0
; COMPUTE_PGM_RSRC2:TGID_X_EN: 1
; COMPUTE_PGM_RSRC2:TGID_Y_EN: 0
; COMPUTE_PGM_RSRC2:TGID_Z_EN: 0
; COMPUTE_PGM_RSRC2:TIDIG_COMP_CNT: 0
; COMPUTE_PGM_RSRC3_GFX90A:ACCUM_OFFSET: 29
; COMPUTE_PGM_RSRC3_GFX90A:TG_SPLIT: 0
	.section	.text._ZN9rocsolver6v33100L18trti2_kernel_smallILi30EdPKPdEEv13rocblas_fill_17rocblas_diagonal_T1_iil,"axG",@progbits,_ZN9rocsolver6v33100L18trti2_kernel_smallILi30EdPKPdEEv13rocblas_fill_17rocblas_diagonal_T1_iil,comdat
	.globl	_ZN9rocsolver6v33100L18trti2_kernel_smallILi30EdPKPdEEv13rocblas_fill_17rocblas_diagonal_T1_iil ; -- Begin function _ZN9rocsolver6v33100L18trti2_kernel_smallILi30EdPKPdEEv13rocblas_fill_17rocblas_diagonal_T1_iil
	.p2align	8
	.type	_ZN9rocsolver6v33100L18trti2_kernel_smallILi30EdPKPdEEv13rocblas_fill_17rocblas_diagonal_T1_iil,@function
_ZN9rocsolver6v33100L18trti2_kernel_smallILi30EdPKPdEEv13rocblas_fill_17rocblas_diagonal_T1_iil: ; @_ZN9rocsolver6v33100L18trti2_kernel_smallILi30EdPKPdEEv13rocblas_fill_17rocblas_diagonal_T1_iil
; %bb.0:
	s_add_u32 s0, s0, s9
	s_addc_u32 s1, s1, 0
	v_cmp_gt_u32_e32 vcc, 30, v0
	s_and_saveexec_b64 s[6:7], vcc
	s_cbranch_execz .LBB93_572
; %bb.1:
	s_load_dwordx2 s[6:7], s[4:5], 0x10
	s_load_dwordx4 s[12:15], s[4:5], 0x0
	s_ashr_i32 s9, s8, 31
	s_lshl_b64 s[4:5], s[8:9], 3
	s_waitcnt lgkmcnt(0)
	s_ashr_i32 s9, s6, 31
	s_add_u32 s4, s14, s4
	s_addc_u32 s5, s15, s5
	s_load_dwordx2 s[4:5], s[4:5], 0x0
	s_mov_b32 s8, s6
	s_lshl_b64 s[8:9], s[8:9], 3
	s_waitcnt lgkmcnt(0)
	s_add_u32 s4, s4, s8
	s_addc_u32 s5, s5, s9
	s_add_i32 s6, s7, s7
	v_add_u32_e32 v4, s6, v0
	v_ashrrev_i32_e32 v5, 31, v4
	v_lshlrev_b64 v[2:3], 3, v[4:5]
	v_add_u32_e32 v6, s7, v4
	v_mov_b32_e32 v1, s5
	v_add_co_u32_e32 v2, vcc, s4, v2
	v_ashrrev_i32_e32 v7, 31, v6
	v_addc_co_u32_e32 v3, vcc, v1, v3, vcc
	v_lshlrev_b64 v[4:5], 3, v[6:7]
	v_add_u32_e32 v8, s7, v6
	v_add_co_u32_e32 v4, vcc, s4, v4
	v_ashrrev_i32_e32 v9, 31, v8
	v_addc_co_u32_e32 v5, vcc, v1, v5, vcc
	v_lshlrev_b64 v[6:7], 3, v[8:9]
	v_add_u32_e32 v10, s7, v8
	;; [unrolled: 5-line block ×22, first 2 shown]
	v_add_co_u32_e32 v46, vcc, s4, v46
	v_ashrrev_i32_e32 v51, 31, v50
	v_addc_co_u32_e32 v47, vcc, v1, v47, vcc
	v_lshlrev_b64 v[48:49], 3, v[50:51]
	v_add_co_u32_e32 v48, vcc, s4, v48
	v_addc_co_u32_e32 v49, vcc, v1, v49, vcc
	v_lshlrev_b32_e32 v1, 3, v0
	v_mov_b32_e32 v53, s5
	v_add_co_u32_e32 v52, vcc, s4, v1
	s_ashr_i32 s9, s7, 31
	s_mov_b32 s8, s7
	v_add_u32_e32 v56, s7, v50
	v_addc_co_u32_e32 v53, vcc, 0, v53, vcc
	s_lshl_b64 s[8:9], s[8:9], 3
	v_ashrrev_i32_e32 v57, 31, v56
	v_mov_b32_e32 v55, s9
	v_add_co_u32_e32 v54, vcc, s8, v52
	v_lshlrev_b64 v[50:51], 3, v[56:57]
	v_addc_co_u32_e32 v55, vcc, v53, v55, vcc
	v_add_u32_e32 v58, s7, v56
	v_mov_b32_e32 v57, s5
	v_add_co_u32_e32 v50, vcc, s4, v50
	v_ashrrev_i32_e32 v59, 31, v58
	v_addc_co_u32_e32 v51, vcc, v57, v51, vcc
	v_lshlrev_b64 v[56:57], 3, v[58:59]
	v_add_u32_e32 v60, s7, v58
	v_mov_b32_e32 v59, s5
	v_add_co_u32_e32 v56, vcc, s4, v56
	v_ashrrev_i32_e32 v61, 31, v60
	v_addc_co_u32_e32 v57, vcc, v59, v57, vcc
	v_lshlrev_b64 v[58:59], 3, v[60:61]
	v_mov_b32_e32 v61, s5
	v_add_co_u32_e32 v58, vcc, s4, v58
	global_load_dwordx2 v[62:63], v1, s[4:5]
	global_load_dwordx2 v[64:65], v[54:55], off
	global_load_dwordx2 v[66:67], v[2:3], off
	;; [unrolled: 1-line block ×20, first 2 shown]
	v_addc_co_u32_e32 v59, vcc, v61, v59, vcc
	global_load_dwordx2 v[104:105], v[40:41], off
	global_load_dwordx2 v[106:107], v[42:43], off
	global_load_dwordx2 v[108:109], v[44:45], off
	global_load_dwordx2 v[110:111], v[46:47], off
	global_load_dwordx2 v[112:113], v[48:49], off
	global_load_dwordx2 v[114:115], v[50:51], off
	global_load_dwordx2 v[116:117], v[56:57], off
	global_load_dwordx2 v[118:119], v[58:59], off
	v_add_u32_e32 v60, s7, v60
	v_ashrrev_i32_e32 v61, 31, v60
	v_lshlrev_b64 v[60:61], 3, v[60:61]
	v_mov_b32_e32 v120, s5
	v_add_co_u32_e32 v60, vcc, s4, v60
	v_addc_co_u32_e32 v61, vcc, v120, v61, vcc
	global_load_dwordx2 v[120:121], v[60:61], off
	s_waitcnt vmcnt(29)
	buffer_store_dword v63, off, s[0:3], 0 offset:4
	buffer_store_dword v62, off, s[0:3], 0
	s_waitcnt vmcnt(30)
	buffer_store_dword v65, off, s[0:3], 0 offset:12
	buffer_store_dword v64, off, s[0:3], 0 offset:8
	s_waitcnt vmcnt(31)
	buffer_store_dword v67, off, s[0:3], 0 offset:20
	buffer_store_dword v66, off, s[0:3], 0 offset:16
	s_waitcnt vmcnt(32)
	buffer_store_dword v69, off, s[0:3], 0 offset:28
	buffer_store_dword v68, off, s[0:3], 0 offset:24
	s_waitcnt vmcnt(33)
	buffer_store_dword v71, off, s[0:3], 0 offset:36
	buffer_store_dword v70, off, s[0:3], 0 offset:32
	s_waitcnt vmcnt(34)
	buffer_store_dword v73, off, s[0:3], 0 offset:44
	buffer_store_dword v72, off, s[0:3], 0 offset:40
	s_waitcnt vmcnt(35)
	buffer_store_dword v75, off, s[0:3], 0 offset:52
	buffer_store_dword v74, off, s[0:3], 0 offset:48
	s_waitcnt vmcnt(36)
	buffer_store_dword v77, off, s[0:3], 0 offset:60
	buffer_store_dword v76, off, s[0:3], 0 offset:56
	s_waitcnt vmcnt(37)
	buffer_store_dword v79, off, s[0:3], 0 offset:68
	buffer_store_dword v78, off, s[0:3], 0 offset:64
	s_waitcnt vmcnt(38)
	buffer_store_dword v80, off, s[0:3], 0 offset:72
	buffer_store_dword v81, off, s[0:3], 0 offset:76
	s_waitcnt vmcnt(39)
	buffer_store_dword v82, off, s[0:3], 0 offset:80
	buffer_store_dword v83, off, s[0:3], 0 offset:84
	s_waitcnt vmcnt(40)
	buffer_store_dword v84, off, s[0:3], 0 offset:88
	buffer_store_dword v85, off, s[0:3], 0 offset:92
	s_waitcnt vmcnt(41)
	buffer_store_dword v86, off, s[0:3], 0 offset:96
	buffer_store_dword v87, off, s[0:3], 0 offset:100
	s_waitcnt vmcnt(42)
	buffer_store_dword v88, off, s[0:3], 0 offset:104
	buffer_store_dword v89, off, s[0:3], 0 offset:108
	s_waitcnt vmcnt(43)
	buffer_store_dword v91, off, s[0:3], 0 offset:116
	buffer_store_dword v90, off, s[0:3], 0 offset:112
	s_waitcnt vmcnt(44)
	buffer_store_dword v92, off, s[0:3], 0 offset:120
	buffer_store_dword v93, off, s[0:3], 0 offset:124
	s_waitcnt vmcnt(45)
	buffer_store_dword v94, off, s[0:3], 0 offset:128
	buffer_store_dword v95, off, s[0:3], 0 offset:132
	s_waitcnt vmcnt(46)
	buffer_store_dword v96, off, s[0:3], 0 offset:136
	buffer_store_dword v97, off, s[0:3], 0 offset:140
	s_waitcnt vmcnt(47)
	buffer_store_dword v98, off, s[0:3], 0 offset:144
	buffer_store_dword v99, off, s[0:3], 0 offset:148
	s_waitcnt vmcnt(48)
	buffer_store_dword v101, off, s[0:3], 0 offset:156
	buffer_store_dword v100, off, s[0:3], 0 offset:152
	s_waitcnt vmcnt(49)
	buffer_store_dword v103, off, s[0:3], 0 offset:164
	buffer_store_dword v102, off, s[0:3], 0 offset:160
	s_waitcnt vmcnt(50)
	buffer_store_dword v104, off, s[0:3], 0 offset:168
	buffer_store_dword v105, off, s[0:3], 0 offset:172
	s_waitcnt vmcnt(51)
	buffer_store_dword v106, off, s[0:3], 0 offset:176
	buffer_store_dword v107, off, s[0:3], 0 offset:180
	s_waitcnt vmcnt(52)
	buffer_store_dword v108, off, s[0:3], 0 offset:184
	buffer_store_dword v109, off, s[0:3], 0 offset:188
	s_waitcnt vmcnt(53)
	buffer_store_dword v110, off, s[0:3], 0 offset:192
	buffer_store_dword v111, off, s[0:3], 0 offset:196
	s_waitcnt vmcnt(54)
	buffer_store_dword v113, off, s[0:3], 0 offset:204
	buffer_store_dword v112, off, s[0:3], 0 offset:200
	s_waitcnt vmcnt(55)
	buffer_store_dword v115, off, s[0:3], 0 offset:212
	buffer_store_dword v114, off, s[0:3], 0 offset:208
	s_waitcnt vmcnt(56)
	buffer_store_dword v116, off, s[0:3], 0 offset:216
	buffer_store_dword v117, off, s[0:3], 0 offset:220
	s_waitcnt vmcnt(57)
	buffer_store_dword v118, off, s[0:3], 0 offset:224
	buffer_store_dword v119, off, s[0:3], 0 offset:228
	s_waitcnt vmcnt(58)
	buffer_store_dword v120, off, s[0:3], 0 offset:232
	buffer_store_dword v121, off, s[0:3], 0 offset:236
	s_cmpk_lg_i32 s13, 0x84
	v_mov_b32_e32 v62, 0
	s_cselect_b64 s[8:9], -1, 0
	s_cmpk_eq_i32 s13, 0x84
	v_mov_b32_e32 v92, 0
	v_mov_b32_e32 v63, 0xbff00000
	s_cbranch_scc1 .LBB93_3
; %bb.2:
	v_lshl_add_u32 v72, v0, 3, v92
	buffer_load_dword v62, v72, s[0:3], 0 offen
	buffer_load_dword v63, v72, s[0:3], 0 offen offset:4
	s_waitcnt vmcnt(0)
	v_div_scale_f64 v[64:65], s[4:5], v[62:63], v[62:63], 1.0
	v_rcp_f64_e32 v[66:67], v[64:65]
	v_div_scale_f64 v[68:69], vcc, 1.0, v[62:63], 1.0
	v_fma_f64 v[70:71], -v[64:65], v[66:67], 1.0
	v_fmac_f64_e32 v[66:67], v[66:67], v[70:71]
	v_fma_f64 v[70:71], -v[64:65], v[66:67], 1.0
	v_fmac_f64_e32 v[66:67], v[66:67], v[70:71]
	v_mul_f64 v[70:71], v[68:69], v[66:67]
	v_fma_f64 v[64:65], -v[64:65], v[70:71], v[68:69]
	v_div_fmas_f64 v[64:65], v[64:65], v[66:67], v[70:71]
	v_div_fixup_f64 v[62:63], v[64:65], v[62:63], 1.0
	buffer_store_dword v62, v72, s[0:3], 0 offen
	buffer_store_dword v63, v72, s[0:3], 0 offen offset:4
	v_xor_b32_e32 v63, 0x80000000, v63
.LBB93_3:
	s_cmpk_eq_i32 s12, 0x79
	v_add_u32_e32 v64, 0xf0, v1
	v_add_u32_e32 v65, 0, v1
	s_mov_b64 s[4:5], -1
	ds_write_b64 v1, v[62:63]
	s_cbranch_scc1 .LBB93_287
; %bb.4:
	buffer_load_dword v62, off, s[0:3], 0 offset:224
	buffer_load_dword v63, off, s[0:3], 0 offset:228
	v_cmp_eq_u32_e64 s[4:5], 29, v0
	s_waitcnt vmcnt(0)
	ds_write_b64 v64, v[62:63]
	s_waitcnt lgkmcnt(0)
	; wave barrier
	s_waitcnt lgkmcnt(0)
	s_and_saveexec_b64 s[6:7], s[4:5]
	s_cbranch_execz .LBB93_10
; %bb.5:
	s_and_b64 vcc, exec, s[8:9]
	s_cbranch_vccz .LBB93_7
; %bb.6:
	buffer_load_dword v62, v65, s[0:3], 0 offen
	buffer_load_dword v63, v65, s[0:3], 0 offen offset:4
	ds_read_b64 v[66:67], v64
	s_waitcnt vmcnt(0) lgkmcnt(0)
	v_mul_f64 v[62:63], v[62:63], v[66:67]
	s_cbranch_execz .LBB93_8
	s_branch .LBB93_9
.LBB93_7:
                                        ; implicit-def: $vgpr62_vgpr63
.LBB93_8:
	ds_read_b64 v[62:63], v64
.LBB93_9:
	v_mov_b32_e32 v66, 0
	ds_read_b64 v[66:67], v66 offset:224
	s_waitcnt lgkmcnt(0)
	v_mul_f64 v[62:63], v[62:63], v[66:67]
	buffer_store_dword v63, off, s[0:3], 0 offset:228
	buffer_store_dword v62, off, s[0:3], 0 offset:224
.LBB93_10:
	s_or_b64 exec, exec, s[6:7]
	buffer_load_dword v62, off, s[0:3], 0 offset:216
	buffer_load_dword v63, off, s[0:3], 0 offset:220
	v_or_b32_e32 v66, 8, v92
	v_add_u32_e32 v67, 16, v92
	v_add_u32_e32 v68, 24, v92
	v_add_u32_e32 v69, 32, v92
	v_add_u32_e32 v70, 40, v92
	v_add_u32_e32 v71, 48, v92
	v_add_u32_e32 v72, 56, v92
	v_add_u32_e32 v73, 64, v92
	v_add_u32_e32 v74, 0x48, v92
	v_add_u32_e32 v75, 0x50, v92
	v_add_u32_e32 v76, 0x58, v92
	v_add_u32_e32 v77, 0x60, v92
	v_add_u32_e32 v78, 0x68, v92
	v_add_u32_e32 v79, 0x70, v92
	v_add_u32_e32 v80, 0x78, v92
	v_add_u32_e32 v81, 0x80, v92
	v_add_u32_e32 v82, 0x88, v92
	v_add_u32_e32 v83, 0x90, v92
	v_add_u32_e32 v84, 0x98, v92
	v_add_u32_e32 v85, 0xa0, v92
	v_add_u32_e32 v86, 0xa8, v92
	v_add_u32_e32 v87, 0xb0, v92
	v_add_u32_e32 v88, 0xb8, v92
	v_add_u32_e32 v89, 0xc0, v92
	v_add_u32_e32 v90, 0xc8, v92
	v_add_u32_e32 v91, 0xd0, v92
	v_add_u32_e32 v92, 0xd8, v92
	v_cmp_lt_u32_e64 s[6:7], 27, v0
	s_waitcnt vmcnt(0)
	ds_write_b64 v64, v[62:63]
	s_waitcnt lgkmcnt(0)
	; wave barrier
	s_waitcnt lgkmcnt(0)
	s_and_saveexec_b64 s[10:11], s[6:7]
	s_cbranch_execz .LBB93_16
; %bb.11:
	s_andn2_b64 vcc, exec, s[8:9]
	s_cbranch_vccnz .LBB93_13
; %bb.12:
	buffer_load_dword v62, v65, s[0:3], 0 offen
	buffer_load_dword v63, v65, s[0:3], 0 offen offset:4
	ds_read_b64 v[94:95], v64
	s_waitcnt vmcnt(0) lgkmcnt(0)
	v_mul_f64 v[62:63], v[62:63], v[94:95]
	s_cbranch_execz .LBB93_14
	s_branch .LBB93_15
.LBB93_13:
                                        ; implicit-def: $vgpr62_vgpr63
.LBB93_14:
	ds_read_b64 v[62:63], v64
.LBB93_15:
	buffer_load_dword v98, off, s[0:3], 0 offset:224
	buffer_load_dword v99, off, s[0:3], 0 offset:228
	v_mov_b32_e32 v93, 0
	ds_read2_b64 v[94:97], v93 offset0:27 offset1:58
	s_waitcnt vmcnt(0) lgkmcnt(0)
	v_fma_f64 v[96:97], v[98:99], v[96:97], v[62:63]
	v_cndmask_b32_e64 v63, v63, v97, s[4:5]
	v_cndmask_b32_e64 v62, v62, v96, s[4:5]
	v_mul_f64 v[62:63], v[62:63], v[94:95]
	buffer_store_dword v63, off, s[0:3], 0 offset:220
	buffer_store_dword v62, off, s[0:3], 0 offset:216
.LBB93_16:
	s_or_b64 exec, exec, s[10:11]
	buffer_load_dword v62, off, s[0:3], 0 offset:208
	buffer_load_dword v63, off, s[0:3], 0 offset:212
	v_cmp_lt_u32_e64 s[4:5], 26, v0
	s_waitcnt vmcnt(0)
	ds_write_b64 v64, v[62:63]
	s_waitcnt lgkmcnt(0)
	; wave barrier
	s_waitcnt lgkmcnt(0)
	s_and_saveexec_b64 s[10:11], s[4:5]
	s_cbranch_execz .LBB93_26
; %bb.17:
	s_andn2_b64 vcc, exec, s[8:9]
	s_cbranch_vccnz .LBB93_19
; %bb.18:
	buffer_load_dword v62, v65, s[0:3], 0 offen
	buffer_load_dword v63, v65, s[0:3], 0 offen offset:4
	ds_read_b64 v[94:95], v64
	s_waitcnt vmcnt(0) lgkmcnt(0)
	v_mul_f64 v[62:63], v[62:63], v[94:95]
	s_cbranch_execz .LBB93_20
	s_branch .LBB93_21
.LBB93_19:
                                        ; implicit-def: $vgpr62_vgpr63
.LBB93_20:
	ds_read_b64 v[62:63], v64
.LBB93_21:
	s_and_saveexec_b64 s[12:13], s[6:7]
	s_cbranch_execz .LBB93_25
; %bb.22:
	v_subrev_u32_e32 v93, 27, v0
	s_movk_i32 s14, 0x1c8
	s_mov_b64 s[6:7], 0
.LBB93_23:                              ; =>This Inner Loop Header: Depth=1
	buffer_load_dword v94, v92, s[0:3], 0 offen
	buffer_load_dword v95, v92, s[0:3], 0 offen offset:4
	v_mov_b32_e32 v96, s14
	ds_read_b64 v[96:97], v96
	v_add_u32_e32 v93, -1, v93
	s_add_i32 s14, s14, 8
	v_cmp_eq_u32_e32 vcc, 0, v93
	v_add_u32_e32 v92, 8, v92
	s_or_b64 s[6:7], vcc, s[6:7]
	s_waitcnt vmcnt(0) lgkmcnt(0)
	v_fmac_f64_e32 v[62:63], v[94:95], v[96:97]
	s_andn2_b64 exec, exec, s[6:7]
	s_cbranch_execnz .LBB93_23
; %bb.24:
	s_or_b64 exec, exec, s[6:7]
.LBB93_25:
	s_or_b64 exec, exec, s[12:13]
	v_mov_b32_e32 v92, 0
	ds_read_b64 v[92:93], v92 offset:208
	s_waitcnt lgkmcnt(0)
	v_mul_f64 v[62:63], v[62:63], v[92:93]
	buffer_store_dword v63, off, s[0:3], 0 offset:212
	buffer_store_dword v62, off, s[0:3], 0 offset:208
.LBB93_26:
	s_or_b64 exec, exec, s[10:11]
	buffer_load_dword v62, off, s[0:3], 0 offset:200
	buffer_load_dword v63, off, s[0:3], 0 offset:204
	v_cmp_lt_u32_e64 s[6:7], 25, v0
	s_waitcnt vmcnt(0)
	ds_write_b64 v64, v[62:63]
	s_waitcnt lgkmcnt(0)
	; wave barrier
	s_waitcnt lgkmcnt(0)
	s_and_saveexec_b64 s[10:11], s[6:7]
	s_cbranch_execz .LBB93_36
; %bb.27:
	s_andn2_b64 vcc, exec, s[8:9]
	s_cbranch_vccnz .LBB93_29
; %bb.28:
	buffer_load_dword v62, v65, s[0:3], 0 offen
	buffer_load_dword v63, v65, s[0:3], 0 offen offset:4
	ds_read_b64 v[92:93], v64
	s_waitcnt vmcnt(0) lgkmcnt(0)
	v_mul_f64 v[62:63], v[62:63], v[92:93]
	s_cbranch_execz .LBB93_30
	s_branch .LBB93_31
.LBB93_29:
                                        ; implicit-def: $vgpr62_vgpr63
.LBB93_30:
	ds_read_b64 v[62:63], v64
.LBB93_31:
	s_and_saveexec_b64 s[12:13], s[4:5]
	s_cbranch_execz .LBB93_35
; %bb.32:
	v_subrev_u32_e32 v92, 26, v0
	s_movk_i32 s14, 0x1c0
	s_mov_b64 s[4:5], 0
.LBB93_33:                              ; =>This Inner Loop Header: Depth=1
	buffer_load_dword v94, v91, s[0:3], 0 offen
	buffer_load_dword v95, v91, s[0:3], 0 offen offset:4
	v_mov_b32_e32 v93, s14
	ds_read_b64 v[96:97], v93
	v_add_u32_e32 v92, -1, v92
	s_add_i32 s14, s14, 8
	v_cmp_eq_u32_e32 vcc, 0, v92
	v_add_u32_e32 v91, 8, v91
	s_or_b64 s[4:5], vcc, s[4:5]
	s_waitcnt vmcnt(0) lgkmcnt(0)
	v_fmac_f64_e32 v[62:63], v[94:95], v[96:97]
	s_andn2_b64 exec, exec, s[4:5]
	s_cbranch_execnz .LBB93_33
; %bb.34:
	s_or_b64 exec, exec, s[4:5]
.LBB93_35:
	s_or_b64 exec, exec, s[12:13]
	v_mov_b32_e32 v91, 0
	ds_read_b64 v[92:93], v91 offset:200
	s_waitcnt lgkmcnt(0)
	v_mul_f64 v[62:63], v[62:63], v[92:93]
	buffer_store_dword v63, off, s[0:3], 0 offset:204
	buffer_store_dword v62, off, s[0:3], 0 offset:200
.LBB93_36:
	;; [unrolled: 58-line block ×8, first 2 shown]
	s_or_b64 exec, exec, s[10:11]
	buffer_load_dword v62, off, s[0:3], 0 offset:144
	buffer_load_dword v63, off, s[0:3], 0 offset:148
	v_cmp_lt_u32_e64 s[4:5], 18, v0
	s_waitcnt vmcnt(0)
	ds_write_b64 v64, v[62:63]
	s_waitcnt lgkmcnt(0)
	; wave barrier
	s_waitcnt lgkmcnt(0)
	s_and_saveexec_b64 s[10:11], s[4:5]
	s_cbranch_execz .LBB93_106
; %bb.97:
	s_andn2_b64 vcc, exec, s[8:9]
	s_cbranch_vccnz .LBB93_99
; %bb.98:
	buffer_load_dword v62, v65, s[0:3], 0 offen
	buffer_load_dword v63, v65, s[0:3], 0 offen offset:4
	ds_read_b64 v[86:87], v64
	s_waitcnt vmcnt(0) lgkmcnt(0)
	v_mul_f64 v[62:63], v[62:63], v[86:87]
	s_cbranch_execz .LBB93_100
	s_branch .LBB93_101
.LBB93_99:
                                        ; implicit-def: $vgpr62_vgpr63
.LBB93_100:
	ds_read_b64 v[62:63], v64
.LBB93_101:
	s_and_saveexec_b64 s[12:13], s[6:7]
	s_cbranch_execz .LBB93_105
; %bb.102:
	v_subrev_u32_e32 v85, 19, v0
	s_movk_i32 s14, 0x188
	s_mov_b64 s[6:7], 0
.LBB93_103:                             ; =>This Inner Loop Header: Depth=1
	buffer_load_dword v86, v84, s[0:3], 0 offen
	buffer_load_dword v87, v84, s[0:3], 0 offen offset:4
	v_mov_b32_e32 v88, s14
	ds_read_b64 v[88:89], v88
	v_add_u32_e32 v85, -1, v85
	s_add_i32 s14, s14, 8
	v_cmp_eq_u32_e32 vcc, 0, v85
	v_add_u32_e32 v84, 8, v84
	s_or_b64 s[6:7], vcc, s[6:7]
	s_waitcnt vmcnt(0) lgkmcnt(0)
	v_fmac_f64_e32 v[62:63], v[86:87], v[88:89]
	s_andn2_b64 exec, exec, s[6:7]
	s_cbranch_execnz .LBB93_103
; %bb.104:
	s_or_b64 exec, exec, s[6:7]
.LBB93_105:
	s_or_b64 exec, exec, s[12:13]
	v_mov_b32_e32 v84, 0
	ds_read_b64 v[84:85], v84 offset:144
	s_waitcnt lgkmcnt(0)
	v_mul_f64 v[62:63], v[62:63], v[84:85]
	buffer_store_dword v63, off, s[0:3], 0 offset:148
	buffer_store_dword v62, off, s[0:3], 0 offset:144
.LBB93_106:
	s_or_b64 exec, exec, s[10:11]
	buffer_load_dword v62, off, s[0:3], 0 offset:136
	buffer_load_dword v63, off, s[0:3], 0 offset:140
	v_cmp_lt_u32_e64 s[6:7], 17, v0
	s_waitcnt vmcnt(0)
	ds_write_b64 v64, v[62:63]
	s_waitcnt lgkmcnt(0)
	; wave barrier
	s_waitcnt lgkmcnt(0)
	s_and_saveexec_b64 s[10:11], s[6:7]
	s_cbranch_execz .LBB93_116
; %bb.107:
	s_andn2_b64 vcc, exec, s[8:9]
	s_cbranch_vccnz .LBB93_109
; %bb.108:
	buffer_load_dword v62, v65, s[0:3], 0 offen
	buffer_load_dword v63, v65, s[0:3], 0 offen offset:4
	ds_read_b64 v[84:85], v64
	s_waitcnt vmcnt(0) lgkmcnt(0)
	v_mul_f64 v[62:63], v[62:63], v[84:85]
	s_cbranch_execz .LBB93_110
	s_branch .LBB93_111
.LBB93_109:
                                        ; implicit-def: $vgpr62_vgpr63
.LBB93_110:
	ds_read_b64 v[62:63], v64
.LBB93_111:
	s_and_saveexec_b64 s[12:13], s[4:5]
	s_cbranch_execz .LBB93_115
; %bb.112:
	v_subrev_u32_e32 v84, 18, v0
	s_movk_i32 s14, 0x180
	s_mov_b64 s[4:5], 0
.LBB93_113:                             ; =>This Inner Loop Header: Depth=1
	buffer_load_dword v86, v83, s[0:3], 0 offen
	buffer_load_dword v87, v83, s[0:3], 0 offen offset:4
	v_mov_b32_e32 v85, s14
	ds_read_b64 v[88:89], v85
	v_add_u32_e32 v84, -1, v84
	s_add_i32 s14, s14, 8
	v_cmp_eq_u32_e32 vcc, 0, v84
	v_add_u32_e32 v83, 8, v83
	s_or_b64 s[4:5], vcc, s[4:5]
	s_waitcnt vmcnt(0) lgkmcnt(0)
	v_fmac_f64_e32 v[62:63], v[86:87], v[88:89]
	s_andn2_b64 exec, exec, s[4:5]
	s_cbranch_execnz .LBB93_113
; %bb.114:
	s_or_b64 exec, exec, s[4:5]
.LBB93_115:
	s_or_b64 exec, exec, s[12:13]
	v_mov_b32_e32 v83, 0
	ds_read_b64 v[84:85], v83 offset:136
	s_waitcnt lgkmcnt(0)
	v_mul_f64 v[62:63], v[62:63], v[84:85]
	buffer_store_dword v63, off, s[0:3], 0 offset:140
	buffer_store_dword v62, off, s[0:3], 0 offset:136
.LBB93_116:
	;; [unrolled: 58-line block ×3, first 2 shown]
	s_or_b64 exec, exec, s[10:11]
	buffer_load_dword v62, off, s[0:3], 0 offset:120
	buffer_load_dword v63, off, s[0:3], 0 offset:124
	v_cmp_lt_u32_e64 s[6:7], 15, v0
	s_waitcnt vmcnt(0)
	ds_write_b64 v64, v[62:63]
	s_waitcnt lgkmcnt(0)
	; wave barrier
	s_waitcnt lgkmcnt(0)
	s_and_saveexec_b64 s[10:11], s[6:7]
	s_cbranch_execz .LBB93_136
; %bb.127:
	s_andn2_b64 vcc, exec, s[8:9]
	s_cbranch_vccnz .LBB93_129
; %bb.128:
	buffer_load_dword v62, v65, s[0:3], 0 offen
	buffer_load_dword v63, v65, s[0:3], 0 offen offset:4
	ds_read_b64 v[82:83], v64
	s_waitcnt vmcnt(0) lgkmcnt(0)
	v_mul_f64 v[62:63], v[62:63], v[82:83]
	s_cbranch_execz .LBB93_130
	s_branch .LBB93_131
.LBB93_129:
                                        ; implicit-def: $vgpr62_vgpr63
.LBB93_130:
	ds_read_b64 v[62:63], v64
.LBB93_131:
	s_and_saveexec_b64 s[12:13], s[4:5]
	s_cbranch_execz .LBB93_135
; %bb.132:
	v_add_u32_e32 v82, -16, v0
	s_movk_i32 s14, 0x170
	s_mov_b64 s[4:5], 0
.LBB93_133:                             ; =>This Inner Loop Header: Depth=1
	buffer_load_dword v84, v81, s[0:3], 0 offen
	buffer_load_dword v85, v81, s[0:3], 0 offen offset:4
	v_mov_b32_e32 v83, s14
	ds_read_b64 v[86:87], v83
	v_add_u32_e32 v82, -1, v82
	s_add_i32 s14, s14, 8
	v_cmp_eq_u32_e32 vcc, 0, v82
	v_add_u32_e32 v81, 8, v81
	s_or_b64 s[4:5], vcc, s[4:5]
	s_waitcnt vmcnt(0) lgkmcnt(0)
	v_fmac_f64_e32 v[62:63], v[84:85], v[86:87]
	s_andn2_b64 exec, exec, s[4:5]
	s_cbranch_execnz .LBB93_133
; %bb.134:
	s_or_b64 exec, exec, s[4:5]
.LBB93_135:
	s_or_b64 exec, exec, s[12:13]
	v_mov_b32_e32 v81, 0
	ds_read_b64 v[82:83], v81 offset:120
	s_waitcnt lgkmcnt(0)
	v_mul_f64 v[62:63], v[62:63], v[82:83]
	buffer_store_dword v63, off, s[0:3], 0 offset:124
	buffer_store_dword v62, off, s[0:3], 0 offset:120
.LBB93_136:
	s_or_b64 exec, exec, s[10:11]
	buffer_load_dword v62, off, s[0:3], 0 offset:112
	buffer_load_dword v63, off, s[0:3], 0 offset:116
	v_cmp_lt_u32_e64 s[4:5], 14, v0
	s_waitcnt vmcnt(0)
	ds_write_b64 v64, v[62:63]
	s_waitcnt lgkmcnt(0)
	; wave barrier
	s_waitcnt lgkmcnt(0)
	s_and_saveexec_b64 s[10:11], s[4:5]
	s_cbranch_execz .LBB93_146
; %bb.137:
	s_andn2_b64 vcc, exec, s[8:9]
	s_cbranch_vccnz .LBB93_139
; %bb.138:
	buffer_load_dword v62, v65, s[0:3], 0 offen
	buffer_load_dword v63, v65, s[0:3], 0 offen offset:4
	ds_read_b64 v[82:83], v64
	s_waitcnt vmcnt(0) lgkmcnt(0)
	v_mul_f64 v[62:63], v[62:63], v[82:83]
	s_cbranch_execz .LBB93_140
	s_branch .LBB93_141
.LBB93_139:
                                        ; implicit-def: $vgpr62_vgpr63
.LBB93_140:
	ds_read_b64 v[62:63], v64
.LBB93_141:
	s_and_saveexec_b64 s[12:13], s[6:7]
	s_cbranch_execz .LBB93_145
; %bb.142:
	v_add_u32_e32 v81, -15, v0
	s_movk_i32 s14, 0x168
	s_mov_b64 s[6:7], 0
.LBB93_143:                             ; =>This Inner Loop Header: Depth=1
	buffer_load_dword v82, v80, s[0:3], 0 offen
	buffer_load_dword v83, v80, s[0:3], 0 offen offset:4
	v_mov_b32_e32 v84, s14
	ds_read_b64 v[84:85], v84
	v_add_u32_e32 v81, -1, v81
	s_add_i32 s14, s14, 8
	v_cmp_eq_u32_e32 vcc, 0, v81
	v_add_u32_e32 v80, 8, v80
	s_or_b64 s[6:7], vcc, s[6:7]
	s_waitcnt vmcnt(0) lgkmcnt(0)
	v_fmac_f64_e32 v[62:63], v[82:83], v[84:85]
	s_andn2_b64 exec, exec, s[6:7]
	s_cbranch_execnz .LBB93_143
; %bb.144:
	s_or_b64 exec, exec, s[6:7]
.LBB93_145:
	s_or_b64 exec, exec, s[12:13]
	v_mov_b32_e32 v80, 0
	ds_read_b64 v[80:81], v80 offset:112
	s_waitcnt lgkmcnt(0)
	v_mul_f64 v[62:63], v[62:63], v[80:81]
	buffer_store_dword v63, off, s[0:3], 0 offset:116
	buffer_store_dword v62, off, s[0:3], 0 offset:112
.LBB93_146:
	;; [unrolled: 58-line block ×15, first 2 shown]
	s_or_b64 exec, exec, s[10:11]
	buffer_load_dword v62, off, s[0:3], 0
	buffer_load_dword v63, off, s[0:3], 0 offset:4
	v_cmp_ne_u32_e32 vcc, 0, v0
	s_waitcnt vmcnt(0)
	ds_write_b64 v64, v[62:63]
	s_waitcnt lgkmcnt(0)
	; wave barrier
	s_waitcnt lgkmcnt(0)
	s_and_saveexec_b64 s[4:5], vcc
	s_cbranch_execz .LBB93_286
; %bb.277:
	s_andn2_b64 vcc, exec, s[8:9]
	s_cbranch_vccnz .LBB93_279
; %bb.278:
	buffer_load_dword v62, v65, s[0:3], 0 offen
	buffer_load_dword v63, v65, s[0:3], 0 offen offset:4
	ds_read_b64 v[68:69], v64
	s_waitcnt vmcnt(0) lgkmcnt(0)
	v_mul_f64 v[62:63], v[62:63], v[68:69]
	s_cbranch_execz .LBB93_280
	s_branch .LBB93_281
.LBB93_279:
                                        ; implicit-def: $vgpr62_vgpr63
.LBB93_280:
	ds_read_b64 v[62:63], v64
.LBB93_281:
	s_and_saveexec_b64 s[10:11], s[6:7]
	s_cbranch_execz .LBB93_285
; %bb.282:
	v_add_u32_e32 v67, -1, v0
	s_movk_i32 s12, 0xf8
	s_mov_b64 s[6:7], 0
.LBB93_283:                             ; =>This Inner Loop Header: Depth=1
	buffer_load_dword v68, v66, s[0:3], 0 offen
	buffer_load_dword v69, v66, s[0:3], 0 offen offset:4
	v_mov_b32_e32 v70, s12
	ds_read_b64 v[70:71], v70
	v_add_u32_e32 v67, -1, v67
	s_add_i32 s12, s12, 8
	v_cmp_eq_u32_e32 vcc, 0, v67
	v_add_u32_e32 v66, 8, v66
	s_or_b64 s[6:7], vcc, s[6:7]
	s_waitcnt vmcnt(0) lgkmcnt(0)
	v_fmac_f64_e32 v[62:63], v[68:69], v[70:71]
	s_andn2_b64 exec, exec, s[6:7]
	s_cbranch_execnz .LBB93_283
; %bb.284:
	s_or_b64 exec, exec, s[6:7]
.LBB93_285:
	s_or_b64 exec, exec, s[10:11]
	v_mov_b32_e32 v66, 0
	ds_read_b64 v[66:67], v66
	s_waitcnt lgkmcnt(0)
	v_mul_f64 v[62:63], v[62:63], v[66:67]
	buffer_store_dword v63, off, s[0:3], 0 offset:4
	buffer_store_dword v62, off, s[0:3], 0
.LBB93_286:
	s_or_b64 exec, exec, s[4:5]
	s_mov_b64 s[4:5], 0
.LBB93_287:
	s_and_b64 vcc, exec, s[4:5]
	s_cbranch_vccz .LBB93_571
; %bb.288:
	buffer_load_dword v62, off, s[0:3], 0 offset:8
	buffer_load_dword v63, off, s[0:3], 0 offset:12
	v_cmp_eq_u32_e64 s[6:7], 0, v0
	s_waitcnt vmcnt(0)
	ds_write_b64 v64, v[62:63]
	s_waitcnt lgkmcnt(0)
	; wave barrier
	s_waitcnt lgkmcnt(0)
	s_and_saveexec_b64 s[4:5], s[6:7]
	s_cbranch_execz .LBB93_294
; %bb.289:
	s_and_b64 vcc, exec, s[8:9]
	s_cbranch_vccz .LBB93_291
; %bb.290:
	buffer_load_dword v62, v65, s[0:3], 0 offen
	buffer_load_dword v63, v65, s[0:3], 0 offen offset:4
	ds_read_b64 v[66:67], v64
	s_waitcnt vmcnt(0) lgkmcnt(0)
	v_mul_f64 v[62:63], v[62:63], v[66:67]
	s_cbranch_execz .LBB93_292
	s_branch .LBB93_293
.LBB93_291:
                                        ; implicit-def: $vgpr62_vgpr63
.LBB93_292:
	ds_read_b64 v[62:63], v64
.LBB93_293:
	v_mov_b32_e32 v66, 0
	ds_read_b64 v[66:67], v66 offset:8
	s_waitcnt lgkmcnt(0)
	v_mul_f64 v[62:63], v[62:63], v[66:67]
	buffer_store_dword v63, off, s[0:3], 0 offset:12
	buffer_store_dword v62, off, s[0:3], 0 offset:8
.LBB93_294:
	s_or_b64 exec, exec, s[4:5]
	buffer_load_dword v62, off, s[0:3], 0 offset:16
	buffer_load_dword v63, off, s[0:3], 0 offset:20
	v_cndmask_b32_e64 v66, 0, 1, s[8:9]
	v_cmp_gt_u32_e32 vcc, 2, v0
	v_cmp_ne_u32_e64 s[4:5], 1, v66
	s_waitcnt vmcnt(0)
	ds_write_b64 v64, v[62:63]
	s_waitcnt lgkmcnt(0)
	; wave barrier
	s_waitcnt lgkmcnt(0)
	s_and_saveexec_b64 s[8:9], vcc
	s_cbranch_execz .LBB93_302
; %bb.295:
	s_and_b64 vcc, exec, s[4:5]
	s_cbranch_vccnz .LBB93_297
; %bb.296:
	buffer_load_dword v62, v65, s[0:3], 0 offen
	buffer_load_dword v63, v65, s[0:3], 0 offen offset:4
	ds_read_b64 v[66:67], v64
	s_waitcnt vmcnt(0) lgkmcnt(0)
	v_mul_f64 v[62:63], v[62:63], v[66:67]
	s_cbranch_execz .LBB93_298
	s_branch .LBB93_299
.LBB93_297:
                                        ; implicit-def: $vgpr62_vgpr63
.LBB93_298:
	ds_read_b64 v[62:63], v64
.LBB93_299:
	s_and_saveexec_b64 s[10:11], s[6:7]
	s_cbranch_execz .LBB93_301
; %bb.300:
	buffer_load_dword v66, v65, s[0:3], 0 offen offset:8
	buffer_load_dword v67, v65, s[0:3], 0 offen offset:12
	ds_read_b64 v[68:69], v64 offset:8
	s_waitcnt vmcnt(0) lgkmcnt(0)
	v_fmac_f64_e32 v[62:63], v[66:67], v[68:69]
.LBB93_301:
	s_or_b64 exec, exec, s[10:11]
	v_mov_b32_e32 v66, 0
	ds_read_b64 v[66:67], v66 offset:16
	s_waitcnt lgkmcnt(0)
	v_mul_f64 v[62:63], v[62:63], v[66:67]
	buffer_store_dword v63, off, s[0:3], 0 offset:20
	buffer_store_dword v62, off, s[0:3], 0 offset:16
.LBB93_302:
	s_or_b64 exec, exec, s[8:9]
	buffer_load_dword v62, off, s[0:3], 0 offset:24
	buffer_load_dword v63, off, s[0:3], 0 offset:28
	v_cmp_gt_u32_e32 vcc, 3, v0
	s_waitcnt vmcnt(0)
	ds_write_b64 v64, v[62:63]
	s_waitcnt lgkmcnt(0)
	; wave barrier
	s_waitcnt lgkmcnt(0)
	s_and_saveexec_b64 s[8:9], vcc
	s_cbranch_execz .LBB93_310
; %bb.303:
	s_and_b64 vcc, exec, s[4:5]
	s_cbranch_vccnz .LBB93_305
; %bb.304:
	buffer_load_dword v62, v65, s[0:3], 0 offen
	buffer_load_dword v63, v65, s[0:3], 0 offen offset:4
	ds_read_b64 v[66:67], v64
	s_waitcnt vmcnt(0) lgkmcnt(0)
	v_mul_f64 v[62:63], v[62:63], v[66:67]
	s_cbranch_execz .LBB93_306
	s_branch .LBB93_307
.LBB93_305:
                                        ; implicit-def: $vgpr62_vgpr63
.LBB93_306:
	ds_read_b64 v[62:63], v64
.LBB93_307:
	v_cmp_ne_u32_e32 vcc, 2, v0
	s_and_saveexec_b64 s[10:11], vcc
	s_cbranch_execz .LBB93_309
; %bb.308:
	buffer_load_dword v67, v65, s[0:3], 0 offen offset:12
	buffer_load_dword v68, off, s[0:3], 0 offset:16
	buffer_load_dword v66, v65, s[0:3], 0 offen offset:8
	buffer_load_dword v69, off, s[0:3], 0 offset:20
	v_mov_b32_e32 v72, 0
	ds_read_b64 v[70:71], v64 offset:8
	ds_read_b64 v[72:73], v72 offset:256
	s_waitcnt vmcnt(1) lgkmcnt(1)
	v_fmac_f64_e32 v[62:63], v[66:67], v[70:71]
	s_waitcnt vmcnt(0) lgkmcnt(0)
	v_fma_f64 v[66:67], v[68:69], v[72:73], v[62:63]
	v_cndmask_b32_e64 v63, v63, v67, s[6:7]
	v_cndmask_b32_e64 v62, v62, v66, s[6:7]
.LBB93_309:
	s_or_b64 exec, exec, s[10:11]
	v_mov_b32_e32 v66, 0
	ds_read_b64 v[66:67], v66 offset:24
	s_waitcnt lgkmcnt(0)
	v_mul_f64 v[62:63], v[62:63], v[66:67]
	buffer_store_dword v63, off, s[0:3], 0 offset:28
	buffer_store_dword v62, off, s[0:3], 0 offset:24
.LBB93_310:
	s_or_b64 exec, exec, s[8:9]
	buffer_load_dword v62, off, s[0:3], 0 offset:32
	buffer_load_dword v63, off, s[0:3], 0 offset:36
	v_cmp_gt_u32_e32 vcc, 4, v0
	s_waitcnt vmcnt(0)
	ds_write_b64 v64, v[62:63]
	s_waitcnt lgkmcnt(0)
	; wave barrier
	s_waitcnt lgkmcnt(0)
	s_and_saveexec_b64 s[6:7], vcc
	s_cbranch_execz .LBB93_320
; %bb.311:
	s_and_b64 vcc, exec, s[4:5]
	s_cbranch_vccnz .LBB93_313
; %bb.312:
	buffer_load_dword v62, v65, s[0:3], 0 offen
	buffer_load_dword v63, v65, s[0:3], 0 offen offset:4
	ds_read_b64 v[66:67], v64
	s_waitcnt vmcnt(0) lgkmcnt(0)
	v_mul_f64 v[62:63], v[62:63], v[66:67]
	s_cbranch_execz .LBB93_314
	s_branch .LBB93_315
.LBB93_313:
                                        ; implicit-def: $vgpr62_vgpr63
.LBB93_314:
	ds_read_b64 v[62:63], v64
.LBB93_315:
	v_cmp_ne_u32_e32 vcc, 3, v0
	s_and_saveexec_b64 s[8:9], vcc
	s_cbranch_execz .LBB93_319
; %bb.316:
	v_mov_b32_e32 v67, 0
	v_add_u32_e32 v66, 0xf8, v1
	v_add3_u32 v67, v1, v67, 8
	s_mov_b64 s[10:11], 0
	v_mov_b32_e32 v68, v0
.LBB93_317:                             ; =>This Inner Loop Header: Depth=1
	buffer_load_dword v70, v67, s[0:3], 0 offen
	buffer_load_dword v71, v67, s[0:3], 0 offen offset:4
	ds_read_b64 v[72:73], v66
	v_add_u32_e32 v68, 1, v68
	v_cmp_lt_u32_e32 vcc, 2, v68
	v_add_u32_e32 v66, 8, v66
	v_add_u32_e32 v67, 8, v67
	s_or_b64 s[10:11], vcc, s[10:11]
	s_waitcnt vmcnt(0) lgkmcnt(0)
	v_fmac_f64_e32 v[62:63], v[70:71], v[72:73]
	s_andn2_b64 exec, exec, s[10:11]
	s_cbranch_execnz .LBB93_317
; %bb.318:
	s_or_b64 exec, exec, s[10:11]
.LBB93_319:
	s_or_b64 exec, exec, s[8:9]
	v_mov_b32_e32 v66, 0
	ds_read_b64 v[66:67], v66 offset:32
	s_waitcnt lgkmcnt(0)
	v_mul_f64 v[62:63], v[62:63], v[66:67]
	buffer_store_dword v63, off, s[0:3], 0 offset:36
	buffer_store_dword v62, off, s[0:3], 0 offset:32
.LBB93_320:
	s_or_b64 exec, exec, s[6:7]
	buffer_load_dword v62, off, s[0:3], 0 offset:40
	buffer_load_dword v63, off, s[0:3], 0 offset:44
	v_cmp_gt_u32_e32 vcc, 5, v0
	s_waitcnt vmcnt(0)
	ds_write_b64 v64, v[62:63]
	s_waitcnt lgkmcnt(0)
	; wave barrier
	s_waitcnt lgkmcnt(0)
	s_and_saveexec_b64 s[6:7], vcc
	s_cbranch_execz .LBB93_330
; %bb.321:
	s_and_b64 vcc, exec, s[4:5]
	s_cbranch_vccnz .LBB93_323
; %bb.322:
	buffer_load_dword v62, v65, s[0:3], 0 offen
	buffer_load_dword v63, v65, s[0:3], 0 offen offset:4
	ds_read_b64 v[66:67], v64
	s_waitcnt vmcnt(0) lgkmcnt(0)
	v_mul_f64 v[62:63], v[62:63], v[66:67]
	s_cbranch_execz .LBB93_324
	s_branch .LBB93_325
.LBB93_323:
                                        ; implicit-def: $vgpr62_vgpr63
.LBB93_324:
	ds_read_b64 v[62:63], v64
.LBB93_325:
	v_cmp_ne_u32_e32 vcc, 4, v0
	s_and_saveexec_b64 s[8:9], vcc
	s_cbranch_execz .LBB93_329
; %bb.326:
	v_mov_b32_e32 v67, 0
	v_add_u32_e32 v66, 0xf8, v1
	v_add3_u32 v67, v1, v67, 8
	s_mov_b64 s[10:11], 0
	v_mov_b32_e32 v68, v0
.LBB93_327:                             ; =>This Inner Loop Header: Depth=1
	buffer_load_dword v70, v67, s[0:3], 0 offen
	buffer_load_dword v71, v67, s[0:3], 0 offen offset:4
	ds_read_b64 v[72:73], v66
	v_add_u32_e32 v68, 1, v68
	v_cmp_lt_u32_e32 vcc, 3, v68
	v_add_u32_e32 v66, 8, v66
	v_add_u32_e32 v67, 8, v67
	s_or_b64 s[10:11], vcc, s[10:11]
	s_waitcnt vmcnt(0) lgkmcnt(0)
	v_fmac_f64_e32 v[62:63], v[70:71], v[72:73]
	s_andn2_b64 exec, exec, s[10:11]
	s_cbranch_execnz .LBB93_327
; %bb.328:
	s_or_b64 exec, exec, s[10:11]
.LBB93_329:
	s_or_b64 exec, exec, s[8:9]
	v_mov_b32_e32 v66, 0
	ds_read_b64 v[66:67], v66 offset:40
	s_waitcnt lgkmcnt(0)
	v_mul_f64 v[62:63], v[62:63], v[66:67]
	buffer_store_dword v63, off, s[0:3], 0 offset:44
	buffer_store_dword v62, off, s[0:3], 0 offset:40
.LBB93_330:
	;; [unrolled: 60-line block ×24, first 2 shown]
	s_or_b64 exec, exec, s[6:7]
	buffer_load_dword v62, off, s[0:3], 0 offset:224
	buffer_load_dword v63, off, s[0:3], 0 offset:228
	v_cmp_gt_u32_e64 s[6:7], 28, v0
	s_waitcnt vmcnt(0)
	ds_write_b64 v64, v[62:63]
	s_waitcnt lgkmcnt(0)
	; wave barrier
	s_waitcnt lgkmcnt(0)
	s_and_saveexec_b64 s[8:9], s[6:7]
	s_cbranch_execz .LBB93_560
; %bb.551:
	s_and_b64 vcc, exec, s[4:5]
	s_cbranch_vccnz .LBB93_553
; %bb.552:
	buffer_load_dword v62, v65, s[0:3], 0 offen
	buffer_load_dword v63, v65, s[0:3], 0 offen offset:4
	ds_read_b64 v[66:67], v64
	s_waitcnt vmcnt(0) lgkmcnt(0)
	v_mul_f64 v[62:63], v[62:63], v[66:67]
	s_cbranch_execz .LBB93_554
	s_branch .LBB93_555
.LBB93_553:
                                        ; implicit-def: $vgpr62_vgpr63
.LBB93_554:
	ds_read_b64 v[62:63], v64
.LBB93_555:
	v_cmp_ne_u32_e32 vcc, 27, v0
	s_and_saveexec_b64 s[10:11], vcc
	s_cbranch_execz .LBB93_559
; %bb.556:
	v_mov_b32_e32 v67, 0
	v_add_u32_e32 v66, 0xf8, v1
	v_add3_u32 v67, v1, v67, 8
	s_mov_b64 s[12:13], 0
	v_mov_b32_e32 v68, v0
.LBB93_557:                             ; =>This Inner Loop Header: Depth=1
	buffer_load_dword v70, v67, s[0:3], 0 offen
	buffer_load_dword v71, v67, s[0:3], 0 offen offset:4
	ds_read_b64 v[72:73], v66
	v_add_u32_e32 v68, 1, v68
	v_cmp_lt_u32_e32 vcc, 26, v68
	v_add_u32_e32 v66, 8, v66
	v_add_u32_e32 v67, 8, v67
	s_or_b64 s[12:13], vcc, s[12:13]
	s_waitcnt vmcnt(0) lgkmcnt(0)
	v_fmac_f64_e32 v[62:63], v[70:71], v[72:73]
	s_andn2_b64 exec, exec, s[12:13]
	s_cbranch_execnz .LBB93_557
; %bb.558:
	s_or_b64 exec, exec, s[12:13]
.LBB93_559:
	s_or_b64 exec, exec, s[10:11]
	v_mov_b32_e32 v66, 0
	ds_read_b64 v[66:67], v66 offset:224
	s_waitcnt lgkmcnt(0)
	v_mul_f64 v[62:63], v[62:63], v[66:67]
	buffer_store_dword v63, off, s[0:3], 0 offset:228
	buffer_store_dword v62, off, s[0:3], 0 offset:224
.LBB93_560:
	s_or_b64 exec, exec, s[8:9]
	buffer_load_dword v62, off, s[0:3], 0 offset:232
	buffer_load_dword v63, off, s[0:3], 0 offset:236
	v_cmp_ne_u32_e32 vcc, 29, v0
	s_waitcnt vmcnt(0)
	ds_write_b64 v64, v[62:63]
	s_waitcnt lgkmcnt(0)
	; wave barrier
	s_waitcnt lgkmcnt(0)
	s_and_saveexec_b64 s[8:9], vcc
	s_cbranch_execz .LBB93_570
; %bb.561:
	s_and_b64 vcc, exec, s[4:5]
	s_cbranch_vccnz .LBB93_563
; %bb.562:
	buffer_load_dword v62, v65, s[0:3], 0 offen
	buffer_load_dword v63, v65, s[0:3], 0 offen offset:4
	ds_read_b64 v[66:67], v64
	s_waitcnt vmcnt(0) lgkmcnt(0)
	v_mul_f64 v[62:63], v[62:63], v[66:67]
	s_cbranch_execz .LBB93_564
	s_branch .LBB93_565
.LBB93_563:
                                        ; implicit-def: $vgpr62_vgpr63
.LBB93_564:
	ds_read_b64 v[62:63], v64
.LBB93_565:
	s_and_saveexec_b64 s[4:5], s[6:7]
	s_cbranch_execz .LBB93_569
; %bb.566:
	v_mov_b32_e32 v65, 0
	v_add_u32_e32 v64, 0xf8, v1
	v_add3_u32 v1, v1, v65, 8
	s_mov_b64 s[6:7], 0
.LBB93_567:                             ; =>This Inner Loop Header: Depth=1
	buffer_load_dword v66, v1, s[0:3], 0 offen
	buffer_load_dword v67, v1, s[0:3], 0 offen offset:4
	ds_read_b64 v[68:69], v64
	v_add_u32_e32 v0, 1, v0
	v_cmp_lt_u32_e32 vcc, 27, v0
	v_add_u32_e32 v64, 8, v64
	v_add_u32_e32 v1, 8, v1
	s_or_b64 s[6:7], vcc, s[6:7]
	s_waitcnt vmcnt(0) lgkmcnt(0)
	v_fmac_f64_e32 v[62:63], v[66:67], v[68:69]
	s_andn2_b64 exec, exec, s[6:7]
	s_cbranch_execnz .LBB93_567
; %bb.568:
	s_or_b64 exec, exec, s[6:7]
.LBB93_569:
	s_or_b64 exec, exec, s[4:5]
	v_mov_b32_e32 v0, 0
	ds_read_b64 v[0:1], v0 offset:232
	s_waitcnt lgkmcnt(0)
	v_mul_f64 v[0:1], v[62:63], v[0:1]
	buffer_store_dword v1, off, s[0:3], 0 offset:236
	buffer_store_dword v0, off, s[0:3], 0 offset:232
.LBB93_570:
	s_or_b64 exec, exec, s[8:9]
.LBB93_571:
	buffer_load_dword v0, off, s[0:3], 0
	buffer_load_dword v1, off, s[0:3], 0 offset:4
	buffer_load_dword v62, off, s[0:3], 0 offset:8
	;; [unrolled: 1-line block ×59, first 2 shown]
	s_waitcnt vmcnt(58)
	global_store_dwordx2 v[52:53], v[0:1], off
	s_waitcnt vmcnt(57)
	global_store_dwordx2 v[54:55], v[62:63], off
	;; [unrolled: 2-line block ×9, first 2 shown]
	global_store_dwordx2 v[16:17], v[76:77], off
	global_store_dwordx2 v[18:19], v[78:79], off
	;; [unrolled: 1-line block ×3, first 2 shown]
	s_waitcnt vmcnt(46)
	global_store_dwordx2 v[22:23], v[84:85], off
	s_waitcnt vmcnt(45)
	global_store_dwordx2 v[24:25], v[86:87], off
	;; [unrolled: 2-line block ×18, first 2 shown]
.LBB93_572:
	s_endpgm
	.section	.rodata,"a",@progbits
	.p2align	6, 0x0
	.amdhsa_kernel _ZN9rocsolver6v33100L18trti2_kernel_smallILi30EdPKPdEEv13rocblas_fill_17rocblas_diagonal_T1_iil
		.amdhsa_group_segment_fixed_size 480
		.amdhsa_private_segment_fixed_size 256
		.amdhsa_kernarg_size 32
		.amdhsa_user_sgpr_count 8
		.amdhsa_user_sgpr_private_segment_buffer 1
		.amdhsa_user_sgpr_dispatch_ptr 0
		.amdhsa_user_sgpr_queue_ptr 0
		.amdhsa_user_sgpr_kernarg_segment_ptr 1
		.amdhsa_user_sgpr_dispatch_id 0
		.amdhsa_user_sgpr_flat_scratch_init 1
		.amdhsa_user_sgpr_kernarg_preload_length 0
		.amdhsa_user_sgpr_kernarg_preload_offset 0
		.amdhsa_user_sgpr_private_segment_size 0
		.amdhsa_uses_dynamic_stack 0
		.amdhsa_system_sgpr_private_segment_wavefront_offset 1
		.amdhsa_system_sgpr_workgroup_id_x 1
		.amdhsa_system_sgpr_workgroup_id_y 0
		.amdhsa_system_sgpr_workgroup_id_z 0
		.amdhsa_system_sgpr_workgroup_info 0
		.amdhsa_system_vgpr_workitem_id 0
		.amdhsa_next_free_vgpr 122
		.amdhsa_next_free_sgpr 16
		.amdhsa_accum_offset 124
		.amdhsa_reserve_vcc 1
		.amdhsa_reserve_flat_scratch 0
		.amdhsa_float_round_mode_32 0
		.amdhsa_float_round_mode_16_64 0
		.amdhsa_float_denorm_mode_32 3
		.amdhsa_float_denorm_mode_16_64 3
		.amdhsa_dx10_clamp 1
		.amdhsa_ieee_mode 1
		.amdhsa_fp16_overflow 0
		.amdhsa_tg_split 0
		.amdhsa_exception_fp_ieee_invalid_op 0
		.amdhsa_exception_fp_denorm_src 0
		.amdhsa_exception_fp_ieee_div_zero 0
		.amdhsa_exception_fp_ieee_overflow 0
		.amdhsa_exception_fp_ieee_underflow 0
		.amdhsa_exception_fp_ieee_inexact 0
		.amdhsa_exception_int_div_zero 0
	.end_amdhsa_kernel
	.section	.text._ZN9rocsolver6v33100L18trti2_kernel_smallILi30EdPKPdEEv13rocblas_fill_17rocblas_diagonal_T1_iil,"axG",@progbits,_ZN9rocsolver6v33100L18trti2_kernel_smallILi30EdPKPdEEv13rocblas_fill_17rocblas_diagonal_T1_iil,comdat
.Lfunc_end93:
	.size	_ZN9rocsolver6v33100L18trti2_kernel_smallILi30EdPKPdEEv13rocblas_fill_17rocblas_diagonal_T1_iil, .Lfunc_end93-_ZN9rocsolver6v33100L18trti2_kernel_smallILi30EdPKPdEEv13rocblas_fill_17rocblas_diagonal_T1_iil
                                        ; -- End function
	.section	.AMDGPU.csdata,"",@progbits
; Kernel info:
; codeLenInByte = 17308
; NumSgprs: 20
; NumVgprs: 122
; NumAgprs: 0
; TotalNumVgprs: 122
; ScratchSize: 256
; MemoryBound: 0
; FloatMode: 240
; IeeeMode: 1
; LDSByteSize: 480 bytes/workgroup (compile time only)
; SGPRBlocks: 2
; VGPRBlocks: 15
; NumSGPRsForWavesPerEU: 20
; NumVGPRsForWavesPerEU: 122
; AccumOffset: 124
; Occupancy: 4
; WaveLimiterHint : 1
; COMPUTE_PGM_RSRC2:SCRATCH_EN: 1
; COMPUTE_PGM_RSRC2:USER_SGPR: 8
; COMPUTE_PGM_RSRC2:TRAP_HANDLER: 0
; COMPUTE_PGM_RSRC2:TGID_X_EN: 1
; COMPUTE_PGM_RSRC2:TGID_Y_EN: 0
; COMPUTE_PGM_RSRC2:TGID_Z_EN: 0
; COMPUTE_PGM_RSRC2:TIDIG_COMP_CNT: 0
; COMPUTE_PGM_RSRC3_GFX90A:ACCUM_OFFSET: 30
; COMPUTE_PGM_RSRC3_GFX90A:TG_SPLIT: 0
	.section	.text._ZN9rocsolver6v33100L18trti2_kernel_smallILi31EdPKPdEEv13rocblas_fill_17rocblas_diagonal_T1_iil,"axG",@progbits,_ZN9rocsolver6v33100L18trti2_kernel_smallILi31EdPKPdEEv13rocblas_fill_17rocblas_diagonal_T1_iil,comdat
	.globl	_ZN9rocsolver6v33100L18trti2_kernel_smallILi31EdPKPdEEv13rocblas_fill_17rocblas_diagonal_T1_iil ; -- Begin function _ZN9rocsolver6v33100L18trti2_kernel_smallILi31EdPKPdEEv13rocblas_fill_17rocblas_diagonal_T1_iil
	.p2align	8
	.type	_ZN9rocsolver6v33100L18trti2_kernel_smallILi31EdPKPdEEv13rocblas_fill_17rocblas_diagonal_T1_iil,@function
_ZN9rocsolver6v33100L18trti2_kernel_smallILi31EdPKPdEEv13rocblas_fill_17rocblas_diagonal_T1_iil: ; @_ZN9rocsolver6v33100L18trti2_kernel_smallILi31EdPKPdEEv13rocblas_fill_17rocblas_diagonal_T1_iil
; %bb.0:
	s_add_u32 s0, s0, s9
	s_addc_u32 s1, s1, 0
	v_cmp_gt_u32_e32 vcc, 31, v0
	s_and_saveexec_b64 s[6:7], vcc
	s_cbranch_execz .LBB94_592
; %bb.1:
	s_load_dwordx2 s[6:7], s[4:5], 0x10
	s_load_dwordx4 s[12:15], s[4:5], 0x0
	s_ashr_i32 s9, s8, 31
	s_lshl_b64 s[4:5], s[8:9], 3
	s_waitcnt lgkmcnt(0)
	s_ashr_i32 s9, s6, 31
	s_add_u32 s4, s14, s4
	s_addc_u32 s5, s15, s5
	s_load_dwordx2 s[4:5], s[4:5], 0x0
	s_mov_b32 s8, s6
	s_lshl_b64 s[8:9], s[8:9], 3
	s_waitcnt lgkmcnt(0)
	s_add_u32 s4, s4, s8
	s_addc_u32 s5, s5, s9
	s_add_i32 s6, s7, s7
	v_add_u32_e32 v4, s6, v0
	v_ashrrev_i32_e32 v5, 31, v4
	v_lshlrev_b64 v[2:3], 3, v[4:5]
	v_add_u32_e32 v6, s7, v4
	v_mov_b32_e32 v1, s5
	v_add_co_u32_e32 v2, vcc, s4, v2
	v_ashrrev_i32_e32 v7, 31, v6
	v_addc_co_u32_e32 v3, vcc, v1, v3, vcc
	v_lshlrev_b64 v[4:5], 3, v[6:7]
	v_add_u32_e32 v8, s7, v6
	v_add_co_u32_e32 v4, vcc, s4, v4
	v_ashrrev_i32_e32 v9, 31, v8
	v_addc_co_u32_e32 v5, vcc, v1, v5, vcc
	v_lshlrev_b64 v[6:7], 3, v[8:9]
	v_add_u32_e32 v10, s7, v8
	;; [unrolled: 5-line block ×22, first 2 shown]
	v_add_co_u32_e32 v46, vcc, s4, v46
	v_ashrrev_i32_e32 v51, 31, v50
	v_addc_co_u32_e32 v47, vcc, v1, v47, vcc
	v_lshlrev_b64 v[48:49], 3, v[50:51]
	v_add_co_u32_e32 v48, vcc, s4, v48
	v_addc_co_u32_e32 v49, vcc, v1, v49, vcc
	v_lshlrev_b32_e32 v1, 3, v0
	global_load_dwordx2 v[64:65], v1, s[4:5]
	global_load_dwordx2 v[68:69], v[2:3], off
	global_load_dwordx2 v[70:71], v[4:5], off
	;; [unrolled: 1-line block ×3, first 2 shown]
	v_add_u32_e32 v52, s7, v50
	v_ashrrev_i32_e32 v53, 31, v52
	v_lshlrev_b64 v[50:51], 3, v[52:53]
	v_mov_b32_e32 v53, s5
	v_add_co_u32_e32 v50, vcc, s4, v50
	v_addc_co_u32_e32 v51, vcc, v53, v51, vcc
	v_mov_b32_e32 v55, s5
	v_add_co_u32_e32 v54, vcc, s4, v1
	s_ashr_i32 s9, s7, 31
	s_mov_b32 s8, s7
	v_add_u32_e32 v58, s7, v52
	v_addc_co_u32_e32 v55, vcc, 0, v55, vcc
	s_lshl_b64 s[8:9], s[8:9], 3
	v_ashrrev_i32_e32 v59, 31, v58
	v_mov_b32_e32 v57, s9
	v_add_co_u32_e32 v56, vcc, s8, v54
	v_lshlrev_b64 v[52:53], 3, v[58:59]
	v_addc_co_u32_e32 v57, vcc, v55, v57, vcc
	v_add_u32_e32 v60, s7, v58
	v_mov_b32_e32 v59, s5
	v_add_co_u32_e32 v52, vcc, s4, v52
	v_ashrrev_i32_e32 v61, 31, v60
	v_addc_co_u32_e32 v53, vcc, v59, v53, vcc
	v_lshlrev_b64 v[58:59], 3, v[60:61]
	v_add_u32_e32 v62, s7, v60
	v_mov_b32_e32 v61, s5
	v_add_co_u32_e32 v58, vcc, s4, v58
	v_ashrrev_i32_e32 v63, 31, v62
	v_addc_co_u32_e32 v59, vcc, v61, v59, vcc
	v_lshlrev_b64 v[60:61], 3, v[62:63]
	v_mov_b32_e32 v63, s5
	v_add_co_u32_e32 v60, vcc, s4, v60
	v_add_u32_e32 v62, s7, v62
	v_addc_co_u32_e32 v61, vcc, v63, v61, vcc
	v_ashrrev_i32_e32 v63, 31, v62
	v_lshlrev_b64 v[62:63], 3, v[62:63]
	v_mov_b32_e32 v116, s5
	v_add_co_u32_e32 v62, vcc, s4, v62
	global_load_dwordx2 v[66:67], v[56:57], off
	global_load_dwordx2 v[74:75], v[8:9], off
	;; [unrolled: 1-line block ×22, first 2 shown]
	v_addc_co_u32_e32 v63, vcc, v116, v63, vcc
	global_load_dwordx2 v[116:117], v[50:51], off
	global_load_dwordx2 v[118:119], v[62:63], off
	;; [unrolled: 1-line block ×4, first 2 shown]
	s_cmpk_lg_i32 s13, 0x84
	s_cselect_b64 s[8:9], -1, 0
	s_cmpk_eq_i32 s13, 0x84
	s_waitcnt vmcnt(29)
	buffer_store_dword v65, off, s[0:3], 0 offset:4
	buffer_store_dword v64, off, s[0:3], 0
	global_load_dwordx2 v[64:65], v[60:61], off
	s_waitcnt vmcnt(28)
	buffer_store_dword v67, off, s[0:3], 0 offset:12
	buffer_store_dword v66, off, s[0:3], 0 offset:8
	;; [unrolled: 1-line block ×8, first 2 shown]
	s_waitcnt vmcnt(35)
	buffer_store_dword v75, off, s[0:3], 0 offset:44
	buffer_store_dword v74, off, s[0:3], 0 offset:40
	s_waitcnt vmcnt(36)
	buffer_store_dword v77, off, s[0:3], 0 offset:52
	buffer_store_dword v76, off, s[0:3], 0 offset:48
	;; [unrolled: 3-line block ×25, first 2 shown]
	buffer_store_dword v118, off, s[0:3], 0 offset:240
	buffer_store_dword v119, off, s[0:3], 0 offset:244
	v_mov_b32_e32 v64, 0
	v_mov_b32_e32 v95, 0
	;; [unrolled: 1-line block ×3, first 2 shown]
	s_cbranch_scc1 .LBB94_3
; %bb.2:
	v_lshl_add_u32 v74, v0, 3, v95
	buffer_load_dword v64, v74, s[0:3], 0 offen
	buffer_load_dword v65, v74, s[0:3], 0 offen offset:4
	s_waitcnt vmcnt(0)
	v_div_scale_f64 v[66:67], s[4:5], v[64:65], v[64:65], 1.0
	v_rcp_f64_e32 v[68:69], v[66:67]
	v_div_scale_f64 v[70:71], vcc, 1.0, v[64:65], 1.0
	v_fma_f64 v[72:73], -v[66:67], v[68:69], 1.0
	v_fmac_f64_e32 v[68:69], v[68:69], v[72:73]
	v_fma_f64 v[72:73], -v[66:67], v[68:69], 1.0
	v_fmac_f64_e32 v[68:69], v[68:69], v[72:73]
	v_mul_f64 v[72:73], v[70:71], v[68:69]
	v_fma_f64 v[66:67], -v[66:67], v[72:73], v[70:71]
	v_div_fmas_f64 v[66:67], v[66:67], v[68:69], v[72:73]
	v_div_fixup_f64 v[64:65], v[66:67], v[64:65], 1.0
	buffer_store_dword v64, v74, s[0:3], 0 offen
	buffer_store_dword v65, v74, s[0:3], 0 offen offset:4
	v_xor_b32_e32 v65, 0x80000000, v65
.LBB94_3:
	s_cmpk_eq_i32 s12, 0x79
	v_add_u32_e32 v66, 0x100, v1
	v_add_u32_e32 v67, 0, v1
	s_mov_b64 s[4:5], -1
	ds_write_b64 v1, v[64:65]
	s_cbranch_scc1 .LBB94_297
; %bb.4:
	buffer_load_dword v64, off, s[0:3], 0 offset:232
	buffer_load_dword v65, off, s[0:3], 0 offset:236
	v_cmp_eq_u32_e64 s[4:5], 30, v0
	s_waitcnt vmcnt(0)
	ds_write_b64 v66, v[64:65]
	s_waitcnt lgkmcnt(0)
	; wave barrier
	s_waitcnt lgkmcnt(0)
	s_and_saveexec_b64 s[6:7], s[4:5]
	s_cbranch_execz .LBB94_10
; %bb.5:
	s_and_b64 vcc, exec, s[8:9]
	s_cbranch_vccz .LBB94_7
; %bb.6:
	buffer_load_dword v64, v67, s[0:3], 0 offen
	buffer_load_dword v65, v67, s[0:3], 0 offen offset:4
	ds_read_b64 v[68:69], v66
	s_waitcnt vmcnt(0) lgkmcnt(0)
	v_mul_f64 v[64:65], v[64:65], v[68:69]
	s_cbranch_execz .LBB94_8
	s_branch .LBB94_9
.LBB94_7:
                                        ; implicit-def: $vgpr64_vgpr65
.LBB94_8:
	ds_read_b64 v[64:65], v66
.LBB94_9:
	v_mov_b32_e32 v68, 0
	ds_read_b64 v[68:69], v68 offset:232
	s_waitcnt lgkmcnt(0)
	v_mul_f64 v[64:65], v[64:65], v[68:69]
	buffer_store_dword v65, off, s[0:3], 0 offset:236
	buffer_store_dword v64, off, s[0:3], 0 offset:232
.LBB94_10:
	s_or_b64 exec, exec, s[6:7]
	buffer_load_dword v64, off, s[0:3], 0 offset:224
	buffer_load_dword v65, off, s[0:3], 0 offset:228
	v_or_b32_e32 v68, 8, v95
	v_add_u32_e32 v69, 16, v95
	v_add_u32_e32 v70, 24, v95
	v_add_u32_e32 v71, 32, v95
	v_add_u32_e32 v72, 40, v95
	v_add_u32_e32 v73, 48, v95
	v_add_u32_e32 v74, 56, v95
	v_add_u32_e32 v75, 64, v95
	v_add_u32_e32 v76, 0x48, v95
	v_add_u32_e32 v77, 0x50, v95
	v_add_u32_e32 v78, 0x58, v95
	v_add_u32_e32 v79, 0x60, v95
	v_add_u32_e32 v80, 0x68, v95
	v_add_u32_e32 v81, 0x70, v95
	v_add_u32_e32 v82, 0x78, v95
	v_add_u32_e32 v83, 0x80, v95
	v_add_u32_e32 v84, 0x88, v95
	v_add_u32_e32 v85, 0x90, v95
	v_add_u32_e32 v86, 0x98, v95
	v_add_u32_e32 v87, 0xa0, v95
	v_add_u32_e32 v88, 0xa8, v95
	v_add_u32_e32 v89, 0xb0, v95
	v_add_u32_e32 v90, 0xb8, v95
	v_add_u32_e32 v91, 0xc0, v95
	v_add_u32_e32 v92, 0xc8, v95
	v_add_u32_e32 v93, 0xd0, v95
	v_add_u32_e32 v94, 0xd8, v95
	v_add_u32_e32 v95, 0xe0, v95
	v_cmp_lt_u32_e64 s[6:7], 28, v0
	s_waitcnt vmcnt(0)
	ds_write_b64 v66, v[64:65]
	s_waitcnt lgkmcnt(0)
	; wave barrier
	s_waitcnt lgkmcnt(0)
	s_and_saveexec_b64 s[10:11], s[6:7]
	s_cbranch_execz .LBB94_16
; %bb.11:
	s_andn2_b64 vcc, exec, s[8:9]
	s_cbranch_vccnz .LBB94_13
; %bb.12:
	buffer_load_dword v64, v67, s[0:3], 0 offen
	buffer_load_dword v65, v67, s[0:3], 0 offen offset:4
	ds_read_b64 v[96:97], v66
	s_waitcnt vmcnt(0) lgkmcnt(0)
	v_mul_f64 v[64:65], v[64:65], v[96:97]
	s_cbranch_execz .LBB94_14
	s_branch .LBB94_15
.LBB94_13:
                                        ; implicit-def: $vgpr64_vgpr65
.LBB94_14:
	ds_read_b64 v[64:65], v66
.LBB94_15:
	buffer_load_dword v100, off, s[0:3], 0 offset:232
	buffer_load_dword v101, off, s[0:3], 0 offset:236
	v_mov_b32_e32 v96, 0
	ds_read2_b64 v[96:99], v96 offset0:28 offset1:61
	s_waitcnt vmcnt(0) lgkmcnt(0)
	v_fma_f64 v[98:99], v[100:101], v[98:99], v[64:65]
	v_cndmask_b32_e64 v65, v65, v99, s[4:5]
	v_cndmask_b32_e64 v64, v64, v98, s[4:5]
	v_mul_f64 v[64:65], v[64:65], v[96:97]
	buffer_store_dword v65, off, s[0:3], 0 offset:228
	buffer_store_dword v64, off, s[0:3], 0 offset:224
.LBB94_16:
	s_or_b64 exec, exec, s[10:11]
	buffer_load_dword v64, off, s[0:3], 0 offset:216
	buffer_load_dword v65, off, s[0:3], 0 offset:220
	v_cmp_lt_u32_e64 s[4:5], 27, v0
	s_waitcnt vmcnt(0)
	ds_write_b64 v66, v[64:65]
	s_waitcnt lgkmcnt(0)
	; wave barrier
	s_waitcnt lgkmcnt(0)
	s_and_saveexec_b64 s[10:11], s[4:5]
	s_cbranch_execz .LBB94_26
; %bb.17:
	s_andn2_b64 vcc, exec, s[8:9]
	s_cbranch_vccnz .LBB94_19
; %bb.18:
	buffer_load_dword v64, v67, s[0:3], 0 offen
	buffer_load_dword v65, v67, s[0:3], 0 offen offset:4
	ds_read_b64 v[96:97], v66
	s_waitcnt vmcnt(0) lgkmcnt(0)
	v_mul_f64 v[64:65], v[64:65], v[96:97]
	s_cbranch_execz .LBB94_20
	s_branch .LBB94_21
.LBB94_19:
                                        ; implicit-def: $vgpr64_vgpr65
.LBB94_20:
	ds_read_b64 v[64:65], v66
.LBB94_21:
	s_and_saveexec_b64 s[12:13], s[6:7]
	s_cbranch_execz .LBB94_25
; %bb.22:
	v_subrev_u32_e32 v96, 28, v0
	s_movk_i32 s14, 0x1e0
	s_mov_b64 s[6:7], 0
.LBB94_23:                              ; =>This Inner Loop Header: Depth=1
	buffer_load_dword v98, v95, s[0:3], 0 offen
	buffer_load_dword v99, v95, s[0:3], 0 offen offset:4
	v_mov_b32_e32 v97, s14
	ds_read_b64 v[100:101], v97
	v_add_u32_e32 v96, -1, v96
	s_add_i32 s14, s14, 8
	v_cmp_eq_u32_e32 vcc, 0, v96
	v_add_u32_e32 v95, 8, v95
	s_or_b64 s[6:7], vcc, s[6:7]
	s_waitcnt vmcnt(0) lgkmcnt(0)
	v_fmac_f64_e32 v[64:65], v[98:99], v[100:101]
	s_andn2_b64 exec, exec, s[6:7]
	s_cbranch_execnz .LBB94_23
; %bb.24:
	s_or_b64 exec, exec, s[6:7]
.LBB94_25:
	s_or_b64 exec, exec, s[12:13]
	v_mov_b32_e32 v95, 0
	ds_read_b64 v[96:97], v95 offset:216
	s_waitcnt lgkmcnt(0)
	v_mul_f64 v[64:65], v[64:65], v[96:97]
	buffer_store_dword v65, off, s[0:3], 0 offset:220
	buffer_store_dword v64, off, s[0:3], 0 offset:216
.LBB94_26:
	s_or_b64 exec, exec, s[10:11]
	buffer_load_dword v64, off, s[0:3], 0 offset:208
	buffer_load_dword v65, off, s[0:3], 0 offset:212
	v_cmp_lt_u32_e64 s[6:7], 26, v0
	s_waitcnt vmcnt(0)
	ds_write_b64 v66, v[64:65]
	s_waitcnt lgkmcnt(0)
	; wave barrier
	s_waitcnt lgkmcnt(0)
	s_and_saveexec_b64 s[10:11], s[6:7]
	s_cbranch_execz .LBB94_36
; %bb.27:
	s_andn2_b64 vcc, exec, s[8:9]
	s_cbranch_vccnz .LBB94_29
; %bb.28:
	buffer_load_dword v64, v67, s[0:3], 0 offen
	buffer_load_dword v65, v67, s[0:3], 0 offen offset:4
	ds_read_b64 v[96:97], v66
	s_waitcnt vmcnt(0) lgkmcnt(0)
	v_mul_f64 v[64:65], v[64:65], v[96:97]
	s_cbranch_execz .LBB94_30
	s_branch .LBB94_31
.LBB94_29:
                                        ; implicit-def: $vgpr64_vgpr65
.LBB94_30:
	ds_read_b64 v[64:65], v66
.LBB94_31:
	s_and_saveexec_b64 s[12:13], s[4:5]
	s_cbranch_execz .LBB94_35
; %bb.32:
	v_subrev_u32_e32 v95, 27, v0
	s_movk_i32 s14, 0x1d8
	s_mov_b64 s[4:5], 0
.LBB94_33:                              ; =>This Inner Loop Header: Depth=1
	buffer_load_dword v96, v94, s[0:3], 0 offen
	buffer_load_dword v97, v94, s[0:3], 0 offen offset:4
	v_mov_b32_e32 v98, s14
	ds_read_b64 v[98:99], v98
	v_add_u32_e32 v95, -1, v95
	s_add_i32 s14, s14, 8
	v_cmp_eq_u32_e32 vcc, 0, v95
	v_add_u32_e32 v94, 8, v94
	s_or_b64 s[4:5], vcc, s[4:5]
	s_waitcnt vmcnt(0) lgkmcnt(0)
	v_fmac_f64_e32 v[64:65], v[96:97], v[98:99]
	s_andn2_b64 exec, exec, s[4:5]
	s_cbranch_execnz .LBB94_33
; %bb.34:
	s_or_b64 exec, exec, s[4:5]
.LBB94_35:
	s_or_b64 exec, exec, s[12:13]
	v_mov_b32_e32 v94, 0
	ds_read_b64 v[94:95], v94 offset:208
	s_waitcnt lgkmcnt(0)
	v_mul_f64 v[64:65], v[64:65], v[94:95]
	buffer_store_dword v65, off, s[0:3], 0 offset:212
	buffer_store_dword v64, off, s[0:3], 0 offset:208
.LBB94_36:
	s_or_b64 exec, exec, s[10:11]
	buffer_load_dword v64, off, s[0:3], 0 offset:200
	buffer_load_dword v65, off, s[0:3], 0 offset:204
	v_cmp_lt_u32_e64 s[4:5], 25, v0
	s_waitcnt vmcnt(0)
	ds_write_b64 v66, v[64:65]
	s_waitcnt lgkmcnt(0)
	; wave barrier
	s_waitcnt lgkmcnt(0)
	s_and_saveexec_b64 s[10:11], s[4:5]
	s_cbranch_execz .LBB94_46
; %bb.37:
	s_andn2_b64 vcc, exec, s[8:9]
	s_cbranch_vccnz .LBB94_39
; %bb.38:
	buffer_load_dword v64, v67, s[0:3], 0 offen
	buffer_load_dword v65, v67, s[0:3], 0 offen offset:4
	ds_read_b64 v[94:95], v66
	s_waitcnt vmcnt(0) lgkmcnt(0)
	v_mul_f64 v[64:65], v[64:65], v[94:95]
	s_cbranch_execz .LBB94_40
	s_branch .LBB94_41
.LBB94_39:
                                        ; implicit-def: $vgpr64_vgpr65
.LBB94_40:
	ds_read_b64 v[64:65], v66
.LBB94_41:
	s_and_saveexec_b64 s[12:13], s[6:7]
	s_cbranch_execz .LBB94_45
; %bb.42:
	v_subrev_u32_e32 v94, 26, v0
	s_movk_i32 s14, 0x1d0
	s_mov_b64 s[6:7], 0
.LBB94_43:                              ; =>This Inner Loop Header: Depth=1
	buffer_load_dword v96, v93, s[0:3], 0 offen
	buffer_load_dword v97, v93, s[0:3], 0 offen offset:4
	v_mov_b32_e32 v95, s14
	ds_read_b64 v[98:99], v95
	v_add_u32_e32 v94, -1, v94
	s_add_i32 s14, s14, 8
	v_cmp_eq_u32_e32 vcc, 0, v94
	v_add_u32_e32 v93, 8, v93
	s_or_b64 s[6:7], vcc, s[6:7]
	s_waitcnt vmcnt(0) lgkmcnt(0)
	v_fmac_f64_e32 v[64:65], v[96:97], v[98:99]
	s_andn2_b64 exec, exec, s[6:7]
	s_cbranch_execnz .LBB94_43
; %bb.44:
	s_or_b64 exec, exec, s[6:7]
.LBB94_45:
	s_or_b64 exec, exec, s[12:13]
	v_mov_b32_e32 v93, 0
	ds_read_b64 v[94:95], v93 offset:200
	s_waitcnt lgkmcnt(0)
	v_mul_f64 v[64:65], v[64:65], v[94:95]
	buffer_store_dword v65, off, s[0:3], 0 offset:204
	buffer_store_dword v64, off, s[0:3], 0 offset:200
.LBB94_46:
	s_or_b64 exec, exec, s[10:11]
	buffer_load_dword v64, off, s[0:3], 0 offset:192
	buffer_load_dword v65, off, s[0:3], 0 offset:196
	v_cmp_lt_u32_e64 s[6:7], 24, v0
	s_waitcnt vmcnt(0)
	ds_write_b64 v66, v[64:65]
	s_waitcnt lgkmcnt(0)
	; wave barrier
	s_waitcnt lgkmcnt(0)
	s_and_saveexec_b64 s[10:11], s[6:7]
	s_cbranch_execz .LBB94_56
; %bb.47:
	s_andn2_b64 vcc, exec, s[8:9]
	s_cbranch_vccnz .LBB94_49
; %bb.48:
	buffer_load_dword v64, v67, s[0:3], 0 offen
	buffer_load_dword v65, v67, s[0:3], 0 offen offset:4
	ds_read_b64 v[94:95], v66
	s_waitcnt vmcnt(0) lgkmcnt(0)
	v_mul_f64 v[64:65], v[64:65], v[94:95]
	s_cbranch_execz .LBB94_50
	s_branch .LBB94_51
.LBB94_49:
                                        ; implicit-def: $vgpr64_vgpr65
.LBB94_50:
	ds_read_b64 v[64:65], v66
.LBB94_51:
	s_and_saveexec_b64 s[12:13], s[4:5]
	s_cbranch_execz .LBB94_55
; %bb.52:
	v_subrev_u32_e32 v93, 25, v0
	s_movk_i32 s14, 0x1c8
	s_mov_b64 s[4:5], 0
.LBB94_53:                              ; =>This Inner Loop Header: Depth=1
	buffer_load_dword v94, v92, s[0:3], 0 offen
	buffer_load_dword v95, v92, s[0:3], 0 offen offset:4
	v_mov_b32_e32 v96, s14
	ds_read_b64 v[96:97], v96
	v_add_u32_e32 v93, -1, v93
	s_add_i32 s14, s14, 8
	v_cmp_eq_u32_e32 vcc, 0, v93
	v_add_u32_e32 v92, 8, v92
	s_or_b64 s[4:5], vcc, s[4:5]
	s_waitcnt vmcnt(0) lgkmcnt(0)
	v_fmac_f64_e32 v[64:65], v[94:95], v[96:97]
	s_andn2_b64 exec, exec, s[4:5]
	s_cbranch_execnz .LBB94_53
; %bb.54:
	s_or_b64 exec, exec, s[4:5]
.LBB94_55:
	s_or_b64 exec, exec, s[12:13]
	v_mov_b32_e32 v92, 0
	ds_read_b64 v[92:93], v92 offset:192
	s_waitcnt lgkmcnt(0)
	v_mul_f64 v[64:65], v[64:65], v[92:93]
	buffer_store_dword v65, off, s[0:3], 0 offset:196
	buffer_store_dword v64, off, s[0:3], 0 offset:192
.LBB94_56:
	s_or_b64 exec, exec, s[10:11]
	buffer_load_dword v64, off, s[0:3], 0 offset:184
	buffer_load_dword v65, off, s[0:3], 0 offset:188
	v_cmp_lt_u32_e64 s[4:5], 23, v0
	s_waitcnt vmcnt(0)
	ds_write_b64 v66, v[64:65]
	s_waitcnt lgkmcnt(0)
	; wave barrier
	s_waitcnt lgkmcnt(0)
	s_and_saveexec_b64 s[10:11], s[4:5]
	s_cbranch_execz .LBB94_66
; %bb.57:
	s_andn2_b64 vcc, exec, s[8:9]
	s_cbranch_vccnz .LBB94_59
; %bb.58:
	buffer_load_dword v64, v67, s[0:3], 0 offen
	buffer_load_dword v65, v67, s[0:3], 0 offen offset:4
	ds_read_b64 v[92:93], v66
	s_waitcnt vmcnt(0) lgkmcnt(0)
	v_mul_f64 v[64:65], v[64:65], v[92:93]
	s_cbranch_execz .LBB94_60
	s_branch .LBB94_61
.LBB94_59:
                                        ; implicit-def: $vgpr64_vgpr65
.LBB94_60:
	ds_read_b64 v[64:65], v66
.LBB94_61:
	s_and_saveexec_b64 s[12:13], s[6:7]
	s_cbranch_execz .LBB94_65
; %bb.62:
	v_subrev_u32_e32 v92, 24, v0
	s_movk_i32 s14, 0x1c0
	s_mov_b64 s[6:7], 0
.LBB94_63:                              ; =>This Inner Loop Header: Depth=1
	buffer_load_dword v94, v91, s[0:3], 0 offen
	buffer_load_dword v95, v91, s[0:3], 0 offen offset:4
	v_mov_b32_e32 v93, s14
	ds_read_b64 v[96:97], v93
	v_add_u32_e32 v92, -1, v92
	s_add_i32 s14, s14, 8
	v_cmp_eq_u32_e32 vcc, 0, v92
	v_add_u32_e32 v91, 8, v91
	s_or_b64 s[6:7], vcc, s[6:7]
	s_waitcnt vmcnt(0) lgkmcnt(0)
	v_fmac_f64_e32 v[64:65], v[94:95], v[96:97]
	s_andn2_b64 exec, exec, s[6:7]
	s_cbranch_execnz .LBB94_63
; %bb.64:
	s_or_b64 exec, exec, s[6:7]
.LBB94_65:
	s_or_b64 exec, exec, s[12:13]
	v_mov_b32_e32 v91, 0
	ds_read_b64 v[92:93], v91 offset:184
	s_waitcnt lgkmcnt(0)
	v_mul_f64 v[64:65], v[64:65], v[92:93]
	buffer_store_dword v65, off, s[0:3], 0 offset:188
	buffer_store_dword v64, off, s[0:3], 0 offset:184
.LBB94_66:
	s_or_b64 exec, exec, s[10:11]
	buffer_load_dword v64, off, s[0:3], 0 offset:176
	buffer_load_dword v65, off, s[0:3], 0 offset:180
	v_cmp_lt_u32_e64 s[6:7], 22, v0
	s_waitcnt vmcnt(0)
	ds_write_b64 v66, v[64:65]
	s_waitcnt lgkmcnt(0)
	; wave barrier
	s_waitcnt lgkmcnt(0)
	s_and_saveexec_b64 s[10:11], s[6:7]
	s_cbranch_execz .LBB94_76
; %bb.67:
	s_andn2_b64 vcc, exec, s[8:9]
	s_cbranch_vccnz .LBB94_69
; %bb.68:
	buffer_load_dword v64, v67, s[0:3], 0 offen
	buffer_load_dword v65, v67, s[0:3], 0 offen offset:4
	ds_read_b64 v[92:93], v66
	s_waitcnt vmcnt(0) lgkmcnt(0)
	v_mul_f64 v[64:65], v[64:65], v[92:93]
	s_cbranch_execz .LBB94_70
	s_branch .LBB94_71
.LBB94_69:
                                        ; implicit-def: $vgpr64_vgpr65
.LBB94_70:
	ds_read_b64 v[64:65], v66
.LBB94_71:
	s_and_saveexec_b64 s[12:13], s[4:5]
	s_cbranch_execz .LBB94_75
; %bb.72:
	v_subrev_u32_e32 v91, 23, v0
	s_movk_i32 s14, 0x1b8
	s_mov_b64 s[4:5], 0
.LBB94_73:                              ; =>This Inner Loop Header: Depth=1
	buffer_load_dword v92, v90, s[0:3], 0 offen
	buffer_load_dword v93, v90, s[0:3], 0 offen offset:4
	v_mov_b32_e32 v94, s14
	ds_read_b64 v[94:95], v94
	v_add_u32_e32 v91, -1, v91
	s_add_i32 s14, s14, 8
	v_cmp_eq_u32_e32 vcc, 0, v91
	v_add_u32_e32 v90, 8, v90
	s_or_b64 s[4:5], vcc, s[4:5]
	s_waitcnt vmcnt(0) lgkmcnt(0)
	v_fmac_f64_e32 v[64:65], v[92:93], v[94:95]
	s_andn2_b64 exec, exec, s[4:5]
	s_cbranch_execnz .LBB94_73
; %bb.74:
	s_or_b64 exec, exec, s[4:5]
.LBB94_75:
	s_or_b64 exec, exec, s[12:13]
	v_mov_b32_e32 v90, 0
	ds_read_b64 v[90:91], v90 offset:176
	s_waitcnt lgkmcnt(0)
	v_mul_f64 v[64:65], v[64:65], v[90:91]
	buffer_store_dword v65, off, s[0:3], 0 offset:180
	buffer_store_dword v64, off, s[0:3], 0 offset:176
.LBB94_76:
	s_or_b64 exec, exec, s[10:11]
	buffer_load_dword v64, off, s[0:3], 0 offset:168
	buffer_load_dword v65, off, s[0:3], 0 offset:172
	v_cmp_lt_u32_e64 s[4:5], 21, v0
	s_waitcnt vmcnt(0)
	ds_write_b64 v66, v[64:65]
	s_waitcnt lgkmcnt(0)
	; wave barrier
	s_waitcnt lgkmcnt(0)
	s_and_saveexec_b64 s[10:11], s[4:5]
	s_cbranch_execz .LBB94_86
; %bb.77:
	s_andn2_b64 vcc, exec, s[8:9]
	s_cbranch_vccnz .LBB94_79
; %bb.78:
	buffer_load_dword v64, v67, s[0:3], 0 offen
	buffer_load_dword v65, v67, s[0:3], 0 offen offset:4
	ds_read_b64 v[90:91], v66
	s_waitcnt vmcnt(0) lgkmcnt(0)
	v_mul_f64 v[64:65], v[64:65], v[90:91]
	s_cbranch_execz .LBB94_80
	s_branch .LBB94_81
.LBB94_79:
                                        ; implicit-def: $vgpr64_vgpr65
.LBB94_80:
	ds_read_b64 v[64:65], v66
.LBB94_81:
	s_and_saveexec_b64 s[12:13], s[6:7]
	s_cbranch_execz .LBB94_85
; %bb.82:
	v_subrev_u32_e32 v90, 22, v0
	s_movk_i32 s14, 0x1b0
	s_mov_b64 s[6:7], 0
.LBB94_83:                              ; =>This Inner Loop Header: Depth=1
	buffer_load_dword v92, v89, s[0:3], 0 offen
	buffer_load_dword v93, v89, s[0:3], 0 offen offset:4
	v_mov_b32_e32 v91, s14
	ds_read_b64 v[94:95], v91
	v_add_u32_e32 v90, -1, v90
	s_add_i32 s14, s14, 8
	v_cmp_eq_u32_e32 vcc, 0, v90
	v_add_u32_e32 v89, 8, v89
	s_or_b64 s[6:7], vcc, s[6:7]
	s_waitcnt vmcnt(0) lgkmcnt(0)
	v_fmac_f64_e32 v[64:65], v[92:93], v[94:95]
	s_andn2_b64 exec, exec, s[6:7]
	s_cbranch_execnz .LBB94_83
; %bb.84:
	s_or_b64 exec, exec, s[6:7]
.LBB94_85:
	s_or_b64 exec, exec, s[12:13]
	v_mov_b32_e32 v89, 0
	ds_read_b64 v[90:91], v89 offset:168
	s_waitcnt lgkmcnt(0)
	v_mul_f64 v[64:65], v[64:65], v[90:91]
	buffer_store_dword v65, off, s[0:3], 0 offset:172
	buffer_store_dword v64, off, s[0:3], 0 offset:168
.LBB94_86:
	s_or_b64 exec, exec, s[10:11]
	buffer_load_dword v64, off, s[0:3], 0 offset:160
	buffer_load_dword v65, off, s[0:3], 0 offset:164
	v_cmp_lt_u32_e64 s[6:7], 20, v0
	s_waitcnt vmcnt(0)
	ds_write_b64 v66, v[64:65]
	s_waitcnt lgkmcnt(0)
	; wave barrier
	s_waitcnt lgkmcnt(0)
	s_and_saveexec_b64 s[10:11], s[6:7]
	s_cbranch_execz .LBB94_96
; %bb.87:
	s_andn2_b64 vcc, exec, s[8:9]
	s_cbranch_vccnz .LBB94_89
; %bb.88:
	buffer_load_dword v64, v67, s[0:3], 0 offen
	buffer_load_dword v65, v67, s[0:3], 0 offen offset:4
	ds_read_b64 v[90:91], v66
	s_waitcnt vmcnt(0) lgkmcnt(0)
	v_mul_f64 v[64:65], v[64:65], v[90:91]
	s_cbranch_execz .LBB94_90
	s_branch .LBB94_91
.LBB94_89:
                                        ; implicit-def: $vgpr64_vgpr65
.LBB94_90:
	ds_read_b64 v[64:65], v66
.LBB94_91:
	s_and_saveexec_b64 s[12:13], s[4:5]
	s_cbranch_execz .LBB94_95
; %bb.92:
	v_subrev_u32_e32 v89, 21, v0
	s_movk_i32 s14, 0x1a8
	s_mov_b64 s[4:5], 0
.LBB94_93:                              ; =>This Inner Loop Header: Depth=1
	buffer_load_dword v90, v88, s[0:3], 0 offen
	buffer_load_dword v91, v88, s[0:3], 0 offen offset:4
	v_mov_b32_e32 v92, s14
	ds_read_b64 v[92:93], v92
	v_add_u32_e32 v89, -1, v89
	s_add_i32 s14, s14, 8
	v_cmp_eq_u32_e32 vcc, 0, v89
	v_add_u32_e32 v88, 8, v88
	s_or_b64 s[4:5], vcc, s[4:5]
	s_waitcnt vmcnt(0) lgkmcnt(0)
	v_fmac_f64_e32 v[64:65], v[90:91], v[92:93]
	s_andn2_b64 exec, exec, s[4:5]
	s_cbranch_execnz .LBB94_93
; %bb.94:
	s_or_b64 exec, exec, s[4:5]
.LBB94_95:
	s_or_b64 exec, exec, s[12:13]
	v_mov_b32_e32 v88, 0
	ds_read_b64 v[88:89], v88 offset:160
	s_waitcnt lgkmcnt(0)
	v_mul_f64 v[64:65], v[64:65], v[88:89]
	buffer_store_dword v65, off, s[0:3], 0 offset:164
	buffer_store_dword v64, off, s[0:3], 0 offset:160
.LBB94_96:
	s_or_b64 exec, exec, s[10:11]
	buffer_load_dword v64, off, s[0:3], 0 offset:152
	buffer_load_dword v65, off, s[0:3], 0 offset:156
	v_cmp_lt_u32_e64 s[4:5], 19, v0
	s_waitcnt vmcnt(0)
	ds_write_b64 v66, v[64:65]
	s_waitcnt lgkmcnt(0)
	; wave barrier
	s_waitcnt lgkmcnt(0)
	s_and_saveexec_b64 s[10:11], s[4:5]
	s_cbranch_execz .LBB94_106
; %bb.97:
	s_andn2_b64 vcc, exec, s[8:9]
	s_cbranch_vccnz .LBB94_99
; %bb.98:
	buffer_load_dword v64, v67, s[0:3], 0 offen
	buffer_load_dword v65, v67, s[0:3], 0 offen offset:4
	ds_read_b64 v[88:89], v66
	s_waitcnt vmcnt(0) lgkmcnt(0)
	v_mul_f64 v[64:65], v[64:65], v[88:89]
	s_cbranch_execz .LBB94_100
	s_branch .LBB94_101
.LBB94_99:
                                        ; implicit-def: $vgpr64_vgpr65
.LBB94_100:
	ds_read_b64 v[64:65], v66
.LBB94_101:
	s_and_saveexec_b64 s[12:13], s[6:7]
	s_cbranch_execz .LBB94_105
; %bb.102:
	v_subrev_u32_e32 v88, 20, v0
	s_movk_i32 s14, 0x1a0
	s_mov_b64 s[6:7], 0
.LBB94_103:                             ; =>This Inner Loop Header: Depth=1
	buffer_load_dword v90, v87, s[0:3], 0 offen
	buffer_load_dword v91, v87, s[0:3], 0 offen offset:4
	v_mov_b32_e32 v89, s14
	ds_read_b64 v[92:93], v89
	v_add_u32_e32 v88, -1, v88
	s_add_i32 s14, s14, 8
	v_cmp_eq_u32_e32 vcc, 0, v88
	v_add_u32_e32 v87, 8, v87
	s_or_b64 s[6:7], vcc, s[6:7]
	s_waitcnt vmcnt(0) lgkmcnt(0)
	v_fmac_f64_e32 v[64:65], v[90:91], v[92:93]
	s_andn2_b64 exec, exec, s[6:7]
	s_cbranch_execnz .LBB94_103
; %bb.104:
	s_or_b64 exec, exec, s[6:7]
.LBB94_105:
	s_or_b64 exec, exec, s[12:13]
	v_mov_b32_e32 v87, 0
	ds_read_b64 v[88:89], v87 offset:152
	s_waitcnt lgkmcnt(0)
	v_mul_f64 v[64:65], v[64:65], v[88:89]
	buffer_store_dword v65, off, s[0:3], 0 offset:156
	buffer_store_dword v64, off, s[0:3], 0 offset:152
.LBB94_106:
	s_or_b64 exec, exec, s[10:11]
	buffer_load_dword v64, off, s[0:3], 0 offset:144
	buffer_load_dword v65, off, s[0:3], 0 offset:148
	v_cmp_lt_u32_e64 s[6:7], 18, v0
	s_waitcnt vmcnt(0)
	ds_write_b64 v66, v[64:65]
	s_waitcnt lgkmcnt(0)
	; wave barrier
	s_waitcnt lgkmcnt(0)
	s_and_saveexec_b64 s[10:11], s[6:7]
	s_cbranch_execz .LBB94_116
; %bb.107:
	s_andn2_b64 vcc, exec, s[8:9]
	s_cbranch_vccnz .LBB94_109
; %bb.108:
	buffer_load_dword v64, v67, s[0:3], 0 offen
	buffer_load_dword v65, v67, s[0:3], 0 offen offset:4
	ds_read_b64 v[88:89], v66
	s_waitcnt vmcnt(0) lgkmcnt(0)
	v_mul_f64 v[64:65], v[64:65], v[88:89]
	s_cbranch_execz .LBB94_110
	s_branch .LBB94_111
.LBB94_109:
                                        ; implicit-def: $vgpr64_vgpr65
.LBB94_110:
	ds_read_b64 v[64:65], v66
.LBB94_111:
	s_and_saveexec_b64 s[12:13], s[4:5]
	s_cbranch_execz .LBB94_115
; %bb.112:
	v_subrev_u32_e32 v87, 19, v0
	s_movk_i32 s14, 0x198
	s_mov_b64 s[4:5], 0
.LBB94_113:                             ; =>This Inner Loop Header: Depth=1
	buffer_load_dword v88, v86, s[0:3], 0 offen
	buffer_load_dword v89, v86, s[0:3], 0 offen offset:4
	v_mov_b32_e32 v90, s14
	ds_read_b64 v[90:91], v90
	v_add_u32_e32 v87, -1, v87
	s_add_i32 s14, s14, 8
	v_cmp_eq_u32_e32 vcc, 0, v87
	v_add_u32_e32 v86, 8, v86
	s_or_b64 s[4:5], vcc, s[4:5]
	s_waitcnt vmcnt(0) lgkmcnt(0)
	v_fmac_f64_e32 v[64:65], v[88:89], v[90:91]
	s_andn2_b64 exec, exec, s[4:5]
	s_cbranch_execnz .LBB94_113
; %bb.114:
	s_or_b64 exec, exec, s[4:5]
.LBB94_115:
	s_or_b64 exec, exec, s[12:13]
	v_mov_b32_e32 v86, 0
	ds_read_b64 v[86:87], v86 offset:144
	s_waitcnt lgkmcnt(0)
	v_mul_f64 v[64:65], v[64:65], v[86:87]
	buffer_store_dword v65, off, s[0:3], 0 offset:148
	buffer_store_dword v64, off, s[0:3], 0 offset:144
.LBB94_116:
	;; [unrolled: 58-line block ×4, first 2 shown]
	s_or_b64 exec, exec, s[10:11]
	buffer_load_dword v64, off, s[0:3], 0 offset:120
	buffer_load_dword v65, off, s[0:3], 0 offset:124
	v_cmp_lt_u32_e64 s[4:5], 15, v0
	s_waitcnt vmcnt(0)
	ds_write_b64 v66, v[64:65]
	s_waitcnt lgkmcnt(0)
	; wave barrier
	s_waitcnt lgkmcnt(0)
	s_and_saveexec_b64 s[10:11], s[4:5]
	s_cbranch_execz .LBB94_146
; %bb.137:
	s_andn2_b64 vcc, exec, s[8:9]
	s_cbranch_vccnz .LBB94_139
; %bb.138:
	buffer_load_dword v64, v67, s[0:3], 0 offen
	buffer_load_dword v65, v67, s[0:3], 0 offen offset:4
	ds_read_b64 v[84:85], v66
	s_waitcnt vmcnt(0) lgkmcnt(0)
	v_mul_f64 v[64:65], v[64:65], v[84:85]
	s_cbranch_execz .LBB94_140
	s_branch .LBB94_141
.LBB94_139:
                                        ; implicit-def: $vgpr64_vgpr65
.LBB94_140:
	ds_read_b64 v[64:65], v66
.LBB94_141:
	s_and_saveexec_b64 s[12:13], s[6:7]
	s_cbranch_execz .LBB94_145
; %bb.142:
	v_add_u32_e32 v84, -16, v0
	s_movk_i32 s14, 0x180
	s_mov_b64 s[6:7], 0
.LBB94_143:                             ; =>This Inner Loop Header: Depth=1
	buffer_load_dword v86, v83, s[0:3], 0 offen
	buffer_load_dword v87, v83, s[0:3], 0 offen offset:4
	v_mov_b32_e32 v85, s14
	ds_read_b64 v[88:89], v85
	v_add_u32_e32 v84, -1, v84
	s_add_i32 s14, s14, 8
	v_cmp_eq_u32_e32 vcc, 0, v84
	v_add_u32_e32 v83, 8, v83
	s_or_b64 s[6:7], vcc, s[6:7]
	s_waitcnt vmcnt(0) lgkmcnt(0)
	v_fmac_f64_e32 v[64:65], v[86:87], v[88:89]
	s_andn2_b64 exec, exec, s[6:7]
	s_cbranch_execnz .LBB94_143
; %bb.144:
	s_or_b64 exec, exec, s[6:7]
.LBB94_145:
	s_or_b64 exec, exec, s[12:13]
	v_mov_b32_e32 v83, 0
	ds_read_b64 v[84:85], v83 offset:120
	s_waitcnt lgkmcnt(0)
	v_mul_f64 v[64:65], v[64:65], v[84:85]
	buffer_store_dword v65, off, s[0:3], 0 offset:124
	buffer_store_dword v64, off, s[0:3], 0 offset:120
.LBB94_146:
	s_or_b64 exec, exec, s[10:11]
	buffer_load_dword v64, off, s[0:3], 0 offset:112
	buffer_load_dword v65, off, s[0:3], 0 offset:116
	v_cmp_lt_u32_e64 s[6:7], 14, v0
	s_waitcnt vmcnt(0)
	ds_write_b64 v66, v[64:65]
	s_waitcnt lgkmcnt(0)
	; wave barrier
	s_waitcnt lgkmcnt(0)
	s_and_saveexec_b64 s[10:11], s[6:7]
	s_cbranch_execz .LBB94_156
; %bb.147:
	s_andn2_b64 vcc, exec, s[8:9]
	s_cbranch_vccnz .LBB94_149
; %bb.148:
	buffer_load_dword v64, v67, s[0:3], 0 offen
	buffer_load_dword v65, v67, s[0:3], 0 offen offset:4
	ds_read_b64 v[84:85], v66
	s_waitcnt vmcnt(0) lgkmcnt(0)
	v_mul_f64 v[64:65], v[64:65], v[84:85]
	s_cbranch_execz .LBB94_150
	s_branch .LBB94_151
.LBB94_149:
                                        ; implicit-def: $vgpr64_vgpr65
.LBB94_150:
	ds_read_b64 v[64:65], v66
.LBB94_151:
	s_and_saveexec_b64 s[12:13], s[4:5]
	s_cbranch_execz .LBB94_155
; %bb.152:
	v_add_u32_e32 v83, -15, v0
	s_movk_i32 s14, 0x178
	s_mov_b64 s[4:5], 0
.LBB94_153:                             ; =>This Inner Loop Header: Depth=1
	buffer_load_dword v84, v82, s[0:3], 0 offen
	buffer_load_dword v85, v82, s[0:3], 0 offen offset:4
	v_mov_b32_e32 v86, s14
	ds_read_b64 v[86:87], v86
	v_add_u32_e32 v83, -1, v83
	s_add_i32 s14, s14, 8
	v_cmp_eq_u32_e32 vcc, 0, v83
	v_add_u32_e32 v82, 8, v82
	s_or_b64 s[4:5], vcc, s[4:5]
	s_waitcnt vmcnt(0) lgkmcnt(0)
	v_fmac_f64_e32 v[64:65], v[84:85], v[86:87]
	s_andn2_b64 exec, exec, s[4:5]
	s_cbranch_execnz .LBB94_153
; %bb.154:
	s_or_b64 exec, exec, s[4:5]
.LBB94_155:
	s_or_b64 exec, exec, s[12:13]
	v_mov_b32_e32 v82, 0
	ds_read_b64 v[82:83], v82 offset:112
	s_waitcnt lgkmcnt(0)
	v_mul_f64 v[64:65], v[64:65], v[82:83]
	buffer_store_dword v65, off, s[0:3], 0 offset:116
	buffer_store_dword v64, off, s[0:3], 0 offset:112
.LBB94_156:
	;; [unrolled: 58-line block ×15, first 2 shown]
	s_or_b64 exec, exec, s[10:11]
	buffer_load_dword v64, off, s[0:3], 0
	buffer_load_dword v65, off, s[0:3], 0 offset:4
	v_cmp_ne_u32_e32 vcc, 0, v0
	s_waitcnt vmcnt(0)
	ds_write_b64 v66, v[64:65]
	s_waitcnt lgkmcnt(0)
	; wave barrier
	s_waitcnt lgkmcnt(0)
	s_and_saveexec_b64 s[6:7], vcc
	s_cbranch_execz .LBB94_296
; %bb.287:
	s_andn2_b64 vcc, exec, s[8:9]
	s_cbranch_vccnz .LBB94_289
; %bb.288:
	buffer_load_dword v64, v67, s[0:3], 0 offen
	buffer_load_dword v65, v67, s[0:3], 0 offen offset:4
	ds_read_b64 v[70:71], v66
	s_waitcnt vmcnt(0) lgkmcnt(0)
	v_mul_f64 v[64:65], v[64:65], v[70:71]
	s_cbranch_execz .LBB94_290
	s_branch .LBB94_291
.LBB94_289:
                                        ; implicit-def: $vgpr64_vgpr65
.LBB94_290:
	ds_read_b64 v[64:65], v66
.LBB94_291:
	s_and_saveexec_b64 s[10:11], s[4:5]
	s_cbranch_execz .LBB94_295
; %bb.292:
	v_add_u32_e32 v69, -1, v0
	s_movk_i32 s12, 0x108
	s_mov_b64 s[4:5], 0
.LBB94_293:                             ; =>This Inner Loop Header: Depth=1
	buffer_load_dword v70, v68, s[0:3], 0 offen
	buffer_load_dword v71, v68, s[0:3], 0 offen offset:4
	v_mov_b32_e32 v72, s12
	ds_read_b64 v[72:73], v72
	v_add_u32_e32 v69, -1, v69
	s_add_i32 s12, s12, 8
	v_cmp_eq_u32_e32 vcc, 0, v69
	v_add_u32_e32 v68, 8, v68
	s_or_b64 s[4:5], vcc, s[4:5]
	s_waitcnt vmcnt(0) lgkmcnt(0)
	v_fmac_f64_e32 v[64:65], v[70:71], v[72:73]
	s_andn2_b64 exec, exec, s[4:5]
	s_cbranch_execnz .LBB94_293
; %bb.294:
	s_or_b64 exec, exec, s[4:5]
.LBB94_295:
	s_or_b64 exec, exec, s[10:11]
	v_mov_b32_e32 v68, 0
	ds_read_b64 v[68:69], v68
	s_waitcnt lgkmcnt(0)
	v_mul_f64 v[64:65], v[64:65], v[68:69]
	buffer_store_dword v65, off, s[0:3], 0 offset:4
	buffer_store_dword v64, off, s[0:3], 0
.LBB94_296:
	s_or_b64 exec, exec, s[6:7]
	s_mov_b64 s[4:5], 0
.LBB94_297:
	s_and_b64 vcc, exec, s[4:5]
	s_cbranch_vccz .LBB94_591
; %bb.298:
	buffer_load_dword v64, off, s[0:3], 0 offset:8
	buffer_load_dword v65, off, s[0:3], 0 offset:12
	v_cmp_eq_u32_e64 s[6:7], 0, v0
	s_waitcnt vmcnt(0)
	ds_write_b64 v66, v[64:65]
	s_waitcnt lgkmcnt(0)
	; wave barrier
	s_waitcnt lgkmcnt(0)
	s_and_saveexec_b64 s[4:5], s[6:7]
	s_cbranch_execz .LBB94_304
; %bb.299:
	s_and_b64 vcc, exec, s[8:9]
	s_cbranch_vccz .LBB94_301
; %bb.300:
	buffer_load_dword v64, v67, s[0:3], 0 offen
	buffer_load_dword v65, v67, s[0:3], 0 offen offset:4
	ds_read_b64 v[68:69], v66
	s_waitcnt vmcnt(0) lgkmcnt(0)
	v_mul_f64 v[64:65], v[64:65], v[68:69]
	s_cbranch_execz .LBB94_302
	s_branch .LBB94_303
.LBB94_301:
                                        ; implicit-def: $vgpr64_vgpr65
.LBB94_302:
	ds_read_b64 v[64:65], v66
.LBB94_303:
	v_mov_b32_e32 v68, 0
	ds_read_b64 v[68:69], v68 offset:8
	s_waitcnt lgkmcnt(0)
	v_mul_f64 v[64:65], v[64:65], v[68:69]
	buffer_store_dword v65, off, s[0:3], 0 offset:12
	buffer_store_dword v64, off, s[0:3], 0 offset:8
.LBB94_304:
	s_or_b64 exec, exec, s[4:5]
	buffer_load_dword v64, off, s[0:3], 0 offset:16
	buffer_load_dword v65, off, s[0:3], 0 offset:20
	v_cndmask_b32_e64 v68, 0, 1, s[8:9]
	v_cmp_gt_u32_e32 vcc, 2, v0
	v_cmp_ne_u32_e64 s[4:5], 1, v68
	s_waitcnt vmcnt(0)
	ds_write_b64 v66, v[64:65]
	s_waitcnt lgkmcnt(0)
	; wave barrier
	s_waitcnt lgkmcnt(0)
	s_and_saveexec_b64 s[8:9], vcc
	s_cbranch_execz .LBB94_312
; %bb.305:
	s_and_b64 vcc, exec, s[4:5]
	s_cbranch_vccnz .LBB94_307
; %bb.306:
	buffer_load_dword v64, v67, s[0:3], 0 offen
	buffer_load_dword v65, v67, s[0:3], 0 offen offset:4
	ds_read_b64 v[68:69], v66
	s_waitcnt vmcnt(0) lgkmcnt(0)
	v_mul_f64 v[64:65], v[64:65], v[68:69]
	s_cbranch_execz .LBB94_308
	s_branch .LBB94_309
.LBB94_307:
                                        ; implicit-def: $vgpr64_vgpr65
.LBB94_308:
	ds_read_b64 v[64:65], v66
.LBB94_309:
	s_and_saveexec_b64 s[10:11], s[6:7]
	s_cbranch_execz .LBB94_311
; %bb.310:
	buffer_load_dword v68, v67, s[0:3], 0 offen offset:8
	buffer_load_dword v69, v67, s[0:3], 0 offen offset:12
	ds_read_b64 v[70:71], v66 offset:8
	s_waitcnt vmcnt(0) lgkmcnt(0)
	v_fmac_f64_e32 v[64:65], v[68:69], v[70:71]
.LBB94_311:
	s_or_b64 exec, exec, s[10:11]
	v_mov_b32_e32 v68, 0
	ds_read_b64 v[68:69], v68 offset:16
	s_waitcnt lgkmcnt(0)
	v_mul_f64 v[64:65], v[64:65], v[68:69]
	buffer_store_dword v65, off, s[0:3], 0 offset:20
	buffer_store_dword v64, off, s[0:3], 0 offset:16
.LBB94_312:
	s_or_b64 exec, exec, s[8:9]
	buffer_load_dword v64, off, s[0:3], 0 offset:24
	buffer_load_dword v65, off, s[0:3], 0 offset:28
	v_cmp_gt_u32_e32 vcc, 3, v0
	s_waitcnt vmcnt(0)
	ds_write_b64 v66, v[64:65]
	s_waitcnt lgkmcnt(0)
	; wave barrier
	s_waitcnt lgkmcnt(0)
	s_and_saveexec_b64 s[8:9], vcc
	s_cbranch_execz .LBB94_320
; %bb.313:
	s_and_b64 vcc, exec, s[4:5]
	s_cbranch_vccnz .LBB94_315
; %bb.314:
	buffer_load_dword v64, v67, s[0:3], 0 offen
	buffer_load_dword v65, v67, s[0:3], 0 offen offset:4
	ds_read_b64 v[68:69], v66
	s_waitcnt vmcnt(0) lgkmcnt(0)
	v_mul_f64 v[64:65], v[64:65], v[68:69]
	s_cbranch_execz .LBB94_316
	s_branch .LBB94_317
.LBB94_315:
                                        ; implicit-def: $vgpr64_vgpr65
.LBB94_316:
	ds_read_b64 v[64:65], v66
.LBB94_317:
	v_cmp_ne_u32_e32 vcc, 2, v0
	s_and_saveexec_b64 s[10:11], vcc
	s_cbranch_execz .LBB94_319
; %bb.318:
	buffer_load_dword v69, v67, s[0:3], 0 offen offset:12
	buffer_load_dword v70, off, s[0:3], 0 offset:16
	buffer_load_dword v68, v67, s[0:3], 0 offen offset:8
	buffer_load_dword v71, off, s[0:3], 0 offset:20
	v_mov_b32_e32 v74, 0
	ds_read_b64 v[72:73], v66 offset:8
	ds_read_b64 v[74:75], v74 offset:272
	s_waitcnt vmcnt(1) lgkmcnt(1)
	v_fmac_f64_e32 v[64:65], v[68:69], v[72:73]
	s_waitcnt vmcnt(0) lgkmcnt(0)
	v_fma_f64 v[68:69], v[70:71], v[74:75], v[64:65]
	v_cndmask_b32_e64 v65, v65, v69, s[6:7]
	v_cndmask_b32_e64 v64, v64, v68, s[6:7]
.LBB94_319:
	s_or_b64 exec, exec, s[10:11]
	v_mov_b32_e32 v68, 0
	ds_read_b64 v[68:69], v68 offset:24
	s_waitcnt lgkmcnt(0)
	v_mul_f64 v[64:65], v[64:65], v[68:69]
	buffer_store_dword v65, off, s[0:3], 0 offset:28
	buffer_store_dword v64, off, s[0:3], 0 offset:24
.LBB94_320:
	s_or_b64 exec, exec, s[8:9]
	buffer_load_dword v64, off, s[0:3], 0 offset:32
	buffer_load_dword v65, off, s[0:3], 0 offset:36
	v_cmp_gt_u32_e32 vcc, 4, v0
	s_waitcnt vmcnt(0)
	ds_write_b64 v66, v[64:65]
	s_waitcnt lgkmcnt(0)
	; wave barrier
	s_waitcnt lgkmcnt(0)
	s_and_saveexec_b64 s[6:7], vcc
	s_cbranch_execz .LBB94_330
; %bb.321:
	s_and_b64 vcc, exec, s[4:5]
	s_cbranch_vccnz .LBB94_323
; %bb.322:
	buffer_load_dword v64, v67, s[0:3], 0 offen
	buffer_load_dword v65, v67, s[0:3], 0 offen offset:4
	ds_read_b64 v[68:69], v66
	s_waitcnt vmcnt(0) lgkmcnt(0)
	v_mul_f64 v[64:65], v[64:65], v[68:69]
	s_cbranch_execz .LBB94_324
	s_branch .LBB94_325
.LBB94_323:
                                        ; implicit-def: $vgpr64_vgpr65
.LBB94_324:
	ds_read_b64 v[64:65], v66
.LBB94_325:
	v_cmp_ne_u32_e32 vcc, 3, v0
	s_and_saveexec_b64 s[8:9], vcc
	s_cbranch_execz .LBB94_329
; %bb.326:
	v_mov_b32_e32 v69, 0
	v_add_u32_e32 v68, 0x108, v1
	v_add3_u32 v69, v1, v69, 8
	s_mov_b64 s[10:11], 0
	v_mov_b32_e32 v70, v0
.LBB94_327:                             ; =>This Inner Loop Header: Depth=1
	buffer_load_dword v72, v69, s[0:3], 0 offen
	buffer_load_dword v73, v69, s[0:3], 0 offen offset:4
	ds_read_b64 v[74:75], v68
	v_add_u32_e32 v70, 1, v70
	v_cmp_lt_u32_e32 vcc, 2, v70
	v_add_u32_e32 v68, 8, v68
	v_add_u32_e32 v69, 8, v69
	s_or_b64 s[10:11], vcc, s[10:11]
	s_waitcnt vmcnt(0) lgkmcnt(0)
	v_fmac_f64_e32 v[64:65], v[72:73], v[74:75]
	s_andn2_b64 exec, exec, s[10:11]
	s_cbranch_execnz .LBB94_327
; %bb.328:
	s_or_b64 exec, exec, s[10:11]
.LBB94_329:
	s_or_b64 exec, exec, s[8:9]
	v_mov_b32_e32 v68, 0
	ds_read_b64 v[68:69], v68 offset:32
	s_waitcnt lgkmcnt(0)
	v_mul_f64 v[64:65], v[64:65], v[68:69]
	buffer_store_dword v65, off, s[0:3], 0 offset:36
	buffer_store_dword v64, off, s[0:3], 0 offset:32
.LBB94_330:
	s_or_b64 exec, exec, s[6:7]
	buffer_load_dword v64, off, s[0:3], 0 offset:40
	buffer_load_dword v65, off, s[0:3], 0 offset:44
	v_cmp_gt_u32_e32 vcc, 5, v0
	s_waitcnt vmcnt(0)
	ds_write_b64 v66, v[64:65]
	s_waitcnt lgkmcnt(0)
	; wave barrier
	s_waitcnt lgkmcnt(0)
	s_and_saveexec_b64 s[6:7], vcc
	s_cbranch_execz .LBB94_340
; %bb.331:
	s_and_b64 vcc, exec, s[4:5]
	s_cbranch_vccnz .LBB94_333
; %bb.332:
	buffer_load_dword v64, v67, s[0:3], 0 offen
	buffer_load_dword v65, v67, s[0:3], 0 offen offset:4
	ds_read_b64 v[68:69], v66
	s_waitcnt vmcnt(0) lgkmcnt(0)
	v_mul_f64 v[64:65], v[64:65], v[68:69]
	s_cbranch_execz .LBB94_334
	s_branch .LBB94_335
.LBB94_333:
                                        ; implicit-def: $vgpr64_vgpr65
.LBB94_334:
	ds_read_b64 v[64:65], v66
.LBB94_335:
	v_cmp_ne_u32_e32 vcc, 4, v0
	s_and_saveexec_b64 s[8:9], vcc
	s_cbranch_execz .LBB94_339
; %bb.336:
	v_mov_b32_e32 v69, 0
	v_add_u32_e32 v68, 0x108, v1
	v_add3_u32 v69, v1, v69, 8
	s_mov_b64 s[10:11], 0
	v_mov_b32_e32 v70, v0
.LBB94_337:                             ; =>This Inner Loop Header: Depth=1
	buffer_load_dword v72, v69, s[0:3], 0 offen
	buffer_load_dword v73, v69, s[0:3], 0 offen offset:4
	ds_read_b64 v[74:75], v68
	v_add_u32_e32 v70, 1, v70
	v_cmp_lt_u32_e32 vcc, 3, v70
	v_add_u32_e32 v68, 8, v68
	v_add_u32_e32 v69, 8, v69
	s_or_b64 s[10:11], vcc, s[10:11]
	s_waitcnt vmcnt(0) lgkmcnt(0)
	v_fmac_f64_e32 v[64:65], v[72:73], v[74:75]
	s_andn2_b64 exec, exec, s[10:11]
	s_cbranch_execnz .LBB94_337
; %bb.338:
	s_or_b64 exec, exec, s[10:11]
.LBB94_339:
	s_or_b64 exec, exec, s[8:9]
	v_mov_b32_e32 v68, 0
	ds_read_b64 v[68:69], v68 offset:40
	s_waitcnt lgkmcnt(0)
	v_mul_f64 v[64:65], v[64:65], v[68:69]
	buffer_store_dword v65, off, s[0:3], 0 offset:44
	buffer_store_dword v64, off, s[0:3], 0 offset:40
.LBB94_340:
	;; [unrolled: 60-line block ×25, first 2 shown]
	s_or_b64 exec, exec, s[6:7]
	buffer_load_dword v64, off, s[0:3], 0 offset:232
	buffer_load_dword v65, off, s[0:3], 0 offset:236
	v_cmp_gt_u32_e64 s[6:7], 29, v0
	s_waitcnt vmcnt(0)
	ds_write_b64 v66, v[64:65]
	s_waitcnt lgkmcnt(0)
	; wave barrier
	s_waitcnt lgkmcnt(0)
	s_and_saveexec_b64 s[8:9], s[6:7]
	s_cbranch_execz .LBB94_580
; %bb.571:
	s_and_b64 vcc, exec, s[4:5]
	s_cbranch_vccnz .LBB94_573
; %bb.572:
	buffer_load_dword v64, v67, s[0:3], 0 offen
	buffer_load_dword v65, v67, s[0:3], 0 offen offset:4
	ds_read_b64 v[68:69], v66
	s_waitcnt vmcnt(0) lgkmcnt(0)
	v_mul_f64 v[64:65], v[64:65], v[68:69]
	s_cbranch_execz .LBB94_574
	s_branch .LBB94_575
.LBB94_573:
                                        ; implicit-def: $vgpr64_vgpr65
.LBB94_574:
	ds_read_b64 v[64:65], v66
.LBB94_575:
	v_cmp_ne_u32_e32 vcc, 28, v0
	s_and_saveexec_b64 s[10:11], vcc
	s_cbranch_execz .LBB94_579
; %bb.576:
	v_mov_b32_e32 v69, 0
	v_add_u32_e32 v68, 0x108, v1
	v_add3_u32 v69, v1, v69, 8
	s_mov_b64 s[12:13], 0
	v_mov_b32_e32 v70, v0
.LBB94_577:                             ; =>This Inner Loop Header: Depth=1
	buffer_load_dword v72, v69, s[0:3], 0 offen
	buffer_load_dword v73, v69, s[0:3], 0 offen offset:4
	ds_read_b64 v[74:75], v68
	v_add_u32_e32 v70, 1, v70
	v_cmp_lt_u32_e32 vcc, 27, v70
	v_add_u32_e32 v68, 8, v68
	v_add_u32_e32 v69, 8, v69
	s_or_b64 s[12:13], vcc, s[12:13]
	s_waitcnt vmcnt(0) lgkmcnt(0)
	v_fmac_f64_e32 v[64:65], v[72:73], v[74:75]
	s_andn2_b64 exec, exec, s[12:13]
	s_cbranch_execnz .LBB94_577
; %bb.578:
	s_or_b64 exec, exec, s[12:13]
.LBB94_579:
	s_or_b64 exec, exec, s[10:11]
	v_mov_b32_e32 v68, 0
	ds_read_b64 v[68:69], v68 offset:232
	s_waitcnt lgkmcnt(0)
	v_mul_f64 v[64:65], v[64:65], v[68:69]
	buffer_store_dword v65, off, s[0:3], 0 offset:236
	buffer_store_dword v64, off, s[0:3], 0 offset:232
.LBB94_580:
	s_or_b64 exec, exec, s[8:9]
	buffer_load_dword v64, off, s[0:3], 0 offset:240
	buffer_load_dword v65, off, s[0:3], 0 offset:244
	v_cmp_ne_u32_e32 vcc, 30, v0
	s_waitcnt vmcnt(0)
	ds_write_b64 v66, v[64:65]
	s_waitcnt lgkmcnt(0)
	; wave barrier
	s_waitcnt lgkmcnt(0)
	s_and_saveexec_b64 s[8:9], vcc
	s_cbranch_execz .LBB94_590
; %bb.581:
	s_and_b64 vcc, exec, s[4:5]
	s_cbranch_vccnz .LBB94_583
; %bb.582:
	buffer_load_dword v64, v67, s[0:3], 0 offen
	buffer_load_dword v65, v67, s[0:3], 0 offen offset:4
	ds_read_b64 v[68:69], v66
	s_waitcnt vmcnt(0) lgkmcnt(0)
	v_mul_f64 v[64:65], v[64:65], v[68:69]
	s_cbranch_execz .LBB94_584
	s_branch .LBB94_585
.LBB94_583:
                                        ; implicit-def: $vgpr64_vgpr65
.LBB94_584:
	ds_read_b64 v[64:65], v66
.LBB94_585:
	s_and_saveexec_b64 s[4:5], s[6:7]
	s_cbranch_execz .LBB94_589
; %bb.586:
	v_mov_b32_e32 v67, 0
	v_add_u32_e32 v66, 0x108, v1
	v_add3_u32 v1, v1, v67, 8
	s_mov_b64 s[6:7], 0
.LBB94_587:                             ; =>This Inner Loop Header: Depth=1
	buffer_load_dword v68, v1, s[0:3], 0 offen
	buffer_load_dword v69, v1, s[0:3], 0 offen offset:4
	ds_read_b64 v[70:71], v66
	v_add_u32_e32 v0, 1, v0
	v_cmp_lt_u32_e32 vcc, 28, v0
	v_add_u32_e32 v66, 8, v66
	v_add_u32_e32 v1, 8, v1
	s_or_b64 s[6:7], vcc, s[6:7]
	s_waitcnt vmcnt(0) lgkmcnt(0)
	v_fmac_f64_e32 v[64:65], v[68:69], v[70:71]
	s_andn2_b64 exec, exec, s[6:7]
	s_cbranch_execnz .LBB94_587
; %bb.588:
	s_or_b64 exec, exec, s[6:7]
.LBB94_589:
	s_or_b64 exec, exec, s[4:5]
	v_mov_b32_e32 v0, 0
	ds_read_b64 v[0:1], v0 offset:240
	s_waitcnt lgkmcnt(0)
	v_mul_f64 v[0:1], v[64:65], v[0:1]
	buffer_store_dword v1, off, s[0:3], 0 offset:244
	buffer_store_dword v0, off, s[0:3], 0 offset:240
.LBB94_590:
	s_or_b64 exec, exec, s[8:9]
.LBB94_591:
	buffer_load_dword v0, off, s[0:3], 0
	buffer_load_dword v1, off, s[0:3], 0 offset:4
	buffer_load_dword v64, off, s[0:3], 0 offset:8
	buffer_load_dword v65, off, s[0:3], 0 offset:12
	buffer_load_dword v66, off, s[0:3], 0 offset:16
	buffer_load_dword v67, off, s[0:3], 0 offset:20
	buffer_load_dword v68, off, s[0:3], 0 offset:24
	buffer_load_dword v69, off, s[0:3], 0 offset:28
	buffer_load_dword v70, off, s[0:3], 0 offset:32
	buffer_load_dword v71, off, s[0:3], 0 offset:36
	buffer_load_dword v72, off, s[0:3], 0 offset:40
	buffer_load_dword v73, off, s[0:3], 0 offset:44
	buffer_load_dword v74, off, s[0:3], 0 offset:48
	buffer_load_dword v75, off, s[0:3], 0 offset:52
	buffer_load_dword v76, off, s[0:3], 0 offset:56
	buffer_load_dword v77, off, s[0:3], 0 offset:60
	buffer_load_dword v78, off, s[0:3], 0 offset:72
	buffer_load_dword v79, off, s[0:3], 0 offset:76
	buffer_load_dword v80, off, s[0:3], 0 offset:80
	buffer_load_dword v81, off, s[0:3], 0 offset:84
	buffer_load_dword v82, off, s[0:3], 0 offset:88
	buffer_load_dword v83, off, s[0:3], 0 offset:92
	buffer_load_dword v85, off, s[0:3], 0 offset:68
	buffer_load_dword v84, off, s[0:3], 0 offset:64
	buffer_load_dword v86, off, s[0:3], 0 offset:96
	buffer_load_dword v87, off, s[0:3], 0 offset:100
	buffer_load_dword v88, off, s[0:3], 0 offset:104
	buffer_load_dword v89, off, s[0:3], 0 offset:108
	buffer_load_dword v90, off, s[0:3], 0 offset:112
	buffer_load_dword v91, off, s[0:3], 0 offset:116
	buffer_load_dword v92, off, s[0:3], 0 offset:120
	buffer_load_dword v93, off, s[0:3], 0 offset:124
	buffer_load_dword v94, off, s[0:3], 0 offset:128
	buffer_load_dword v95, off, s[0:3], 0 offset:132
	buffer_load_dword v96, off, s[0:3], 0 offset:136
	buffer_load_dword v97, off, s[0:3], 0 offset:140
	buffer_load_dword v98, off, s[0:3], 0 offset:144
	buffer_load_dword v99, off, s[0:3], 0 offset:148
	buffer_load_dword v100, off, s[0:3], 0 offset:152
	buffer_load_dword v101, off, s[0:3], 0 offset:156
	buffer_load_dword v102, off, s[0:3], 0 offset:160
	buffer_load_dword v103, off, s[0:3], 0 offset:164
	buffer_load_dword v104, off, s[0:3], 0 offset:168
	buffer_load_dword v105, off, s[0:3], 0 offset:172
	buffer_load_dword v106, off, s[0:3], 0 offset:176
	buffer_load_dword v107, off, s[0:3], 0 offset:180
	buffer_load_dword v108, off, s[0:3], 0 offset:184
	buffer_load_dword v109, off, s[0:3], 0 offset:188
	buffer_load_dword v110, off, s[0:3], 0 offset:192
	buffer_load_dword v111, off, s[0:3], 0 offset:196
	buffer_load_dword v112, off, s[0:3], 0 offset:200
	buffer_load_dword v113, off, s[0:3], 0 offset:204
	buffer_load_dword v114, off, s[0:3], 0 offset:208
	buffer_load_dword v115, off, s[0:3], 0 offset:212
	buffer_load_dword v116, off, s[0:3], 0 offset:216
	buffer_load_dword v117, off, s[0:3], 0 offset:220
	buffer_load_dword v118, off, s[0:3], 0 offset:224
	buffer_load_dword v119, off, s[0:3], 0 offset:228
	buffer_load_dword v120, off, s[0:3], 0 offset:232
	buffer_load_dword v121, off, s[0:3], 0 offset:236
	buffer_load_dword v122, off, s[0:3], 0 offset:240
	buffer_load_dword v123, off, s[0:3], 0 offset:244
	s_waitcnt vmcnt(60)
	global_store_dwordx2 v[54:55], v[0:1], off
	s_waitcnt vmcnt(59)
	global_store_dwordx2 v[56:57], v[64:65], off
	;; [unrolled: 2-line block ×9, first 2 shown]
	global_store_dwordx2 v[16:17], v[78:79], off
	global_store_dwordx2 v[18:19], v[80:81], off
	;; [unrolled: 1-line block ×3, first 2 shown]
	s_waitcnt vmcnt(48)
	global_store_dwordx2 v[22:23], v[86:87], off
	s_waitcnt vmcnt(47)
	global_store_dwordx2 v[24:25], v[88:89], off
	;; [unrolled: 2-line block ×19, first 2 shown]
.LBB94_592:
	s_endpgm
	.section	.rodata,"a",@progbits
	.p2align	6, 0x0
	.amdhsa_kernel _ZN9rocsolver6v33100L18trti2_kernel_smallILi31EdPKPdEEv13rocblas_fill_17rocblas_diagonal_T1_iil
		.amdhsa_group_segment_fixed_size 504
		.amdhsa_private_segment_fixed_size 256
		.amdhsa_kernarg_size 32
		.amdhsa_user_sgpr_count 8
		.amdhsa_user_sgpr_private_segment_buffer 1
		.amdhsa_user_sgpr_dispatch_ptr 0
		.amdhsa_user_sgpr_queue_ptr 0
		.amdhsa_user_sgpr_kernarg_segment_ptr 1
		.amdhsa_user_sgpr_dispatch_id 0
		.amdhsa_user_sgpr_flat_scratch_init 1
		.amdhsa_user_sgpr_kernarg_preload_length 0
		.amdhsa_user_sgpr_kernarg_preload_offset 0
		.amdhsa_user_sgpr_private_segment_size 0
		.amdhsa_uses_dynamic_stack 0
		.amdhsa_system_sgpr_private_segment_wavefront_offset 1
		.amdhsa_system_sgpr_workgroup_id_x 1
		.amdhsa_system_sgpr_workgroup_id_y 0
		.amdhsa_system_sgpr_workgroup_id_z 0
		.amdhsa_system_sgpr_workgroup_info 0
		.amdhsa_system_vgpr_workitem_id 0
		.amdhsa_next_free_vgpr 124
		.amdhsa_next_free_sgpr 16
		.amdhsa_accum_offset 124
		.amdhsa_reserve_vcc 1
		.amdhsa_reserve_flat_scratch 0
		.amdhsa_float_round_mode_32 0
		.amdhsa_float_round_mode_16_64 0
		.amdhsa_float_denorm_mode_32 3
		.amdhsa_float_denorm_mode_16_64 3
		.amdhsa_dx10_clamp 1
		.amdhsa_ieee_mode 1
		.amdhsa_fp16_overflow 0
		.amdhsa_tg_split 0
		.amdhsa_exception_fp_ieee_invalid_op 0
		.amdhsa_exception_fp_denorm_src 0
		.amdhsa_exception_fp_ieee_div_zero 0
		.amdhsa_exception_fp_ieee_overflow 0
		.amdhsa_exception_fp_ieee_underflow 0
		.amdhsa_exception_fp_ieee_inexact 0
		.amdhsa_exception_int_div_zero 0
	.end_amdhsa_kernel
	.section	.text._ZN9rocsolver6v33100L18trti2_kernel_smallILi31EdPKPdEEv13rocblas_fill_17rocblas_diagonal_T1_iil,"axG",@progbits,_ZN9rocsolver6v33100L18trti2_kernel_smallILi31EdPKPdEEv13rocblas_fill_17rocblas_diagonal_T1_iil,comdat
.Lfunc_end94:
	.size	_ZN9rocsolver6v33100L18trti2_kernel_smallILi31EdPKPdEEv13rocblas_fill_17rocblas_diagonal_T1_iil, .Lfunc_end94-_ZN9rocsolver6v33100L18trti2_kernel_smallILi31EdPKPdEEv13rocblas_fill_17rocblas_diagonal_T1_iil
                                        ; -- End function
	.section	.AMDGPU.csdata,"",@progbits
; Kernel info:
; codeLenInByte = 17892
; NumSgprs: 20
; NumVgprs: 124
; NumAgprs: 0
; TotalNumVgprs: 124
; ScratchSize: 256
; MemoryBound: 0
; FloatMode: 240
; IeeeMode: 1
; LDSByteSize: 504 bytes/workgroup (compile time only)
; SGPRBlocks: 2
; VGPRBlocks: 15
; NumSGPRsForWavesPerEU: 20
; NumVGPRsForWavesPerEU: 124
; AccumOffset: 124
; Occupancy: 4
; WaveLimiterHint : 1
; COMPUTE_PGM_RSRC2:SCRATCH_EN: 1
; COMPUTE_PGM_RSRC2:USER_SGPR: 8
; COMPUTE_PGM_RSRC2:TRAP_HANDLER: 0
; COMPUTE_PGM_RSRC2:TGID_X_EN: 1
; COMPUTE_PGM_RSRC2:TGID_Y_EN: 0
; COMPUTE_PGM_RSRC2:TGID_Z_EN: 0
; COMPUTE_PGM_RSRC2:TIDIG_COMP_CNT: 0
; COMPUTE_PGM_RSRC3_GFX90A:ACCUM_OFFSET: 30
; COMPUTE_PGM_RSRC3_GFX90A:TG_SPLIT: 0
	.section	.text._ZN9rocsolver6v33100L18trti2_kernel_smallILi32EdPKPdEEv13rocblas_fill_17rocblas_diagonal_T1_iil,"axG",@progbits,_ZN9rocsolver6v33100L18trti2_kernel_smallILi32EdPKPdEEv13rocblas_fill_17rocblas_diagonal_T1_iil,comdat
	.globl	_ZN9rocsolver6v33100L18trti2_kernel_smallILi32EdPKPdEEv13rocblas_fill_17rocblas_diagonal_T1_iil ; -- Begin function _ZN9rocsolver6v33100L18trti2_kernel_smallILi32EdPKPdEEv13rocblas_fill_17rocblas_diagonal_T1_iil
	.p2align	8
	.type	_ZN9rocsolver6v33100L18trti2_kernel_smallILi32EdPKPdEEv13rocblas_fill_17rocblas_diagonal_T1_iil,@function
_ZN9rocsolver6v33100L18trti2_kernel_smallILi32EdPKPdEEv13rocblas_fill_17rocblas_diagonal_T1_iil: ; @_ZN9rocsolver6v33100L18trti2_kernel_smallILi32EdPKPdEEv13rocblas_fill_17rocblas_diagonal_T1_iil
; %bb.0:
	s_add_u32 s0, s0, s9
	s_addc_u32 s1, s1, 0
	v_cmp_gt_u32_e32 vcc, 32, v0
	s_and_saveexec_b64 s[6:7], vcc
	s_cbranch_execz .LBB95_612
; %bb.1:
	s_load_dwordx2 s[6:7], s[4:5], 0x10
	s_load_dwordx4 s[12:15], s[4:5], 0x0
	s_ashr_i32 s9, s8, 31
	s_lshl_b64 s[4:5], s[8:9], 3
	s_waitcnt lgkmcnt(0)
	s_ashr_i32 s9, s6, 31
	s_add_u32 s4, s14, s4
	s_addc_u32 s5, s15, s5
	s_load_dwordx2 s[4:5], s[4:5], 0x0
	s_mov_b32 s8, s6
	s_lshl_b64 s[8:9], s[8:9], 3
	s_waitcnt lgkmcnt(0)
	s_add_u32 s4, s4, s8
	s_addc_u32 s5, s5, s9
	s_add_i32 s6, s7, s7
	v_add_u32_e32 v4, s6, v0
	v_ashrrev_i32_e32 v5, 31, v4
	v_lshlrev_b64 v[2:3], 3, v[4:5]
	v_add_u32_e32 v6, s7, v4
	v_mov_b32_e32 v1, s5
	v_add_co_u32_e32 v2, vcc, s4, v2
	v_ashrrev_i32_e32 v7, 31, v6
	v_addc_co_u32_e32 v3, vcc, v1, v3, vcc
	v_lshlrev_b64 v[4:5], 3, v[6:7]
	v_add_u32_e32 v8, s7, v6
	v_add_co_u32_e32 v4, vcc, s4, v4
	v_ashrrev_i32_e32 v9, 31, v8
	v_addc_co_u32_e32 v5, vcc, v1, v5, vcc
	v_lshlrev_b64 v[6:7], 3, v[8:9]
	v_add_u32_e32 v10, s7, v8
	;; [unrolled: 5-line block ×21, first 2 shown]
	v_add_co_u32_e32 v44, vcc, s4, v44
	v_ashrrev_i32_e32 v49, 31, v48
	v_addc_co_u32_e32 v45, vcc, v1, v45, vcc
	v_lshlrev_b64 v[46:47], 3, v[48:49]
	v_add_co_u32_e32 v46, vcc, s4, v46
	v_addc_co_u32_e32 v47, vcc, v1, v47, vcc
	v_lshlrev_b32_e32 v1, 3, v0
	global_load_dwordx2 v[66:67], v1, s[4:5]
	global_load_dwordx2 v[70:71], v[2:3], off
	v_mov_b32_e32 v52, s5
	v_add_co_u32_e32 v54, vcc, s4, v1
	s_ashr_i32 s9, s7, 31
	s_mov_b32 s8, s7
	v_addc_co_u32_e32 v55, vcc, 0, v52, vcc
	s_lshl_b64 s[8:9], s[8:9], 3
	v_mov_b32_e32 v52, s9
	v_add_co_u32_e32 v58, vcc, s8, v54
	v_addc_co_u32_e32 v59, vcc, v55, v52, vcc
	global_load_dwordx2 v[68:69], v[58:59], off
	v_add_u32_e32 v50, s7, v48
	v_ashrrev_i32_e32 v51, 31, v50
	v_lshlrev_b64 v[48:49], 3, v[50:51]
	v_add_u32_e32 v52, s7, v50
	v_mov_b32_e32 v51, s5
	v_add_co_u32_e32 v48, vcc, s4, v48
	v_ashrrev_i32_e32 v53, 31, v52
	v_addc_co_u32_e32 v49, vcc, v51, v49, vcc
	v_lshlrev_b64 v[50:51], 3, v[52:53]
	v_add_u32_e32 v56, s7, v52
	v_mov_b32_e32 v53, s5
	v_add_co_u32_e32 v50, vcc, s4, v50
	v_ashrrev_i32_e32 v57, 31, v56
	v_addc_co_u32_e32 v51, vcc, v53, v51, vcc
	;; [unrolled: 6-line block ×6, first 2 shown]
	v_lshlrev_b64 v[64:65], 3, v[64:65]
	v_mov_b32_e32 v112, s5
	v_add_co_u32_e32 v64, vcc, s4, v64
	global_load_dwordx2 v[72:73], v[4:5], off
	global_load_dwordx2 v[74:75], v[6:7], off
	;; [unrolled: 1-line block ×20, first 2 shown]
	v_addc_co_u32_e32 v65, vcc, v112, v65, vcc
	global_load_dwordx2 v[112:113], v[44:45], off
	global_load_dwordx2 v[114:115], v[64:65], off
	;; [unrolled: 1-line block ×6, first 2 shown]
	s_cmpk_lg_i32 s13, 0x84
	s_waitcnt vmcnt(28)
	buffer_store_dword v67, off, s[0:3], 0 offset:4
	buffer_store_dword v66, off, s[0:3], 0
	global_load_dwordx2 v[66:67], v[50:51], off
	s_cselect_b64 s[8:9], -1, 0
	s_waitcnt vmcnt(30)
	buffer_store_dword v71, off, s[0:3], 0 offset:20
	buffer_store_dword v70, off, s[0:3], 0 offset:16
	global_load_dwordx2 v[70:71], v[62:63], off
	s_cmpk_eq_i32 s13, 0x84
	s_waitcnt vmcnt(32)
	buffer_store_dword v69, off, s[0:3], 0 offset:12
	buffer_store_dword v68, off, s[0:3], 0 offset:8
	global_load_dwordx2 v[68:69], v[56:57], off
	s_waitcnt vmcnt(34)
	buffer_store_dword v73, off, s[0:3], 0 offset:28
	buffer_store_dword v72, off, s[0:3], 0 offset:24
	s_waitcnt vmcnt(35)
	buffer_store_dword v75, off, s[0:3], 0 offset:36
	buffer_store_dword v74, off, s[0:3], 0 offset:32
	;; [unrolled: 3-line block ×24, first 2 shown]
	buffer_store_dword v120, off, s[0:3], 0 offset:216
	buffer_store_dword v121, off, s[0:3], 0 offset:220
	s_waitcnt vmcnt(50)
	buffer_store_dword v68, off, s[0:3], 0 offset:224
	buffer_store_dword v69, off, s[0:3], 0 offset:228
	;; [unrolled: 1-line block ×8, first 2 shown]
	v_mov_b32_e32 v66, 0
	v_mov_b32_e32 v98, 0
	;; [unrolled: 1-line block ×3, first 2 shown]
	s_cbranch_scc1 .LBB95_3
; %bb.2:
	v_lshl_add_u32 v76, v0, 3, v98
	buffer_load_dword v66, v76, s[0:3], 0 offen
	buffer_load_dword v67, v76, s[0:3], 0 offen offset:4
	s_waitcnt vmcnt(0)
	v_div_scale_f64 v[68:69], s[4:5], v[66:67], v[66:67], 1.0
	v_rcp_f64_e32 v[70:71], v[68:69]
	v_div_scale_f64 v[72:73], vcc, 1.0, v[66:67], 1.0
	v_fma_f64 v[74:75], -v[68:69], v[70:71], 1.0
	v_fmac_f64_e32 v[70:71], v[70:71], v[74:75]
	v_fma_f64 v[74:75], -v[68:69], v[70:71], 1.0
	v_fmac_f64_e32 v[70:71], v[70:71], v[74:75]
	v_mul_f64 v[74:75], v[72:73], v[70:71]
	v_fma_f64 v[68:69], -v[68:69], v[74:75], v[72:73]
	v_div_fmas_f64 v[68:69], v[68:69], v[70:71], v[74:75]
	v_div_fixup_f64 v[66:67], v[68:69], v[66:67], 1.0
	buffer_store_dword v66, v76, s[0:3], 0 offen
	buffer_store_dword v67, v76, s[0:3], 0 offen offset:4
	v_xor_b32_e32 v67, 0x80000000, v67
.LBB95_3:
	s_cmpk_eq_i32 s12, 0x79
	v_add_u32_e32 v68, 0x100, v1
	v_add_u32_e32 v69, 0, v1
	s_mov_b64 s[4:5], -1
	ds_write_b64 v1, v[66:67]
	s_cbranch_scc1 .LBB95_307
; %bb.4:
	buffer_load_dword v66, off, s[0:3], 0 offset:240
	buffer_load_dword v67, off, s[0:3], 0 offset:244
	v_cmp_eq_u32_e64 s[4:5], 31, v0
	s_waitcnt vmcnt(0)
	ds_write_b64 v68, v[66:67]
	s_waitcnt lgkmcnt(0)
	; wave barrier
	s_waitcnt lgkmcnt(0)
	s_and_saveexec_b64 s[6:7], s[4:5]
	s_cbranch_execz .LBB95_10
; %bb.5:
	s_and_b64 vcc, exec, s[8:9]
	s_cbranch_vccz .LBB95_7
; %bb.6:
	buffer_load_dword v66, v69, s[0:3], 0 offen
	buffer_load_dword v67, v69, s[0:3], 0 offen offset:4
	ds_read_b64 v[70:71], v68
	s_waitcnt vmcnt(0) lgkmcnt(0)
	v_mul_f64 v[66:67], v[66:67], v[70:71]
	s_cbranch_execz .LBB95_8
	s_branch .LBB95_9
.LBB95_7:
                                        ; implicit-def: $vgpr66_vgpr67
.LBB95_8:
	ds_read_b64 v[66:67], v68
.LBB95_9:
	v_mov_b32_e32 v70, 0
	ds_read_b64 v[70:71], v70 offset:240
	s_waitcnt lgkmcnt(0)
	v_mul_f64 v[66:67], v[66:67], v[70:71]
	buffer_store_dword v67, off, s[0:3], 0 offset:244
	buffer_store_dword v66, off, s[0:3], 0 offset:240
.LBB95_10:
	s_or_b64 exec, exec, s[6:7]
	buffer_load_dword v66, off, s[0:3], 0 offset:232
	buffer_load_dword v67, off, s[0:3], 0 offset:236
	v_or_b32_e32 v70, 8, v98
	v_add_u32_e32 v71, 16, v98
	v_add_u32_e32 v72, 24, v98
	;; [unrolled: 1-line block ×28, first 2 shown]
	v_cmp_lt_u32_e64 s[6:7], 29, v0
	s_waitcnt vmcnt(0)
	ds_write_b64 v68, v[66:67]
	s_waitcnt lgkmcnt(0)
	; wave barrier
	s_waitcnt lgkmcnt(0)
	s_and_saveexec_b64 s[10:11], s[6:7]
	s_cbranch_execz .LBB95_16
; %bb.11:
	s_andn2_b64 vcc, exec, s[8:9]
	s_cbranch_vccnz .LBB95_13
; %bb.12:
	buffer_load_dword v66, v69, s[0:3], 0 offen
	buffer_load_dword v67, v69, s[0:3], 0 offen offset:4
	ds_read_b64 v[100:101], v68
	s_waitcnt vmcnt(0) lgkmcnt(0)
	v_mul_f64 v[66:67], v[66:67], v[100:101]
	s_cbranch_execz .LBB95_14
	s_branch .LBB95_15
.LBB95_13:
                                        ; implicit-def: $vgpr66_vgpr67
.LBB95_14:
	ds_read_b64 v[66:67], v68
.LBB95_15:
	buffer_load_dword v104, off, s[0:3], 0 offset:240
	buffer_load_dword v105, off, s[0:3], 0 offset:244
	v_mov_b32_e32 v99, 0
	ds_read2_b64 v[100:103], v99 offset0:29 offset1:62
	s_waitcnt vmcnt(0) lgkmcnt(0)
	v_fma_f64 v[102:103], v[104:105], v[102:103], v[66:67]
	v_cndmask_b32_e64 v67, v67, v103, s[4:5]
	v_cndmask_b32_e64 v66, v66, v102, s[4:5]
	v_mul_f64 v[66:67], v[66:67], v[100:101]
	buffer_store_dword v67, off, s[0:3], 0 offset:236
	buffer_store_dword v66, off, s[0:3], 0 offset:232
.LBB95_16:
	s_or_b64 exec, exec, s[10:11]
	buffer_load_dword v66, off, s[0:3], 0 offset:224
	buffer_load_dword v67, off, s[0:3], 0 offset:228
	v_cmp_lt_u32_e64 s[4:5], 28, v0
	s_waitcnt vmcnt(0)
	ds_write_b64 v68, v[66:67]
	s_waitcnt lgkmcnt(0)
	; wave barrier
	s_waitcnt lgkmcnt(0)
	s_and_saveexec_b64 s[10:11], s[4:5]
	s_cbranch_execz .LBB95_26
; %bb.17:
	s_andn2_b64 vcc, exec, s[8:9]
	s_cbranch_vccnz .LBB95_19
; %bb.18:
	buffer_load_dword v66, v69, s[0:3], 0 offen
	buffer_load_dword v67, v69, s[0:3], 0 offen offset:4
	ds_read_b64 v[100:101], v68
	s_waitcnt vmcnt(0) lgkmcnt(0)
	v_mul_f64 v[66:67], v[66:67], v[100:101]
	s_cbranch_execz .LBB95_20
	s_branch .LBB95_21
.LBB95_19:
                                        ; implicit-def: $vgpr66_vgpr67
.LBB95_20:
	ds_read_b64 v[66:67], v68
.LBB95_21:
	s_and_saveexec_b64 s[12:13], s[6:7]
	s_cbranch_execz .LBB95_25
; %bb.22:
	v_subrev_u32_e32 v99, 29, v0
	s_movk_i32 s14, 0x1e8
	s_mov_b64 s[6:7], 0
.LBB95_23:                              ; =>This Inner Loop Header: Depth=1
	buffer_load_dword v100, v98, s[0:3], 0 offen
	buffer_load_dword v101, v98, s[0:3], 0 offen offset:4
	v_mov_b32_e32 v102, s14
	ds_read_b64 v[102:103], v102
	v_add_u32_e32 v99, -1, v99
	s_add_i32 s14, s14, 8
	v_cmp_eq_u32_e32 vcc, 0, v99
	v_add_u32_e32 v98, 8, v98
	s_or_b64 s[6:7], vcc, s[6:7]
	s_waitcnt vmcnt(0) lgkmcnt(0)
	v_fmac_f64_e32 v[66:67], v[100:101], v[102:103]
	s_andn2_b64 exec, exec, s[6:7]
	s_cbranch_execnz .LBB95_23
; %bb.24:
	s_or_b64 exec, exec, s[6:7]
.LBB95_25:
	s_or_b64 exec, exec, s[12:13]
	v_mov_b32_e32 v98, 0
	ds_read_b64 v[98:99], v98 offset:224
	s_waitcnt lgkmcnt(0)
	v_mul_f64 v[66:67], v[66:67], v[98:99]
	buffer_store_dword v67, off, s[0:3], 0 offset:228
	buffer_store_dword v66, off, s[0:3], 0 offset:224
.LBB95_26:
	s_or_b64 exec, exec, s[10:11]
	buffer_load_dword v66, off, s[0:3], 0 offset:216
	buffer_load_dword v67, off, s[0:3], 0 offset:220
	v_cmp_lt_u32_e64 s[6:7], 27, v0
	s_waitcnt vmcnt(0)
	ds_write_b64 v68, v[66:67]
	s_waitcnt lgkmcnt(0)
	; wave barrier
	s_waitcnt lgkmcnt(0)
	s_and_saveexec_b64 s[10:11], s[6:7]
	s_cbranch_execz .LBB95_36
; %bb.27:
	s_andn2_b64 vcc, exec, s[8:9]
	s_cbranch_vccnz .LBB95_29
; %bb.28:
	buffer_load_dword v66, v69, s[0:3], 0 offen
	buffer_load_dword v67, v69, s[0:3], 0 offen offset:4
	ds_read_b64 v[98:99], v68
	s_waitcnt vmcnt(0) lgkmcnt(0)
	v_mul_f64 v[66:67], v[66:67], v[98:99]
	s_cbranch_execz .LBB95_30
	s_branch .LBB95_31
.LBB95_29:
                                        ; implicit-def: $vgpr66_vgpr67
.LBB95_30:
	ds_read_b64 v[66:67], v68
.LBB95_31:
	s_and_saveexec_b64 s[12:13], s[4:5]
	s_cbranch_execz .LBB95_35
; %bb.32:
	v_subrev_u32_e32 v98, 28, v0
	s_movk_i32 s14, 0x1e0
	s_mov_b64 s[4:5], 0
.LBB95_33:                              ; =>This Inner Loop Header: Depth=1
	buffer_load_dword v100, v97, s[0:3], 0 offen
	buffer_load_dword v101, v97, s[0:3], 0 offen offset:4
	v_mov_b32_e32 v99, s14
	ds_read_b64 v[102:103], v99
	v_add_u32_e32 v98, -1, v98
	s_add_i32 s14, s14, 8
	v_cmp_eq_u32_e32 vcc, 0, v98
	v_add_u32_e32 v97, 8, v97
	s_or_b64 s[4:5], vcc, s[4:5]
	s_waitcnt vmcnt(0) lgkmcnt(0)
	v_fmac_f64_e32 v[66:67], v[100:101], v[102:103]
	s_andn2_b64 exec, exec, s[4:5]
	s_cbranch_execnz .LBB95_33
; %bb.34:
	s_or_b64 exec, exec, s[4:5]
.LBB95_35:
	s_or_b64 exec, exec, s[12:13]
	v_mov_b32_e32 v97, 0
	ds_read_b64 v[98:99], v97 offset:216
	s_waitcnt lgkmcnt(0)
	v_mul_f64 v[66:67], v[66:67], v[98:99]
	buffer_store_dword v67, off, s[0:3], 0 offset:220
	buffer_store_dword v66, off, s[0:3], 0 offset:216
.LBB95_36:
	;; [unrolled: 58-line block ×8, first 2 shown]
	s_or_b64 exec, exec, s[10:11]
	buffer_load_dword v66, off, s[0:3], 0 offset:160
	buffer_load_dword v67, off, s[0:3], 0 offset:164
	v_cmp_lt_u32_e64 s[4:5], 20, v0
	s_waitcnt vmcnt(0)
	ds_write_b64 v68, v[66:67]
	s_waitcnt lgkmcnt(0)
	; wave barrier
	s_waitcnt lgkmcnt(0)
	s_and_saveexec_b64 s[10:11], s[4:5]
	s_cbranch_execz .LBB95_106
; %bb.97:
	s_andn2_b64 vcc, exec, s[8:9]
	s_cbranch_vccnz .LBB95_99
; %bb.98:
	buffer_load_dword v66, v69, s[0:3], 0 offen
	buffer_load_dword v67, v69, s[0:3], 0 offen offset:4
	ds_read_b64 v[92:93], v68
	s_waitcnt vmcnt(0) lgkmcnt(0)
	v_mul_f64 v[66:67], v[66:67], v[92:93]
	s_cbranch_execz .LBB95_100
	s_branch .LBB95_101
.LBB95_99:
                                        ; implicit-def: $vgpr66_vgpr67
.LBB95_100:
	ds_read_b64 v[66:67], v68
.LBB95_101:
	s_and_saveexec_b64 s[12:13], s[6:7]
	s_cbranch_execz .LBB95_105
; %bb.102:
	v_subrev_u32_e32 v91, 21, v0
	s_movk_i32 s14, 0x1a8
	s_mov_b64 s[6:7], 0
.LBB95_103:                             ; =>This Inner Loop Header: Depth=1
	buffer_load_dword v92, v90, s[0:3], 0 offen
	buffer_load_dword v93, v90, s[0:3], 0 offen offset:4
	v_mov_b32_e32 v94, s14
	ds_read_b64 v[94:95], v94
	v_add_u32_e32 v91, -1, v91
	s_add_i32 s14, s14, 8
	v_cmp_eq_u32_e32 vcc, 0, v91
	v_add_u32_e32 v90, 8, v90
	s_or_b64 s[6:7], vcc, s[6:7]
	s_waitcnt vmcnt(0) lgkmcnt(0)
	v_fmac_f64_e32 v[66:67], v[92:93], v[94:95]
	s_andn2_b64 exec, exec, s[6:7]
	s_cbranch_execnz .LBB95_103
; %bb.104:
	s_or_b64 exec, exec, s[6:7]
.LBB95_105:
	s_or_b64 exec, exec, s[12:13]
	v_mov_b32_e32 v90, 0
	ds_read_b64 v[90:91], v90 offset:160
	s_waitcnt lgkmcnt(0)
	v_mul_f64 v[66:67], v[66:67], v[90:91]
	buffer_store_dword v67, off, s[0:3], 0 offset:164
	buffer_store_dword v66, off, s[0:3], 0 offset:160
.LBB95_106:
	s_or_b64 exec, exec, s[10:11]
	buffer_load_dword v66, off, s[0:3], 0 offset:152
	buffer_load_dword v67, off, s[0:3], 0 offset:156
	v_cmp_lt_u32_e64 s[6:7], 19, v0
	s_waitcnt vmcnt(0)
	ds_write_b64 v68, v[66:67]
	s_waitcnt lgkmcnt(0)
	; wave barrier
	s_waitcnt lgkmcnt(0)
	s_and_saveexec_b64 s[10:11], s[6:7]
	s_cbranch_execz .LBB95_116
; %bb.107:
	s_andn2_b64 vcc, exec, s[8:9]
	s_cbranch_vccnz .LBB95_109
; %bb.108:
	buffer_load_dword v66, v69, s[0:3], 0 offen
	buffer_load_dword v67, v69, s[0:3], 0 offen offset:4
	ds_read_b64 v[90:91], v68
	s_waitcnt vmcnt(0) lgkmcnt(0)
	v_mul_f64 v[66:67], v[66:67], v[90:91]
	s_cbranch_execz .LBB95_110
	s_branch .LBB95_111
.LBB95_109:
                                        ; implicit-def: $vgpr66_vgpr67
.LBB95_110:
	ds_read_b64 v[66:67], v68
.LBB95_111:
	s_and_saveexec_b64 s[12:13], s[4:5]
	s_cbranch_execz .LBB95_115
; %bb.112:
	v_subrev_u32_e32 v90, 20, v0
	s_movk_i32 s14, 0x1a0
	s_mov_b64 s[4:5], 0
.LBB95_113:                             ; =>This Inner Loop Header: Depth=1
	buffer_load_dword v92, v89, s[0:3], 0 offen
	buffer_load_dword v93, v89, s[0:3], 0 offen offset:4
	v_mov_b32_e32 v91, s14
	ds_read_b64 v[94:95], v91
	v_add_u32_e32 v90, -1, v90
	s_add_i32 s14, s14, 8
	v_cmp_eq_u32_e32 vcc, 0, v90
	v_add_u32_e32 v89, 8, v89
	s_or_b64 s[4:5], vcc, s[4:5]
	s_waitcnt vmcnt(0) lgkmcnt(0)
	v_fmac_f64_e32 v[66:67], v[92:93], v[94:95]
	s_andn2_b64 exec, exec, s[4:5]
	s_cbranch_execnz .LBB95_113
; %bb.114:
	s_or_b64 exec, exec, s[4:5]
.LBB95_115:
	s_or_b64 exec, exec, s[12:13]
	v_mov_b32_e32 v89, 0
	ds_read_b64 v[90:91], v89 offset:152
	s_waitcnt lgkmcnt(0)
	v_mul_f64 v[66:67], v[66:67], v[90:91]
	buffer_store_dword v67, off, s[0:3], 0 offset:156
	buffer_store_dword v66, off, s[0:3], 0 offset:152
.LBB95_116:
	;; [unrolled: 58-line block ×5, first 2 shown]
	s_or_b64 exec, exec, s[10:11]
	buffer_load_dword v66, off, s[0:3], 0 offset:120
	buffer_load_dword v67, off, s[0:3], 0 offset:124
	v_cmp_lt_u32_e64 s[6:7], 15, v0
	s_waitcnt vmcnt(0)
	ds_write_b64 v68, v[66:67]
	s_waitcnt lgkmcnt(0)
	; wave barrier
	s_waitcnt lgkmcnt(0)
	s_and_saveexec_b64 s[10:11], s[6:7]
	s_cbranch_execz .LBB95_156
; %bb.147:
	s_andn2_b64 vcc, exec, s[8:9]
	s_cbranch_vccnz .LBB95_149
; %bb.148:
	buffer_load_dword v66, v69, s[0:3], 0 offen
	buffer_load_dword v67, v69, s[0:3], 0 offen offset:4
	ds_read_b64 v[86:87], v68
	s_waitcnt vmcnt(0) lgkmcnt(0)
	v_mul_f64 v[66:67], v[66:67], v[86:87]
	s_cbranch_execz .LBB95_150
	s_branch .LBB95_151
.LBB95_149:
                                        ; implicit-def: $vgpr66_vgpr67
.LBB95_150:
	ds_read_b64 v[66:67], v68
.LBB95_151:
	s_and_saveexec_b64 s[12:13], s[4:5]
	s_cbranch_execz .LBB95_155
; %bb.152:
	v_add_u32_e32 v86, -16, v0
	s_movk_i32 s14, 0x180
	s_mov_b64 s[4:5], 0
.LBB95_153:                             ; =>This Inner Loop Header: Depth=1
	buffer_load_dword v88, v85, s[0:3], 0 offen
	buffer_load_dword v89, v85, s[0:3], 0 offen offset:4
	v_mov_b32_e32 v87, s14
	ds_read_b64 v[90:91], v87
	v_add_u32_e32 v86, -1, v86
	s_add_i32 s14, s14, 8
	v_cmp_eq_u32_e32 vcc, 0, v86
	v_add_u32_e32 v85, 8, v85
	s_or_b64 s[4:5], vcc, s[4:5]
	s_waitcnt vmcnt(0) lgkmcnt(0)
	v_fmac_f64_e32 v[66:67], v[88:89], v[90:91]
	s_andn2_b64 exec, exec, s[4:5]
	s_cbranch_execnz .LBB95_153
; %bb.154:
	s_or_b64 exec, exec, s[4:5]
.LBB95_155:
	s_or_b64 exec, exec, s[12:13]
	v_mov_b32_e32 v85, 0
	ds_read_b64 v[86:87], v85 offset:120
	s_waitcnt lgkmcnt(0)
	v_mul_f64 v[66:67], v[66:67], v[86:87]
	buffer_store_dword v67, off, s[0:3], 0 offset:124
	buffer_store_dword v66, off, s[0:3], 0 offset:120
.LBB95_156:
	s_or_b64 exec, exec, s[10:11]
	buffer_load_dword v66, off, s[0:3], 0 offset:112
	buffer_load_dword v67, off, s[0:3], 0 offset:116
	v_cmp_lt_u32_e64 s[4:5], 14, v0
	s_waitcnt vmcnt(0)
	ds_write_b64 v68, v[66:67]
	s_waitcnt lgkmcnt(0)
	; wave barrier
	s_waitcnt lgkmcnt(0)
	s_and_saveexec_b64 s[10:11], s[4:5]
	s_cbranch_execz .LBB95_166
; %bb.157:
	s_andn2_b64 vcc, exec, s[8:9]
	s_cbranch_vccnz .LBB95_159
; %bb.158:
	buffer_load_dword v66, v69, s[0:3], 0 offen
	buffer_load_dword v67, v69, s[0:3], 0 offen offset:4
	ds_read_b64 v[86:87], v68
	s_waitcnt vmcnt(0) lgkmcnt(0)
	v_mul_f64 v[66:67], v[66:67], v[86:87]
	s_cbranch_execz .LBB95_160
	s_branch .LBB95_161
.LBB95_159:
                                        ; implicit-def: $vgpr66_vgpr67
.LBB95_160:
	ds_read_b64 v[66:67], v68
.LBB95_161:
	s_and_saveexec_b64 s[12:13], s[6:7]
	s_cbranch_execz .LBB95_165
; %bb.162:
	v_add_u32_e32 v85, -15, v0
	s_movk_i32 s14, 0x178
	s_mov_b64 s[6:7], 0
.LBB95_163:                             ; =>This Inner Loop Header: Depth=1
	buffer_load_dword v86, v84, s[0:3], 0 offen
	buffer_load_dword v87, v84, s[0:3], 0 offen offset:4
	v_mov_b32_e32 v88, s14
	ds_read_b64 v[88:89], v88
	v_add_u32_e32 v85, -1, v85
	s_add_i32 s14, s14, 8
	v_cmp_eq_u32_e32 vcc, 0, v85
	v_add_u32_e32 v84, 8, v84
	s_or_b64 s[6:7], vcc, s[6:7]
	s_waitcnt vmcnt(0) lgkmcnt(0)
	v_fmac_f64_e32 v[66:67], v[86:87], v[88:89]
	s_andn2_b64 exec, exec, s[6:7]
	s_cbranch_execnz .LBB95_163
; %bb.164:
	s_or_b64 exec, exec, s[6:7]
.LBB95_165:
	s_or_b64 exec, exec, s[12:13]
	v_mov_b32_e32 v84, 0
	ds_read_b64 v[84:85], v84 offset:112
	s_waitcnt lgkmcnt(0)
	v_mul_f64 v[66:67], v[66:67], v[84:85]
	buffer_store_dword v67, off, s[0:3], 0 offset:116
	buffer_store_dword v66, off, s[0:3], 0 offset:112
.LBB95_166:
	;; [unrolled: 58-line block ×15, first 2 shown]
	s_or_b64 exec, exec, s[10:11]
	buffer_load_dword v66, off, s[0:3], 0
	buffer_load_dword v67, off, s[0:3], 0 offset:4
	v_cmp_ne_u32_e32 vcc, 0, v0
	s_waitcnt vmcnt(0)
	ds_write_b64 v68, v[66:67]
	s_waitcnt lgkmcnt(0)
	; wave barrier
	s_waitcnt lgkmcnt(0)
	s_and_saveexec_b64 s[4:5], vcc
	s_cbranch_execz .LBB95_306
; %bb.297:
	s_andn2_b64 vcc, exec, s[8:9]
	s_cbranch_vccnz .LBB95_299
; %bb.298:
	buffer_load_dword v66, v69, s[0:3], 0 offen
	buffer_load_dword v67, v69, s[0:3], 0 offen offset:4
	ds_read_b64 v[72:73], v68
	s_waitcnt vmcnt(0) lgkmcnt(0)
	v_mul_f64 v[66:67], v[66:67], v[72:73]
	s_cbranch_execz .LBB95_300
	s_branch .LBB95_301
.LBB95_299:
                                        ; implicit-def: $vgpr66_vgpr67
.LBB95_300:
	ds_read_b64 v[66:67], v68
.LBB95_301:
	s_and_saveexec_b64 s[10:11], s[6:7]
	s_cbranch_execz .LBB95_305
; %bb.302:
	v_add_u32_e32 v71, -1, v0
	s_movk_i32 s12, 0x108
	s_mov_b64 s[6:7], 0
.LBB95_303:                             ; =>This Inner Loop Header: Depth=1
	buffer_load_dword v72, v70, s[0:3], 0 offen
	buffer_load_dword v73, v70, s[0:3], 0 offen offset:4
	v_mov_b32_e32 v74, s12
	ds_read_b64 v[74:75], v74
	v_add_u32_e32 v71, -1, v71
	s_add_i32 s12, s12, 8
	v_cmp_eq_u32_e32 vcc, 0, v71
	v_add_u32_e32 v70, 8, v70
	s_or_b64 s[6:7], vcc, s[6:7]
	s_waitcnt vmcnt(0) lgkmcnt(0)
	v_fmac_f64_e32 v[66:67], v[72:73], v[74:75]
	s_andn2_b64 exec, exec, s[6:7]
	s_cbranch_execnz .LBB95_303
; %bb.304:
	s_or_b64 exec, exec, s[6:7]
.LBB95_305:
	s_or_b64 exec, exec, s[10:11]
	v_mov_b32_e32 v70, 0
	ds_read_b64 v[70:71], v70
	s_waitcnt lgkmcnt(0)
	v_mul_f64 v[66:67], v[66:67], v[70:71]
	buffer_store_dword v67, off, s[0:3], 0 offset:4
	buffer_store_dword v66, off, s[0:3], 0
.LBB95_306:
	s_or_b64 exec, exec, s[4:5]
	s_mov_b64 s[4:5], 0
.LBB95_307:
	s_and_b64 vcc, exec, s[4:5]
	s_cbranch_vccz .LBB95_611
; %bb.308:
	buffer_load_dword v66, off, s[0:3], 0 offset:8
	buffer_load_dword v67, off, s[0:3], 0 offset:12
	v_cmp_eq_u32_e64 s[6:7], 0, v0
	s_waitcnt vmcnt(0)
	ds_write_b64 v68, v[66:67]
	s_waitcnt lgkmcnt(0)
	; wave barrier
	s_waitcnt lgkmcnt(0)
	s_and_saveexec_b64 s[4:5], s[6:7]
	s_cbranch_execz .LBB95_314
; %bb.309:
	s_and_b64 vcc, exec, s[8:9]
	s_cbranch_vccz .LBB95_311
; %bb.310:
	buffer_load_dword v66, v69, s[0:3], 0 offen
	buffer_load_dword v67, v69, s[0:3], 0 offen offset:4
	ds_read_b64 v[70:71], v68
	s_waitcnt vmcnt(0) lgkmcnt(0)
	v_mul_f64 v[66:67], v[66:67], v[70:71]
	s_cbranch_execz .LBB95_312
	s_branch .LBB95_313
.LBB95_311:
                                        ; implicit-def: $vgpr66_vgpr67
.LBB95_312:
	ds_read_b64 v[66:67], v68
.LBB95_313:
	v_mov_b32_e32 v70, 0
	ds_read_b64 v[70:71], v70 offset:8
	s_waitcnt lgkmcnt(0)
	v_mul_f64 v[66:67], v[66:67], v[70:71]
	buffer_store_dword v67, off, s[0:3], 0 offset:12
	buffer_store_dword v66, off, s[0:3], 0 offset:8
.LBB95_314:
	s_or_b64 exec, exec, s[4:5]
	buffer_load_dword v66, off, s[0:3], 0 offset:16
	buffer_load_dword v67, off, s[0:3], 0 offset:20
	v_cndmask_b32_e64 v70, 0, 1, s[8:9]
	v_cmp_gt_u32_e32 vcc, 2, v0
	v_cmp_ne_u32_e64 s[4:5], 1, v70
	s_waitcnt vmcnt(0)
	ds_write_b64 v68, v[66:67]
	s_waitcnt lgkmcnt(0)
	; wave barrier
	s_waitcnt lgkmcnt(0)
	s_and_saveexec_b64 s[8:9], vcc
	s_cbranch_execz .LBB95_322
; %bb.315:
	s_and_b64 vcc, exec, s[4:5]
	s_cbranch_vccnz .LBB95_317
; %bb.316:
	buffer_load_dword v66, v69, s[0:3], 0 offen
	buffer_load_dword v67, v69, s[0:3], 0 offen offset:4
	ds_read_b64 v[70:71], v68
	s_waitcnt vmcnt(0) lgkmcnt(0)
	v_mul_f64 v[66:67], v[66:67], v[70:71]
	s_cbranch_execz .LBB95_318
	s_branch .LBB95_319
.LBB95_317:
                                        ; implicit-def: $vgpr66_vgpr67
.LBB95_318:
	ds_read_b64 v[66:67], v68
.LBB95_319:
	s_and_saveexec_b64 s[10:11], s[6:7]
	s_cbranch_execz .LBB95_321
; %bb.320:
	buffer_load_dword v70, v69, s[0:3], 0 offen offset:8
	buffer_load_dword v71, v69, s[0:3], 0 offen offset:12
	ds_read_b64 v[72:73], v68 offset:8
	s_waitcnt vmcnt(0) lgkmcnt(0)
	v_fmac_f64_e32 v[66:67], v[70:71], v[72:73]
.LBB95_321:
	s_or_b64 exec, exec, s[10:11]
	v_mov_b32_e32 v70, 0
	ds_read_b64 v[70:71], v70 offset:16
	s_waitcnt lgkmcnt(0)
	v_mul_f64 v[66:67], v[66:67], v[70:71]
	buffer_store_dword v67, off, s[0:3], 0 offset:20
	buffer_store_dword v66, off, s[0:3], 0 offset:16
.LBB95_322:
	s_or_b64 exec, exec, s[8:9]
	buffer_load_dword v66, off, s[0:3], 0 offset:24
	buffer_load_dword v67, off, s[0:3], 0 offset:28
	v_cmp_gt_u32_e32 vcc, 3, v0
	s_waitcnt vmcnt(0)
	ds_write_b64 v68, v[66:67]
	s_waitcnt lgkmcnt(0)
	; wave barrier
	s_waitcnt lgkmcnt(0)
	s_and_saveexec_b64 s[8:9], vcc
	s_cbranch_execz .LBB95_330
; %bb.323:
	s_and_b64 vcc, exec, s[4:5]
	s_cbranch_vccnz .LBB95_325
; %bb.324:
	buffer_load_dword v66, v69, s[0:3], 0 offen
	buffer_load_dword v67, v69, s[0:3], 0 offen offset:4
	ds_read_b64 v[70:71], v68
	s_waitcnt vmcnt(0) lgkmcnt(0)
	v_mul_f64 v[66:67], v[66:67], v[70:71]
	s_cbranch_execz .LBB95_326
	s_branch .LBB95_327
.LBB95_325:
                                        ; implicit-def: $vgpr66_vgpr67
.LBB95_326:
	ds_read_b64 v[66:67], v68
.LBB95_327:
	v_cmp_ne_u32_e32 vcc, 2, v0
	s_and_saveexec_b64 s[10:11], vcc
	s_cbranch_execz .LBB95_329
; %bb.328:
	buffer_load_dword v71, v69, s[0:3], 0 offen offset:12
	buffer_load_dword v72, off, s[0:3], 0 offset:16
	buffer_load_dword v70, v69, s[0:3], 0 offen offset:8
	buffer_load_dword v73, off, s[0:3], 0 offset:20
	v_mov_b32_e32 v76, 0
	ds_read_b64 v[74:75], v68 offset:8
	ds_read_b64 v[76:77], v76 offset:272
	s_waitcnt vmcnt(1) lgkmcnt(1)
	v_fmac_f64_e32 v[66:67], v[70:71], v[74:75]
	s_waitcnt vmcnt(0) lgkmcnt(0)
	v_fma_f64 v[70:71], v[72:73], v[76:77], v[66:67]
	v_cndmask_b32_e64 v67, v67, v71, s[6:7]
	v_cndmask_b32_e64 v66, v66, v70, s[6:7]
.LBB95_329:
	s_or_b64 exec, exec, s[10:11]
	v_mov_b32_e32 v70, 0
	ds_read_b64 v[70:71], v70 offset:24
	s_waitcnt lgkmcnt(0)
	v_mul_f64 v[66:67], v[66:67], v[70:71]
	buffer_store_dword v67, off, s[0:3], 0 offset:28
	buffer_store_dword v66, off, s[0:3], 0 offset:24
.LBB95_330:
	s_or_b64 exec, exec, s[8:9]
	buffer_load_dword v66, off, s[0:3], 0 offset:32
	buffer_load_dword v67, off, s[0:3], 0 offset:36
	v_cmp_gt_u32_e32 vcc, 4, v0
	s_waitcnt vmcnt(0)
	ds_write_b64 v68, v[66:67]
	s_waitcnt lgkmcnt(0)
	; wave barrier
	s_waitcnt lgkmcnt(0)
	s_and_saveexec_b64 s[6:7], vcc
	s_cbranch_execz .LBB95_340
; %bb.331:
	s_and_b64 vcc, exec, s[4:5]
	s_cbranch_vccnz .LBB95_333
; %bb.332:
	buffer_load_dword v66, v69, s[0:3], 0 offen
	buffer_load_dword v67, v69, s[0:3], 0 offen offset:4
	ds_read_b64 v[70:71], v68
	s_waitcnt vmcnt(0) lgkmcnt(0)
	v_mul_f64 v[66:67], v[66:67], v[70:71]
	s_cbranch_execz .LBB95_334
	s_branch .LBB95_335
.LBB95_333:
                                        ; implicit-def: $vgpr66_vgpr67
.LBB95_334:
	ds_read_b64 v[66:67], v68
.LBB95_335:
	v_cmp_ne_u32_e32 vcc, 3, v0
	s_and_saveexec_b64 s[8:9], vcc
	s_cbranch_execz .LBB95_339
; %bb.336:
	v_mov_b32_e32 v71, 0
	v_add_u32_e32 v70, 0x108, v1
	v_add3_u32 v71, v1, v71, 8
	s_mov_b64 s[10:11], 0
	v_mov_b32_e32 v72, v0
.LBB95_337:                             ; =>This Inner Loop Header: Depth=1
	buffer_load_dword v74, v71, s[0:3], 0 offen
	buffer_load_dword v75, v71, s[0:3], 0 offen offset:4
	ds_read_b64 v[76:77], v70
	v_add_u32_e32 v72, 1, v72
	v_cmp_lt_u32_e32 vcc, 2, v72
	v_add_u32_e32 v70, 8, v70
	v_add_u32_e32 v71, 8, v71
	s_or_b64 s[10:11], vcc, s[10:11]
	s_waitcnt vmcnt(0) lgkmcnt(0)
	v_fmac_f64_e32 v[66:67], v[74:75], v[76:77]
	s_andn2_b64 exec, exec, s[10:11]
	s_cbranch_execnz .LBB95_337
; %bb.338:
	s_or_b64 exec, exec, s[10:11]
.LBB95_339:
	s_or_b64 exec, exec, s[8:9]
	v_mov_b32_e32 v70, 0
	ds_read_b64 v[70:71], v70 offset:32
	s_waitcnt lgkmcnt(0)
	v_mul_f64 v[66:67], v[66:67], v[70:71]
	buffer_store_dword v67, off, s[0:3], 0 offset:36
	buffer_store_dword v66, off, s[0:3], 0 offset:32
.LBB95_340:
	s_or_b64 exec, exec, s[6:7]
	buffer_load_dword v66, off, s[0:3], 0 offset:40
	buffer_load_dword v67, off, s[0:3], 0 offset:44
	v_cmp_gt_u32_e32 vcc, 5, v0
	s_waitcnt vmcnt(0)
	ds_write_b64 v68, v[66:67]
	s_waitcnt lgkmcnt(0)
	; wave barrier
	s_waitcnt lgkmcnt(0)
	s_and_saveexec_b64 s[6:7], vcc
	s_cbranch_execz .LBB95_350
; %bb.341:
	s_and_b64 vcc, exec, s[4:5]
	s_cbranch_vccnz .LBB95_343
; %bb.342:
	buffer_load_dword v66, v69, s[0:3], 0 offen
	buffer_load_dword v67, v69, s[0:3], 0 offen offset:4
	ds_read_b64 v[70:71], v68
	s_waitcnt vmcnt(0) lgkmcnt(0)
	v_mul_f64 v[66:67], v[66:67], v[70:71]
	s_cbranch_execz .LBB95_344
	s_branch .LBB95_345
.LBB95_343:
                                        ; implicit-def: $vgpr66_vgpr67
.LBB95_344:
	ds_read_b64 v[66:67], v68
.LBB95_345:
	v_cmp_ne_u32_e32 vcc, 4, v0
	s_and_saveexec_b64 s[8:9], vcc
	s_cbranch_execz .LBB95_349
; %bb.346:
	v_mov_b32_e32 v71, 0
	v_add_u32_e32 v70, 0x108, v1
	v_add3_u32 v71, v1, v71, 8
	s_mov_b64 s[10:11], 0
	v_mov_b32_e32 v72, v0
.LBB95_347:                             ; =>This Inner Loop Header: Depth=1
	buffer_load_dword v74, v71, s[0:3], 0 offen
	buffer_load_dword v75, v71, s[0:3], 0 offen offset:4
	ds_read_b64 v[76:77], v70
	v_add_u32_e32 v72, 1, v72
	v_cmp_lt_u32_e32 vcc, 3, v72
	v_add_u32_e32 v70, 8, v70
	v_add_u32_e32 v71, 8, v71
	s_or_b64 s[10:11], vcc, s[10:11]
	s_waitcnt vmcnt(0) lgkmcnt(0)
	v_fmac_f64_e32 v[66:67], v[74:75], v[76:77]
	s_andn2_b64 exec, exec, s[10:11]
	s_cbranch_execnz .LBB95_347
; %bb.348:
	s_or_b64 exec, exec, s[10:11]
.LBB95_349:
	s_or_b64 exec, exec, s[8:9]
	v_mov_b32_e32 v70, 0
	ds_read_b64 v[70:71], v70 offset:40
	s_waitcnt lgkmcnt(0)
	v_mul_f64 v[66:67], v[66:67], v[70:71]
	buffer_store_dword v67, off, s[0:3], 0 offset:44
	buffer_store_dword v66, off, s[0:3], 0 offset:40
.LBB95_350:
	;; [unrolled: 60-line block ×26, first 2 shown]
	s_or_b64 exec, exec, s[6:7]
	buffer_load_dword v66, off, s[0:3], 0 offset:240
	buffer_load_dword v67, off, s[0:3], 0 offset:244
	v_cmp_gt_u32_e64 s[6:7], 30, v0
	s_waitcnt vmcnt(0)
	ds_write_b64 v68, v[66:67]
	s_waitcnt lgkmcnt(0)
	; wave barrier
	s_waitcnt lgkmcnt(0)
	s_and_saveexec_b64 s[8:9], s[6:7]
	s_cbranch_execz .LBB95_600
; %bb.591:
	s_and_b64 vcc, exec, s[4:5]
	s_cbranch_vccnz .LBB95_593
; %bb.592:
	buffer_load_dword v66, v69, s[0:3], 0 offen
	buffer_load_dword v67, v69, s[0:3], 0 offen offset:4
	ds_read_b64 v[70:71], v68
	s_waitcnt vmcnt(0) lgkmcnt(0)
	v_mul_f64 v[66:67], v[66:67], v[70:71]
	s_cbranch_execz .LBB95_594
	s_branch .LBB95_595
.LBB95_593:
                                        ; implicit-def: $vgpr66_vgpr67
.LBB95_594:
	ds_read_b64 v[66:67], v68
.LBB95_595:
	v_cmp_ne_u32_e32 vcc, 29, v0
	s_and_saveexec_b64 s[10:11], vcc
	s_cbranch_execz .LBB95_599
; %bb.596:
	v_mov_b32_e32 v71, 0
	v_add_u32_e32 v70, 0x108, v1
	v_add3_u32 v71, v1, v71, 8
	s_mov_b64 s[12:13], 0
	v_mov_b32_e32 v72, v0
.LBB95_597:                             ; =>This Inner Loop Header: Depth=1
	buffer_load_dword v74, v71, s[0:3], 0 offen
	buffer_load_dword v75, v71, s[0:3], 0 offen offset:4
	ds_read_b64 v[76:77], v70
	v_add_u32_e32 v72, 1, v72
	v_cmp_lt_u32_e32 vcc, 28, v72
	v_add_u32_e32 v70, 8, v70
	v_add_u32_e32 v71, 8, v71
	s_or_b64 s[12:13], vcc, s[12:13]
	s_waitcnt vmcnt(0) lgkmcnt(0)
	v_fmac_f64_e32 v[66:67], v[74:75], v[76:77]
	s_andn2_b64 exec, exec, s[12:13]
	s_cbranch_execnz .LBB95_597
; %bb.598:
	s_or_b64 exec, exec, s[12:13]
.LBB95_599:
	s_or_b64 exec, exec, s[10:11]
	v_mov_b32_e32 v70, 0
	ds_read_b64 v[70:71], v70 offset:240
	s_waitcnt lgkmcnt(0)
	v_mul_f64 v[66:67], v[66:67], v[70:71]
	buffer_store_dword v67, off, s[0:3], 0 offset:244
	buffer_store_dword v66, off, s[0:3], 0 offset:240
.LBB95_600:
	s_or_b64 exec, exec, s[8:9]
	buffer_load_dword v66, off, s[0:3], 0 offset:248
	buffer_load_dword v67, off, s[0:3], 0 offset:252
	v_cmp_ne_u32_e32 vcc, 31, v0
	s_waitcnt vmcnt(0)
	ds_write_b64 v68, v[66:67]
	s_waitcnt lgkmcnt(0)
	; wave barrier
	s_waitcnt lgkmcnt(0)
	s_and_saveexec_b64 s[8:9], vcc
	s_cbranch_execz .LBB95_610
; %bb.601:
	s_and_b64 vcc, exec, s[4:5]
	s_cbranch_vccnz .LBB95_603
; %bb.602:
	buffer_load_dword v66, v69, s[0:3], 0 offen
	buffer_load_dword v67, v69, s[0:3], 0 offen offset:4
	ds_read_b64 v[70:71], v68
	s_waitcnt vmcnt(0) lgkmcnt(0)
	v_mul_f64 v[66:67], v[66:67], v[70:71]
	s_cbranch_execz .LBB95_604
	s_branch .LBB95_605
.LBB95_603:
                                        ; implicit-def: $vgpr66_vgpr67
.LBB95_604:
	ds_read_b64 v[66:67], v68
.LBB95_605:
	s_and_saveexec_b64 s[4:5], s[6:7]
	s_cbranch_execz .LBB95_609
; %bb.606:
	v_mov_b32_e32 v69, 0
	v_add_u32_e32 v68, 0x108, v1
	v_add3_u32 v1, v1, v69, 8
	s_mov_b64 s[6:7], 0
.LBB95_607:                             ; =>This Inner Loop Header: Depth=1
	buffer_load_dword v70, v1, s[0:3], 0 offen
	buffer_load_dword v71, v1, s[0:3], 0 offen offset:4
	ds_read_b64 v[72:73], v68
	v_add_u32_e32 v0, 1, v0
	v_cmp_lt_u32_e32 vcc, 29, v0
	v_add_u32_e32 v68, 8, v68
	v_add_u32_e32 v1, 8, v1
	s_or_b64 s[6:7], vcc, s[6:7]
	s_waitcnt vmcnt(0) lgkmcnt(0)
	v_fmac_f64_e32 v[66:67], v[70:71], v[72:73]
	s_andn2_b64 exec, exec, s[6:7]
	s_cbranch_execnz .LBB95_607
; %bb.608:
	s_or_b64 exec, exec, s[6:7]
.LBB95_609:
	s_or_b64 exec, exec, s[4:5]
	v_mov_b32_e32 v0, 0
	ds_read_b64 v[0:1], v0 offset:248
	s_waitcnt lgkmcnt(0)
	v_mul_f64 v[0:1], v[66:67], v[0:1]
	buffer_store_dword v1, off, s[0:3], 0 offset:252
	buffer_store_dword v0, off, s[0:3], 0 offset:248
.LBB95_610:
	s_or_b64 exec, exec, s[8:9]
.LBB95_611:
	buffer_load_dword v0, off, s[0:3], 0
	buffer_load_dword v1, off, s[0:3], 0 offset:4
	buffer_load_dword v66, off, s[0:3], 0 offset:8
	;; [unrolled: 1-line block ×63, first 2 shown]
	s_waitcnt vmcnt(62)
	global_store_dwordx2 v[54:55], v[0:1], off
	s_waitcnt vmcnt(61)
	global_store_dwordx2 v[58:59], v[66:67], off
	;; [unrolled: 2-line block ×9, first 2 shown]
	global_store_dwordx2 v[16:17], v[80:81], off
	global_store_dwordx2 v[18:19], v[82:83], off
	;; [unrolled: 1-line block ×3, first 2 shown]
	s_waitcnt vmcnt(50)
	global_store_dwordx2 v[22:23], v[88:89], off
	s_waitcnt vmcnt(49)
	global_store_dwordx2 v[24:25], v[90:91], off
	;; [unrolled: 2-line block ×20, first 2 shown]
.LBB95_612:
	s_endpgm
	.section	.rodata,"a",@progbits
	.p2align	6, 0x0
	.amdhsa_kernel _ZN9rocsolver6v33100L18trti2_kernel_smallILi32EdPKPdEEv13rocblas_fill_17rocblas_diagonal_T1_iil
		.amdhsa_group_segment_fixed_size 512
		.amdhsa_private_segment_fixed_size 272
		.amdhsa_kernarg_size 32
		.amdhsa_user_sgpr_count 8
		.amdhsa_user_sgpr_private_segment_buffer 1
		.amdhsa_user_sgpr_dispatch_ptr 0
		.amdhsa_user_sgpr_queue_ptr 0
		.amdhsa_user_sgpr_kernarg_segment_ptr 1
		.amdhsa_user_sgpr_dispatch_id 0
		.amdhsa_user_sgpr_flat_scratch_init 1
		.amdhsa_user_sgpr_kernarg_preload_length 0
		.amdhsa_user_sgpr_kernarg_preload_offset 0
		.amdhsa_user_sgpr_private_segment_size 0
		.amdhsa_uses_dynamic_stack 0
		.amdhsa_system_sgpr_private_segment_wavefront_offset 1
		.amdhsa_system_sgpr_workgroup_id_x 1
		.amdhsa_system_sgpr_workgroup_id_y 0
		.amdhsa_system_sgpr_workgroup_id_z 0
		.amdhsa_system_sgpr_workgroup_info 0
		.amdhsa_system_vgpr_workitem_id 0
		.amdhsa_next_free_vgpr 128
		.amdhsa_next_free_sgpr 16
		.amdhsa_accum_offset 128
		.amdhsa_reserve_vcc 1
		.amdhsa_reserve_flat_scratch 0
		.amdhsa_float_round_mode_32 0
		.amdhsa_float_round_mode_16_64 0
		.amdhsa_float_denorm_mode_32 3
		.amdhsa_float_denorm_mode_16_64 3
		.amdhsa_dx10_clamp 1
		.amdhsa_ieee_mode 1
		.amdhsa_fp16_overflow 0
		.amdhsa_tg_split 0
		.amdhsa_exception_fp_ieee_invalid_op 0
		.amdhsa_exception_fp_denorm_src 0
		.amdhsa_exception_fp_ieee_div_zero 0
		.amdhsa_exception_fp_ieee_overflow 0
		.amdhsa_exception_fp_ieee_underflow 0
		.amdhsa_exception_fp_ieee_inexact 0
		.amdhsa_exception_int_div_zero 0
	.end_amdhsa_kernel
	.section	.text._ZN9rocsolver6v33100L18trti2_kernel_smallILi32EdPKPdEEv13rocblas_fill_17rocblas_diagonal_T1_iil,"axG",@progbits,_ZN9rocsolver6v33100L18trti2_kernel_smallILi32EdPKPdEEv13rocblas_fill_17rocblas_diagonal_T1_iil,comdat
.Lfunc_end95:
	.size	_ZN9rocsolver6v33100L18trti2_kernel_smallILi32EdPKPdEEv13rocblas_fill_17rocblas_diagonal_T1_iil, .Lfunc_end95-_ZN9rocsolver6v33100L18trti2_kernel_smallILi32EdPKPdEEv13rocblas_fill_17rocblas_diagonal_T1_iil
                                        ; -- End function
	.section	.AMDGPU.csdata,"",@progbits
; Kernel info:
; codeLenInByte = 18496
; NumSgprs: 20
; NumVgprs: 128
; NumAgprs: 0
; TotalNumVgprs: 128
; ScratchSize: 272
; MemoryBound: 0
; FloatMode: 240
; IeeeMode: 1
; LDSByteSize: 512 bytes/workgroup (compile time only)
; SGPRBlocks: 2
; VGPRBlocks: 15
; NumSGPRsForWavesPerEU: 20
; NumVGPRsForWavesPerEU: 128
; AccumOffset: 128
; Occupancy: 4
; WaveLimiterHint : 1
; COMPUTE_PGM_RSRC2:SCRATCH_EN: 1
; COMPUTE_PGM_RSRC2:USER_SGPR: 8
; COMPUTE_PGM_RSRC2:TRAP_HANDLER: 0
; COMPUTE_PGM_RSRC2:TGID_X_EN: 1
; COMPUTE_PGM_RSRC2:TGID_Y_EN: 0
; COMPUTE_PGM_RSRC2:TGID_Z_EN: 0
; COMPUTE_PGM_RSRC2:TIDIG_COMP_CNT: 0
; COMPUTE_PGM_RSRC3_GFX90A:ACCUM_OFFSET: 31
; COMPUTE_PGM_RSRC3_GFX90A:TG_SPLIT: 0
	.section	.text._ZN9rocsolver6v33100L18trti2_kernel_smallILi33EdPKPdEEv13rocblas_fill_17rocblas_diagonal_T1_iil,"axG",@progbits,_ZN9rocsolver6v33100L18trti2_kernel_smallILi33EdPKPdEEv13rocblas_fill_17rocblas_diagonal_T1_iil,comdat
	.globl	_ZN9rocsolver6v33100L18trti2_kernel_smallILi33EdPKPdEEv13rocblas_fill_17rocblas_diagonal_T1_iil ; -- Begin function _ZN9rocsolver6v33100L18trti2_kernel_smallILi33EdPKPdEEv13rocblas_fill_17rocblas_diagonal_T1_iil
	.p2align	8
	.type	_ZN9rocsolver6v33100L18trti2_kernel_smallILi33EdPKPdEEv13rocblas_fill_17rocblas_diagonal_T1_iil,@function
_ZN9rocsolver6v33100L18trti2_kernel_smallILi33EdPKPdEEv13rocblas_fill_17rocblas_diagonal_T1_iil: ; @_ZN9rocsolver6v33100L18trti2_kernel_smallILi33EdPKPdEEv13rocblas_fill_17rocblas_diagonal_T1_iil
; %bb.0:
	s_add_u32 s0, s0, s9
	s_addc_u32 s1, s1, 0
	v_cmp_gt_u32_e32 vcc, 33, v0
	s_and_saveexec_b64 s[6:7], vcc
	s_cbranch_execz .LBB96_632
; %bb.1:
	s_load_dwordx2 s[6:7], s[4:5], 0x10
	s_load_dwordx4 s[12:15], s[4:5], 0x0
	s_ashr_i32 s9, s8, 31
	s_lshl_b64 s[4:5], s[8:9], 3
	s_waitcnt lgkmcnt(0)
	s_ashr_i32 s9, s6, 31
	s_add_u32 s4, s14, s4
	s_addc_u32 s5, s15, s5
	s_load_dwordx2 s[4:5], s[4:5], 0x0
	s_mov_b32 s8, s6
	s_lshl_b64 s[8:9], s[8:9], 3
	s_waitcnt lgkmcnt(0)
	s_add_u32 s4, s4, s8
	s_addc_u32 s5, s5, s9
	s_add_i32 s6, s7, s7
	v_add_u32_e32 v4, s6, v0
	v_ashrrev_i32_e32 v5, 31, v4
	v_lshlrev_b64 v[2:3], 3, v[4:5]
	v_add_u32_e32 v6, s7, v4
	v_mov_b32_e32 v1, s5
	v_add_co_u32_e32 v2, vcc, s4, v2
	v_ashrrev_i32_e32 v7, 31, v6
	v_addc_co_u32_e32 v3, vcc, v1, v3, vcc
	v_lshlrev_b64 v[4:5], 3, v[6:7]
	v_add_u32_e32 v8, s7, v6
	v_add_co_u32_e32 v4, vcc, s4, v4
	v_ashrrev_i32_e32 v9, 31, v8
	v_addc_co_u32_e32 v5, vcc, v1, v5, vcc
	v_lshlrev_b64 v[6:7], 3, v[8:9]
	v_add_u32_e32 v10, s7, v8
	;; [unrolled: 5-line block ×5, first 2 shown]
	v_add_co_u32_e32 v14, vcc, s4, v14
	v_ashrrev_i32_e32 v13, 31, v12
	v_addc_co_u32_e32 v15, vcc, v1, v15, vcc
	v_lshlrev_b64 v[16:17], 3, v[12:13]
	v_add_co_u32_e32 v20, vcc, s4, v16
	v_add_u32_e32 v16, s7, v12
	v_addc_co_u32_e32 v21, vcc, v1, v17, vcc
	v_ashrrev_i32_e32 v17, 31, v16
	v_lshlrev_b64 v[12:13], 3, v[16:17]
	v_add_u32_e32 v18, s7, v16
	v_add_co_u32_e32 v12, vcc, s4, v12
	v_ashrrev_i32_e32 v19, 31, v18
	v_addc_co_u32_e32 v13, vcc, v1, v13, vcc
	v_lshlrev_b64 v[16:17], 3, v[18:19]
	v_add_u32_e32 v22, s7, v18
	v_add_co_u32_e32 v16, vcc, s4, v16
	v_ashrrev_i32_e32 v23, 31, v22
	v_addc_co_u32_e32 v17, vcc, v1, v17, vcc
	;; [unrolled: 5-line block ×16, first 2 shown]
	v_lshlrev_b64 v[48:49], 3, v[50:51]
	v_add_co_u32_e32 v48, vcc, s4, v48
	v_addc_co_u32_e32 v49, vcc, v1, v49, vcc
	v_lshlrev_b32_e32 v1, 3, v0
	v_add_u32_e32 v52, s7, v50
	global_load_dwordx2 v[68:69], v1, s[4:5]
	global_load_dwordx2 v[72:73], v[2:3], off
	global_load_dwordx2 v[74:75], v[4:5], off
	;; [unrolled: 1-line block ×3, first 2 shown]
	v_mov_b32_e32 v50, s5
	v_add_co_u32_e32 v64, vcc, s4, v1
	s_ashr_i32 s9, s7, 31
	s_mov_b32 s8, s7
	v_addc_co_u32_e32 v65, vcc, 0, v50, vcc
	s_lshl_b64 s[8:9], s[8:9], 3
	v_mov_b32_e32 v50, s9
	v_add_co_u32_e32 v66, vcc, s8, v64
	v_addc_co_u32_e32 v67, vcc, v65, v50, vcc
	global_load_dwordx2 v[70:71], v[66:67], off
	global_load_dwordx2 v[84:85], v[20:21], off
	v_ashrrev_i32_e32 v53, 31, v52
	v_lshlrev_b64 v[50:51], 3, v[52:53]
	v_add_u32_e32 v54, s7, v52
	v_mov_b32_e32 v53, s5
	v_add_co_u32_e32 v50, vcc, s4, v50
	v_ashrrev_i32_e32 v55, 31, v54
	v_addc_co_u32_e32 v51, vcc, v53, v51, vcc
	v_lshlrev_b64 v[52:53], 3, v[54:55]
	v_add_u32_e32 v56, s7, v54
	v_mov_b32_e32 v55, s5
	v_add_co_u32_e32 v52, vcc, s4, v52
	v_ashrrev_i32_e32 v57, 31, v56
	v_addc_co_u32_e32 v53, vcc, v55, v53, vcc
	v_lshlrev_b64 v[54:55], 3, v[56:57]
	v_add_u32_e32 v58, s7, v56
	v_mov_b32_e32 v57, s5
	v_add_co_u32_e32 v54, vcc, s4, v54
	v_ashrrev_i32_e32 v59, 31, v58
	v_addc_co_u32_e32 v55, vcc, v57, v55, vcc
	v_lshlrev_b64 v[56:57], 3, v[58:59]
	v_add_u32_e32 v60, s7, v58
	v_mov_b32_e32 v59, s5
	v_add_co_u32_e32 v56, vcc, s4, v56
	v_ashrrev_i32_e32 v61, 31, v60
	v_addc_co_u32_e32 v57, vcc, v59, v57, vcc
	v_lshlrev_b64 v[58:59], 3, v[60:61]
	v_add_u32_e32 v60, s7, v60
	v_mov_b32_e32 v62, s5
	v_add_co_u32_e32 v58, vcc, s4, v58
	v_ashrrev_i32_e32 v61, 31, v60
	v_addc_co_u32_e32 v59, vcc, v62, v59, vcc
	v_lshlrev_b64 v[62:63], 3, v[60:61]
	v_mov_b32_e32 v96, s5
	v_add_co_u32_e32 v62, vcc, s4, v62
	global_load_dwordx2 v[78:79], v[8:9], off
	global_load_dwordx2 v[80:81], v[10:11], off
	;; [unrolled: 1-line block ×8, first 2 shown]
	v_addc_co_u32_e32 v63, vcc, v96, v63, vcc
	global_load_dwordx2 v[96:97], v[26:27], off
	global_load_dwordx2 v[98:99], v[28:29], off
	;; [unrolled: 1-line block ×8, first 2 shown]
	v_add_u32_e32 v60, s7, v60
	v_ashrrev_i32_e32 v61, 31, v60
	v_lshlrev_b64 v[60:61], 3, v[60:61]
	v_mov_b32_e32 v112, s5
	v_add_co_u32_e32 v60, vcc, s4, v60
	v_addc_co_u32_e32 v61, vcc, v112, v61, vcc
	global_load_dwordx2 v[112:113], v[42:43], off
	global_load_dwordx2 v[114:115], v[44:45], off
	;; [unrolled: 1-line block ×6, first 2 shown]
	s_cmpk_lg_i32 s13, 0x84
	s_waitcnt vmcnt(27)
	buffer_store_dword v69, off, s[0:3], 0 offset:4
	buffer_store_dword v68, off, s[0:3], 0
	global_load_dwordx2 v[68:69], v[46:47], off
	s_cselect_b64 s[8:9], -1, 0
	s_waitcnt vmcnt(29)
	buffer_store_dword v73, off, s[0:3], 0 offset:20
	buffer_store_dword v72, off, s[0:3], 0 offset:16
	s_waitcnt vmcnt(28)
	buffer_store_dword v71, off, s[0:3], 0 offset:12
	buffer_store_dword v70, off, s[0:3], 0 offset:8
	global_load_dwordx2 v[70:71], v[50:51], off
	s_cmpk_eq_i32 s13, 0x84
	global_load_dwordx2 v[72:73], v[54:55], off
	s_nop 0
	buffer_store_dword v75, off, s[0:3], 0 offset:28
	buffer_store_dword v74, off, s[0:3], 0 offset:24
	global_load_dwordx2 v[74:75], v[58:59], off
	s_nop 0
	buffer_store_dword v77, off, s[0:3], 0 offset:36
	buffer_store_dword v76, off, s[0:3], 0 offset:32
	global_load_dwordx2 v[76:77], v[60:61], off
	s_waitcnt vmcnt(36)
	buffer_store_dword v79, off, s[0:3], 0 offset:44
	buffer_store_dword v78, off, s[0:3], 0 offset:40
	s_waitcnt vmcnt(37)
	buffer_store_dword v81, off, s[0:3], 0 offset:52
	buffer_store_dword v80, off, s[0:3], 0 offset:48
	;; [unrolled: 3-line block ×3, first 2 shown]
	buffer_store_dword v85, off, s[0:3], 0 offset:68
	buffer_store_dword v84, off, s[0:3], 0 offset:64
	;; [unrolled: 1-line block ×4, first 2 shown]
	s_waitcnt vmcnt(42)
	buffer_store_dword v88, off, s[0:3], 0 offset:80
	buffer_store_dword v89, off, s[0:3], 0 offset:84
	s_waitcnt vmcnt(43)
	buffer_store_dword v90, off, s[0:3], 0 offset:88
	buffer_store_dword v91, off, s[0:3], 0 offset:92
	;; [unrolled: 3-line block ×15, first 2 shown]
	buffer_store_dword v117, off, s[0:3], 0 offset:204
	buffer_store_dword v116, off, s[0:3], 0 offset:200
	s_waitcnt vmcnt(49)
	buffer_store_dword v71, off, s[0:3], 0 offset:212
	buffer_store_dword v70, off, s[0:3], 0 offset:208
	buffer_store_dword v118, off, s[0:3], 0 offset:216
	buffer_store_dword v119, off, s[0:3], 0 offset:220
	s_waitcnt vmcnt(52)
	buffer_store_dword v72, off, s[0:3], 0 offset:224
	buffer_store_dword v73, off, s[0:3], 0 offset:228
	;; [unrolled: 5-line block ×4, first 2 shown]
	v_mov_b32_e32 v68, 0
	v_mov_b32_e32 v101, 0
	;; [unrolled: 1-line block ×3, first 2 shown]
	s_cbranch_scc1 .LBB96_3
; %bb.2:
	v_lshl_add_u32 v78, v0, 3, v101
	buffer_load_dword v68, v78, s[0:3], 0 offen
	buffer_load_dword v69, v78, s[0:3], 0 offen offset:4
	s_waitcnt vmcnt(0)
	v_div_scale_f64 v[70:71], s[4:5], v[68:69], v[68:69], 1.0
	v_rcp_f64_e32 v[72:73], v[70:71]
	v_div_scale_f64 v[74:75], vcc, 1.0, v[68:69], 1.0
	v_fma_f64 v[76:77], -v[70:71], v[72:73], 1.0
	v_fmac_f64_e32 v[72:73], v[72:73], v[76:77]
	v_fma_f64 v[76:77], -v[70:71], v[72:73], 1.0
	v_fmac_f64_e32 v[72:73], v[72:73], v[76:77]
	v_mul_f64 v[76:77], v[74:75], v[72:73]
	v_fma_f64 v[70:71], -v[70:71], v[76:77], v[74:75]
	v_div_fmas_f64 v[70:71], v[70:71], v[72:73], v[76:77]
	v_div_fixup_f64 v[68:69], v[70:71], v[68:69], 1.0
	buffer_store_dword v68, v78, s[0:3], 0 offen
	buffer_store_dword v69, v78, s[0:3], 0 offen offset:4
	v_xor_b32_e32 v69, 0x80000000, v69
.LBB96_3:
	s_cmpk_eq_i32 s12, 0x79
	v_add_u32_e32 v70, 0x110, v1
	v_add_u32_e32 v71, 0, v1
	s_mov_b64 s[4:5], -1
	ds_write_b64 v1, v[68:69]
	s_cbranch_scc1 .LBB96_317
; %bb.4:
	buffer_load_dword v68, off, s[0:3], 0 offset:248
	buffer_load_dword v69, off, s[0:3], 0 offset:252
	v_cmp_eq_u32_e64 s[4:5], 32, v0
	s_waitcnt vmcnt(0)
	ds_write_b64 v70, v[68:69]
	s_waitcnt lgkmcnt(0)
	; wave barrier
	s_waitcnt lgkmcnt(0)
	s_and_saveexec_b64 s[6:7], s[4:5]
	s_cbranch_execz .LBB96_10
; %bb.5:
	s_and_b64 vcc, exec, s[8:9]
	s_cbranch_vccz .LBB96_7
; %bb.6:
	buffer_load_dword v68, v71, s[0:3], 0 offen
	buffer_load_dword v69, v71, s[0:3], 0 offen offset:4
	ds_read_b64 v[72:73], v70
	s_waitcnt vmcnt(0) lgkmcnt(0)
	v_mul_f64 v[68:69], v[68:69], v[72:73]
	s_cbranch_execz .LBB96_8
	s_branch .LBB96_9
.LBB96_7:
                                        ; implicit-def: $vgpr68_vgpr69
.LBB96_8:
	ds_read_b64 v[68:69], v70
.LBB96_9:
	v_mov_b32_e32 v72, 0
	ds_read_b64 v[72:73], v72 offset:248
	s_waitcnt lgkmcnt(0)
	v_mul_f64 v[68:69], v[68:69], v[72:73]
	buffer_store_dword v69, off, s[0:3], 0 offset:252
	buffer_store_dword v68, off, s[0:3], 0 offset:248
.LBB96_10:
	s_or_b64 exec, exec, s[6:7]
	buffer_load_dword v68, off, s[0:3], 0 offset:240
	buffer_load_dword v69, off, s[0:3], 0 offset:244
	v_or_b32_e32 v72, 8, v101
	v_add_u32_e32 v73, 16, v101
	v_add_u32_e32 v74, 24, v101
	;; [unrolled: 1-line block ×29, first 2 shown]
	v_cmp_lt_u32_e64 s[6:7], 30, v0
	s_waitcnt vmcnt(0)
	ds_write_b64 v70, v[68:69]
	s_waitcnt lgkmcnt(0)
	; wave barrier
	s_waitcnt lgkmcnt(0)
	s_and_saveexec_b64 s[10:11], s[6:7]
	s_cbranch_execz .LBB96_16
; %bb.11:
	s_andn2_b64 vcc, exec, s[8:9]
	s_cbranch_vccnz .LBB96_13
; %bb.12:
	buffer_load_dword v68, v71, s[0:3], 0 offen
	buffer_load_dword v69, v71, s[0:3], 0 offen offset:4
	ds_read_b64 v[102:103], v70
	s_waitcnt vmcnt(0) lgkmcnt(0)
	v_mul_f64 v[68:69], v[68:69], v[102:103]
	s_cbranch_execz .LBB96_14
	s_branch .LBB96_15
.LBB96_13:
                                        ; implicit-def: $vgpr68_vgpr69
.LBB96_14:
	ds_read_b64 v[68:69], v70
.LBB96_15:
	buffer_load_dword v106, off, s[0:3], 0 offset:248
	buffer_load_dword v107, off, s[0:3], 0 offset:252
	v_mov_b32_e32 v102, 0
	ds_read2_b64 v[102:105], v102 offset0:30 offset1:65
	s_waitcnt vmcnt(0) lgkmcnt(0)
	v_fma_f64 v[104:105], v[106:107], v[104:105], v[68:69]
	v_cndmask_b32_e64 v69, v69, v105, s[4:5]
	v_cndmask_b32_e64 v68, v68, v104, s[4:5]
	v_mul_f64 v[68:69], v[68:69], v[102:103]
	buffer_store_dword v69, off, s[0:3], 0 offset:244
	buffer_store_dword v68, off, s[0:3], 0 offset:240
.LBB96_16:
	s_or_b64 exec, exec, s[10:11]
	buffer_load_dword v68, off, s[0:3], 0 offset:232
	buffer_load_dword v69, off, s[0:3], 0 offset:236
	v_cmp_lt_u32_e64 s[4:5], 29, v0
	s_waitcnt vmcnt(0)
	ds_write_b64 v70, v[68:69]
	s_waitcnt lgkmcnt(0)
	; wave barrier
	s_waitcnt lgkmcnt(0)
	s_and_saveexec_b64 s[10:11], s[4:5]
	s_cbranch_execz .LBB96_26
; %bb.17:
	s_andn2_b64 vcc, exec, s[8:9]
	s_cbranch_vccnz .LBB96_19
; %bb.18:
	buffer_load_dword v68, v71, s[0:3], 0 offen
	buffer_load_dword v69, v71, s[0:3], 0 offen offset:4
	ds_read_b64 v[102:103], v70
	s_waitcnt vmcnt(0) lgkmcnt(0)
	v_mul_f64 v[68:69], v[68:69], v[102:103]
	s_cbranch_execz .LBB96_20
	s_branch .LBB96_21
.LBB96_19:
                                        ; implicit-def: $vgpr68_vgpr69
.LBB96_20:
	ds_read_b64 v[68:69], v70
.LBB96_21:
	s_and_saveexec_b64 s[12:13], s[6:7]
	s_cbranch_execz .LBB96_25
; %bb.22:
	v_subrev_u32_e32 v102, 30, v0
	s_movk_i32 s14, 0x200
	s_mov_b64 s[6:7], 0
.LBB96_23:                              ; =>This Inner Loop Header: Depth=1
	buffer_load_dword v104, v101, s[0:3], 0 offen
	buffer_load_dword v105, v101, s[0:3], 0 offen offset:4
	v_mov_b32_e32 v103, s14
	ds_read_b64 v[106:107], v103
	v_add_u32_e32 v102, -1, v102
	s_add_i32 s14, s14, 8
	v_cmp_eq_u32_e32 vcc, 0, v102
	v_add_u32_e32 v101, 8, v101
	s_or_b64 s[6:7], vcc, s[6:7]
	s_waitcnt vmcnt(0) lgkmcnt(0)
	v_fmac_f64_e32 v[68:69], v[104:105], v[106:107]
	s_andn2_b64 exec, exec, s[6:7]
	s_cbranch_execnz .LBB96_23
; %bb.24:
	s_or_b64 exec, exec, s[6:7]
.LBB96_25:
	s_or_b64 exec, exec, s[12:13]
	v_mov_b32_e32 v101, 0
	ds_read_b64 v[102:103], v101 offset:232
	s_waitcnt lgkmcnt(0)
	v_mul_f64 v[68:69], v[68:69], v[102:103]
	buffer_store_dword v69, off, s[0:3], 0 offset:236
	buffer_store_dword v68, off, s[0:3], 0 offset:232
.LBB96_26:
	s_or_b64 exec, exec, s[10:11]
	buffer_load_dword v68, off, s[0:3], 0 offset:224
	buffer_load_dword v69, off, s[0:3], 0 offset:228
	v_cmp_lt_u32_e64 s[6:7], 28, v0
	s_waitcnt vmcnt(0)
	ds_write_b64 v70, v[68:69]
	s_waitcnt lgkmcnt(0)
	; wave barrier
	s_waitcnt lgkmcnt(0)
	s_and_saveexec_b64 s[10:11], s[6:7]
	s_cbranch_execz .LBB96_36
; %bb.27:
	s_andn2_b64 vcc, exec, s[8:9]
	s_cbranch_vccnz .LBB96_29
; %bb.28:
	buffer_load_dword v68, v71, s[0:3], 0 offen
	buffer_load_dword v69, v71, s[0:3], 0 offen offset:4
	ds_read_b64 v[102:103], v70
	s_waitcnt vmcnt(0) lgkmcnt(0)
	v_mul_f64 v[68:69], v[68:69], v[102:103]
	s_cbranch_execz .LBB96_30
	s_branch .LBB96_31
.LBB96_29:
                                        ; implicit-def: $vgpr68_vgpr69
.LBB96_30:
	ds_read_b64 v[68:69], v70
.LBB96_31:
	s_and_saveexec_b64 s[12:13], s[4:5]
	s_cbranch_execz .LBB96_35
; %bb.32:
	v_subrev_u32_e32 v101, 29, v0
	s_movk_i32 s14, 0x1f8
	s_mov_b64 s[4:5], 0
.LBB96_33:                              ; =>This Inner Loop Header: Depth=1
	buffer_load_dword v102, v100, s[0:3], 0 offen
	buffer_load_dword v103, v100, s[0:3], 0 offen offset:4
	v_mov_b32_e32 v104, s14
	ds_read_b64 v[104:105], v104
	v_add_u32_e32 v101, -1, v101
	s_add_i32 s14, s14, 8
	v_cmp_eq_u32_e32 vcc, 0, v101
	v_add_u32_e32 v100, 8, v100
	s_or_b64 s[4:5], vcc, s[4:5]
	s_waitcnt vmcnt(0) lgkmcnt(0)
	v_fmac_f64_e32 v[68:69], v[102:103], v[104:105]
	s_andn2_b64 exec, exec, s[4:5]
	s_cbranch_execnz .LBB96_33
; %bb.34:
	s_or_b64 exec, exec, s[4:5]
.LBB96_35:
	s_or_b64 exec, exec, s[12:13]
	v_mov_b32_e32 v100, 0
	ds_read_b64 v[100:101], v100 offset:224
	s_waitcnt lgkmcnt(0)
	v_mul_f64 v[68:69], v[68:69], v[100:101]
	buffer_store_dword v69, off, s[0:3], 0 offset:228
	buffer_store_dword v68, off, s[0:3], 0 offset:224
.LBB96_36:
	;; [unrolled: 58-line block ×8, first 2 shown]
	s_or_b64 exec, exec, s[10:11]
	buffer_load_dword v68, off, s[0:3], 0 offset:168
	buffer_load_dword v69, off, s[0:3], 0 offset:172
	v_cmp_lt_u32_e64 s[4:5], 21, v0
	s_waitcnt vmcnt(0)
	ds_write_b64 v70, v[68:69]
	s_waitcnt lgkmcnt(0)
	; wave barrier
	s_waitcnt lgkmcnt(0)
	s_and_saveexec_b64 s[10:11], s[4:5]
	s_cbranch_execz .LBB96_106
; %bb.97:
	s_andn2_b64 vcc, exec, s[8:9]
	s_cbranch_vccnz .LBB96_99
; %bb.98:
	buffer_load_dword v68, v71, s[0:3], 0 offen
	buffer_load_dword v69, v71, s[0:3], 0 offen offset:4
	ds_read_b64 v[94:95], v70
	s_waitcnt vmcnt(0) lgkmcnt(0)
	v_mul_f64 v[68:69], v[68:69], v[94:95]
	s_cbranch_execz .LBB96_100
	s_branch .LBB96_101
.LBB96_99:
                                        ; implicit-def: $vgpr68_vgpr69
.LBB96_100:
	ds_read_b64 v[68:69], v70
.LBB96_101:
	s_and_saveexec_b64 s[12:13], s[6:7]
	s_cbranch_execz .LBB96_105
; %bb.102:
	v_subrev_u32_e32 v94, 22, v0
	s_movk_i32 s14, 0x1c0
	s_mov_b64 s[6:7], 0
.LBB96_103:                             ; =>This Inner Loop Header: Depth=1
	buffer_load_dword v96, v93, s[0:3], 0 offen
	buffer_load_dword v97, v93, s[0:3], 0 offen offset:4
	v_mov_b32_e32 v95, s14
	ds_read_b64 v[98:99], v95
	v_add_u32_e32 v94, -1, v94
	s_add_i32 s14, s14, 8
	v_cmp_eq_u32_e32 vcc, 0, v94
	v_add_u32_e32 v93, 8, v93
	s_or_b64 s[6:7], vcc, s[6:7]
	s_waitcnt vmcnt(0) lgkmcnt(0)
	v_fmac_f64_e32 v[68:69], v[96:97], v[98:99]
	s_andn2_b64 exec, exec, s[6:7]
	s_cbranch_execnz .LBB96_103
; %bb.104:
	s_or_b64 exec, exec, s[6:7]
.LBB96_105:
	s_or_b64 exec, exec, s[12:13]
	v_mov_b32_e32 v93, 0
	ds_read_b64 v[94:95], v93 offset:168
	s_waitcnt lgkmcnt(0)
	v_mul_f64 v[68:69], v[68:69], v[94:95]
	buffer_store_dword v69, off, s[0:3], 0 offset:172
	buffer_store_dword v68, off, s[0:3], 0 offset:168
.LBB96_106:
	s_or_b64 exec, exec, s[10:11]
	buffer_load_dword v68, off, s[0:3], 0 offset:160
	buffer_load_dword v69, off, s[0:3], 0 offset:164
	v_cmp_lt_u32_e64 s[6:7], 20, v0
	s_waitcnt vmcnt(0)
	ds_write_b64 v70, v[68:69]
	s_waitcnt lgkmcnt(0)
	; wave barrier
	s_waitcnt lgkmcnt(0)
	s_and_saveexec_b64 s[10:11], s[6:7]
	s_cbranch_execz .LBB96_116
; %bb.107:
	s_andn2_b64 vcc, exec, s[8:9]
	s_cbranch_vccnz .LBB96_109
; %bb.108:
	buffer_load_dword v68, v71, s[0:3], 0 offen
	buffer_load_dword v69, v71, s[0:3], 0 offen offset:4
	ds_read_b64 v[94:95], v70
	s_waitcnt vmcnt(0) lgkmcnt(0)
	v_mul_f64 v[68:69], v[68:69], v[94:95]
	s_cbranch_execz .LBB96_110
	s_branch .LBB96_111
.LBB96_109:
                                        ; implicit-def: $vgpr68_vgpr69
.LBB96_110:
	ds_read_b64 v[68:69], v70
.LBB96_111:
	s_and_saveexec_b64 s[12:13], s[4:5]
	s_cbranch_execz .LBB96_115
; %bb.112:
	v_subrev_u32_e32 v93, 21, v0
	s_movk_i32 s14, 0x1b8
	s_mov_b64 s[4:5], 0
.LBB96_113:                             ; =>This Inner Loop Header: Depth=1
	buffer_load_dword v94, v92, s[0:3], 0 offen
	buffer_load_dword v95, v92, s[0:3], 0 offen offset:4
	v_mov_b32_e32 v96, s14
	ds_read_b64 v[96:97], v96
	v_add_u32_e32 v93, -1, v93
	s_add_i32 s14, s14, 8
	v_cmp_eq_u32_e32 vcc, 0, v93
	v_add_u32_e32 v92, 8, v92
	s_or_b64 s[4:5], vcc, s[4:5]
	s_waitcnt vmcnt(0) lgkmcnt(0)
	v_fmac_f64_e32 v[68:69], v[94:95], v[96:97]
	s_andn2_b64 exec, exec, s[4:5]
	s_cbranch_execnz .LBB96_113
; %bb.114:
	s_or_b64 exec, exec, s[4:5]
.LBB96_115:
	s_or_b64 exec, exec, s[12:13]
	v_mov_b32_e32 v92, 0
	ds_read_b64 v[92:93], v92 offset:160
	s_waitcnt lgkmcnt(0)
	v_mul_f64 v[68:69], v[68:69], v[92:93]
	buffer_store_dword v69, off, s[0:3], 0 offset:164
	buffer_store_dword v68, off, s[0:3], 0 offset:160
.LBB96_116:
	;; [unrolled: 58-line block ×6, first 2 shown]
	s_or_b64 exec, exec, s[10:11]
	buffer_load_dword v68, off, s[0:3], 0 offset:120
	buffer_load_dword v69, off, s[0:3], 0 offset:124
	v_cmp_lt_u32_e64 s[4:5], 15, v0
	s_waitcnt vmcnt(0)
	ds_write_b64 v70, v[68:69]
	s_waitcnt lgkmcnt(0)
	; wave barrier
	s_waitcnt lgkmcnt(0)
	s_and_saveexec_b64 s[10:11], s[4:5]
	s_cbranch_execz .LBB96_166
; %bb.157:
	s_andn2_b64 vcc, exec, s[8:9]
	s_cbranch_vccnz .LBB96_159
; %bb.158:
	buffer_load_dword v68, v71, s[0:3], 0 offen
	buffer_load_dword v69, v71, s[0:3], 0 offen offset:4
	ds_read_b64 v[88:89], v70
	s_waitcnt vmcnt(0) lgkmcnt(0)
	v_mul_f64 v[68:69], v[68:69], v[88:89]
	s_cbranch_execz .LBB96_160
	s_branch .LBB96_161
.LBB96_159:
                                        ; implicit-def: $vgpr68_vgpr69
.LBB96_160:
	ds_read_b64 v[68:69], v70
.LBB96_161:
	s_and_saveexec_b64 s[12:13], s[6:7]
	s_cbranch_execz .LBB96_165
; %bb.162:
	v_add_u32_e32 v88, -16, v0
	s_movk_i32 s14, 0x190
	s_mov_b64 s[6:7], 0
.LBB96_163:                             ; =>This Inner Loop Header: Depth=1
	buffer_load_dword v90, v87, s[0:3], 0 offen
	buffer_load_dword v91, v87, s[0:3], 0 offen offset:4
	v_mov_b32_e32 v89, s14
	ds_read_b64 v[92:93], v89
	v_add_u32_e32 v88, -1, v88
	s_add_i32 s14, s14, 8
	v_cmp_eq_u32_e32 vcc, 0, v88
	v_add_u32_e32 v87, 8, v87
	s_or_b64 s[6:7], vcc, s[6:7]
	s_waitcnt vmcnt(0) lgkmcnt(0)
	v_fmac_f64_e32 v[68:69], v[90:91], v[92:93]
	s_andn2_b64 exec, exec, s[6:7]
	s_cbranch_execnz .LBB96_163
; %bb.164:
	s_or_b64 exec, exec, s[6:7]
.LBB96_165:
	s_or_b64 exec, exec, s[12:13]
	v_mov_b32_e32 v87, 0
	ds_read_b64 v[88:89], v87 offset:120
	s_waitcnt lgkmcnt(0)
	v_mul_f64 v[68:69], v[68:69], v[88:89]
	buffer_store_dword v69, off, s[0:3], 0 offset:124
	buffer_store_dword v68, off, s[0:3], 0 offset:120
.LBB96_166:
	s_or_b64 exec, exec, s[10:11]
	buffer_load_dword v68, off, s[0:3], 0 offset:112
	buffer_load_dword v69, off, s[0:3], 0 offset:116
	v_cmp_lt_u32_e64 s[6:7], 14, v0
	s_waitcnt vmcnt(0)
	ds_write_b64 v70, v[68:69]
	s_waitcnt lgkmcnt(0)
	; wave barrier
	s_waitcnt lgkmcnt(0)
	s_and_saveexec_b64 s[10:11], s[6:7]
	s_cbranch_execz .LBB96_176
; %bb.167:
	s_andn2_b64 vcc, exec, s[8:9]
	s_cbranch_vccnz .LBB96_169
; %bb.168:
	buffer_load_dword v68, v71, s[0:3], 0 offen
	buffer_load_dword v69, v71, s[0:3], 0 offen offset:4
	ds_read_b64 v[88:89], v70
	s_waitcnt vmcnt(0) lgkmcnt(0)
	v_mul_f64 v[68:69], v[68:69], v[88:89]
	s_cbranch_execz .LBB96_170
	s_branch .LBB96_171
.LBB96_169:
                                        ; implicit-def: $vgpr68_vgpr69
.LBB96_170:
	ds_read_b64 v[68:69], v70
.LBB96_171:
	s_and_saveexec_b64 s[12:13], s[4:5]
	s_cbranch_execz .LBB96_175
; %bb.172:
	v_add_u32_e32 v87, -15, v0
	s_movk_i32 s14, 0x188
	s_mov_b64 s[4:5], 0
.LBB96_173:                             ; =>This Inner Loop Header: Depth=1
	buffer_load_dword v88, v86, s[0:3], 0 offen
	buffer_load_dword v89, v86, s[0:3], 0 offen offset:4
	v_mov_b32_e32 v90, s14
	ds_read_b64 v[90:91], v90
	v_add_u32_e32 v87, -1, v87
	s_add_i32 s14, s14, 8
	v_cmp_eq_u32_e32 vcc, 0, v87
	v_add_u32_e32 v86, 8, v86
	s_or_b64 s[4:5], vcc, s[4:5]
	s_waitcnt vmcnt(0) lgkmcnt(0)
	v_fmac_f64_e32 v[68:69], v[88:89], v[90:91]
	s_andn2_b64 exec, exec, s[4:5]
	s_cbranch_execnz .LBB96_173
; %bb.174:
	s_or_b64 exec, exec, s[4:5]
.LBB96_175:
	s_or_b64 exec, exec, s[12:13]
	v_mov_b32_e32 v86, 0
	ds_read_b64 v[86:87], v86 offset:112
	s_waitcnt lgkmcnt(0)
	v_mul_f64 v[68:69], v[68:69], v[86:87]
	buffer_store_dword v69, off, s[0:3], 0 offset:116
	buffer_store_dword v68, off, s[0:3], 0 offset:112
.LBB96_176:
	;; [unrolled: 58-line block ×15, first 2 shown]
	s_or_b64 exec, exec, s[10:11]
	buffer_load_dword v68, off, s[0:3], 0
	buffer_load_dword v69, off, s[0:3], 0 offset:4
	v_cmp_ne_u32_e32 vcc, 0, v0
	s_waitcnt vmcnt(0)
	ds_write_b64 v70, v[68:69]
	s_waitcnt lgkmcnt(0)
	; wave barrier
	s_waitcnt lgkmcnt(0)
	s_and_saveexec_b64 s[6:7], vcc
	s_cbranch_execz .LBB96_316
; %bb.307:
	s_andn2_b64 vcc, exec, s[8:9]
	s_cbranch_vccnz .LBB96_309
; %bb.308:
	buffer_load_dword v68, v71, s[0:3], 0 offen
	buffer_load_dword v69, v71, s[0:3], 0 offen offset:4
	ds_read_b64 v[74:75], v70
	s_waitcnt vmcnt(0) lgkmcnt(0)
	v_mul_f64 v[68:69], v[68:69], v[74:75]
	s_cbranch_execz .LBB96_310
	s_branch .LBB96_311
.LBB96_309:
                                        ; implicit-def: $vgpr68_vgpr69
.LBB96_310:
	ds_read_b64 v[68:69], v70
.LBB96_311:
	s_and_saveexec_b64 s[10:11], s[4:5]
	s_cbranch_execz .LBB96_315
; %bb.312:
	v_add_u32_e32 v73, -1, v0
	s_movk_i32 s12, 0x118
	s_mov_b64 s[4:5], 0
.LBB96_313:                             ; =>This Inner Loop Header: Depth=1
	buffer_load_dword v74, v72, s[0:3], 0 offen
	buffer_load_dword v75, v72, s[0:3], 0 offen offset:4
	v_mov_b32_e32 v76, s12
	ds_read_b64 v[76:77], v76
	v_add_u32_e32 v73, -1, v73
	s_add_i32 s12, s12, 8
	v_cmp_eq_u32_e32 vcc, 0, v73
	v_add_u32_e32 v72, 8, v72
	s_or_b64 s[4:5], vcc, s[4:5]
	s_waitcnt vmcnt(0) lgkmcnt(0)
	v_fmac_f64_e32 v[68:69], v[74:75], v[76:77]
	s_andn2_b64 exec, exec, s[4:5]
	s_cbranch_execnz .LBB96_313
; %bb.314:
	s_or_b64 exec, exec, s[4:5]
.LBB96_315:
	s_or_b64 exec, exec, s[10:11]
	v_mov_b32_e32 v72, 0
	ds_read_b64 v[72:73], v72
	s_waitcnt lgkmcnt(0)
	v_mul_f64 v[68:69], v[68:69], v[72:73]
	buffer_store_dword v69, off, s[0:3], 0 offset:4
	buffer_store_dword v68, off, s[0:3], 0
.LBB96_316:
	s_or_b64 exec, exec, s[6:7]
	s_mov_b64 s[4:5], 0
.LBB96_317:
	s_and_b64 vcc, exec, s[4:5]
	s_cbranch_vccz .LBB96_631
; %bb.318:
	buffer_load_dword v68, off, s[0:3], 0 offset:8
	buffer_load_dword v69, off, s[0:3], 0 offset:12
	v_cmp_eq_u32_e64 s[6:7], 0, v0
	s_waitcnt vmcnt(0)
	ds_write_b64 v70, v[68:69]
	s_waitcnt lgkmcnt(0)
	; wave barrier
	s_waitcnt lgkmcnt(0)
	s_and_saveexec_b64 s[4:5], s[6:7]
	s_cbranch_execz .LBB96_324
; %bb.319:
	s_and_b64 vcc, exec, s[8:9]
	s_cbranch_vccz .LBB96_321
; %bb.320:
	buffer_load_dword v68, v71, s[0:3], 0 offen
	buffer_load_dword v69, v71, s[0:3], 0 offen offset:4
	ds_read_b64 v[72:73], v70
	s_waitcnt vmcnt(0) lgkmcnt(0)
	v_mul_f64 v[68:69], v[68:69], v[72:73]
	s_cbranch_execz .LBB96_322
	s_branch .LBB96_323
.LBB96_321:
                                        ; implicit-def: $vgpr68_vgpr69
.LBB96_322:
	ds_read_b64 v[68:69], v70
.LBB96_323:
	v_mov_b32_e32 v72, 0
	ds_read_b64 v[72:73], v72 offset:8
	s_waitcnt lgkmcnt(0)
	v_mul_f64 v[68:69], v[68:69], v[72:73]
	buffer_store_dword v69, off, s[0:3], 0 offset:12
	buffer_store_dword v68, off, s[0:3], 0 offset:8
.LBB96_324:
	s_or_b64 exec, exec, s[4:5]
	buffer_load_dword v68, off, s[0:3], 0 offset:16
	buffer_load_dword v69, off, s[0:3], 0 offset:20
	v_cndmask_b32_e64 v72, 0, 1, s[8:9]
	v_cmp_gt_u32_e32 vcc, 2, v0
	v_cmp_ne_u32_e64 s[4:5], 1, v72
	s_waitcnt vmcnt(0)
	ds_write_b64 v70, v[68:69]
	s_waitcnt lgkmcnt(0)
	; wave barrier
	s_waitcnt lgkmcnt(0)
	s_and_saveexec_b64 s[8:9], vcc
	s_cbranch_execz .LBB96_332
; %bb.325:
	s_and_b64 vcc, exec, s[4:5]
	s_cbranch_vccnz .LBB96_327
; %bb.326:
	buffer_load_dword v68, v71, s[0:3], 0 offen
	buffer_load_dword v69, v71, s[0:3], 0 offen offset:4
	ds_read_b64 v[72:73], v70
	s_waitcnt vmcnt(0) lgkmcnt(0)
	v_mul_f64 v[68:69], v[68:69], v[72:73]
	s_cbranch_execz .LBB96_328
	s_branch .LBB96_329
.LBB96_327:
                                        ; implicit-def: $vgpr68_vgpr69
.LBB96_328:
	ds_read_b64 v[68:69], v70
.LBB96_329:
	s_and_saveexec_b64 s[10:11], s[6:7]
	s_cbranch_execz .LBB96_331
; %bb.330:
	buffer_load_dword v72, v71, s[0:3], 0 offen offset:8
	buffer_load_dword v73, v71, s[0:3], 0 offen offset:12
	ds_read_b64 v[74:75], v70 offset:8
	s_waitcnt vmcnt(0) lgkmcnt(0)
	v_fmac_f64_e32 v[68:69], v[72:73], v[74:75]
.LBB96_331:
	s_or_b64 exec, exec, s[10:11]
	v_mov_b32_e32 v72, 0
	ds_read_b64 v[72:73], v72 offset:16
	s_waitcnt lgkmcnt(0)
	v_mul_f64 v[68:69], v[68:69], v[72:73]
	buffer_store_dword v69, off, s[0:3], 0 offset:20
	buffer_store_dword v68, off, s[0:3], 0 offset:16
.LBB96_332:
	s_or_b64 exec, exec, s[8:9]
	buffer_load_dword v68, off, s[0:3], 0 offset:24
	buffer_load_dword v69, off, s[0:3], 0 offset:28
	v_cmp_gt_u32_e32 vcc, 3, v0
	s_waitcnt vmcnt(0)
	ds_write_b64 v70, v[68:69]
	s_waitcnt lgkmcnt(0)
	; wave barrier
	s_waitcnt lgkmcnt(0)
	s_and_saveexec_b64 s[8:9], vcc
	s_cbranch_execz .LBB96_340
; %bb.333:
	s_and_b64 vcc, exec, s[4:5]
	s_cbranch_vccnz .LBB96_335
; %bb.334:
	buffer_load_dword v68, v71, s[0:3], 0 offen
	buffer_load_dword v69, v71, s[0:3], 0 offen offset:4
	ds_read_b64 v[72:73], v70
	s_waitcnt vmcnt(0) lgkmcnt(0)
	v_mul_f64 v[68:69], v[68:69], v[72:73]
	s_cbranch_execz .LBB96_336
	s_branch .LBB96_337
.LBB96_335:
                                        ; implicit-def: $vgpr68_vgpr69
.LBB96_336:
	ds_read_b64 v[68:69], v70
.LBB96_337:
	v_cmp_ne_u32_e32 vcc, 2, v0
	s_and_saveexec_b64 s[10:11], vcc
	s_cbranch_execz .LBB96_339
; %bb.338:
	buffer_load_dword v73, v71, s[0:3], 0 offen offset:12
	buffer_load_dword v74, off, s[0:3], 0 offset:16
	buffer_load_dword v72, v71, s[0:3], 0 offen offset:8
	buffer_load_dword v75, off, s[0:3], 0 offset:20
	v_mov_b32_e32 v78, 0
	ds_read_b64 v[76:77], v70 offset:8
	ds_read_b64 v[78:79], v78 offset:288
	s_waitcnt vmcnt(1) lgkmcnt(1)
	v_fmac_f64_e32 v[68:69], v[72:73], v[76:77]
	s_waitcnt vmcnt(0) lgkmcnt(0)
	v_fma_f64 v[72:73], v[74:75], v[78:79], v[68:69]
	v_cndmask_b32_e64 v69, v69, v73, s[6:7]
	v_cndmask_b32_e64 v68, v68, v72, s[6:7]
.LBB96_339:
	s_or_b64 exec, exec, s[10:11]
	v_mov_b32_e32 v72, 0
	ds_read_b64 v[72:73], v72 offset:24
	s_waitcnt lgkmcnt(0)
	v_mul_f64 v[68:69], v[68:69], v[72:73]
	buffer_store_dword v69, off, s[0:3], 0 offset:28
	buffer_store_dword v68, off, s[0:3], 0 offset:24
.LBB96_340:
	s_or_b64 exec, exec, s[8:9]
	buffer_load_dword v68, off, s[0:3], 0 offset:32
	buffer_load_dword v69, off, s[0:3], 0 offset:36
	v_cmp_gt_u32_e32 vcc, 4, v0
	s_waitcnt vmcnt(0)
	ds_write_b64 v70, v[68:69]
	s_waitcnt lgkmcnt(0)
	; wave barrier
	s_waitcnt lgkmcnt(0)
	s_and_saveexec_b64 s[6:7], vcc
	s_cbranch_execz .LBB96_350
; %bb.341:
	s_and_b64 vcc, exec, s[4:5]
	s_cbranch_vccnz .LBB96_343
; %bb.342:
	buffer_load_dword v68, v71, s[0:3], 0 offen
	buffer_load_dword v69, v71, s[0:3], 0 offen offset:4
	ds_read_b64 v[72:73], v70
	s_waitcnt vmcnt(0) lgkmcnt(0)
	v_mul_f64 v[68:69], v[68:69], v[72:73]
	s_cbranch_execz .LBB96_344
	s_branch .LBB96_345
.LBB96_343:
                                        ; implicit-def: $vgpr68_vgpr69
.LBB96_344:
	ds_read_b64 v[68:69], v70
.LBB96_345:
	v_cmp_ne_u32_e32 vcc, 3, v0
	s_and_saveexec_b64 s[8:9], vcc
	s_cbranch_execz .LBB96_349
; %bb.346:
	v_mov_b32_e32 v73, 0
	v_add_u32_e32 v72, 0x118, v1
	v_add3_u32 v73, v1, v73, 8
	s_mov_b64 s[10:11], 0
	v_mov_b32_e32 v74, v0
.LBB96_347:                             ; =>This Inner Loop Header: Depth=1
	buffer_load_dword v76, v73, s[0:3], 0 offen
	buffer_load_dword v77, v73, s[0:3], 0 offen offset:4
	ds_read_b64 v[78:79], v72
	v_add_u32_e32 v74, 1, v74
	v_cmp_lt_u32_e32 vcc, 2, v74
	v_add_u32_e32 v72, 8, v72
	v_add_u32_e32 v73, 8, v73
	s_or_b64 s[10:11], vcc, s[10:11]
	s_waitcnt vmcnt(0) lgkmcnt(0)
	v_fmac_f64_e32 v[68:69], v[76:77], v[78:79]
	s_andn2_b64 exec, exec, s[10:11]
	s_cbranch_execnz .LBB96_347
; %bb.348:
	s_or_b64 exec, exec, s[10:11]
.LBB96_349:
	s_or_b64 exec, exec, s[8:9]
	v_mov_b32_e32 v72, 0
	ds_read_b64 v[72:73], v72 offset:32
	s_waitcnt lgkmcnt(0)
	v_mul_f64 v[68:69], v[68:69], v[72:73]
	buffer_store_dword v69, off, s[0:3], 0 offset:36
	buffer_store_dword v68, off, s[0:3], 0 offset:32
.LBB96_350:
	s_or_b64 exec, exec, s[6:7]
	buffer_load_dword v68, off, s[0:3], 0 offset:40
	buffer_load_dword v69, off, s[0:3], 0 offset:44
	v_cmp_gt_u32_e32 vcc, 5, v0
	s_waitcnt vmcnt(0)
	ds_write_b64 v70, v[68:69]
	s_waitcnt lgkmcnt(0)
	; wave barrier
	s_waitcnt lgkmcnt(0)
	s_and_saveexec_b64 s[6:7], vcc
	s_cbranch_execz .LBB96_360
; %bb.351:
	s_and_b64 vcc, exec, s[4:5]
	s_cbranch_vccnz .LBB96_353
; %bb.352:
	buffer_load_dword v68, v71, s[0:3], 0 offen
	buffer_load_dword v69, v71, s[0:3], 0 offen offset:4
	ds_read_b64 v[72:73], v70
	s_waitcnt vmcnt(0) lgkmcnt(0)
	v_mul_f64 v[68:69], v[68:69], v[72:73]
	s_cbranch_execz .LBB96_354
	s_branch .LBB96_355
.LBB96_353:
                                        ; implicit-def: $vgpr68_vgpr69
.LBB96_354:
	ds_read_b64 v[68:69], v70
.LBB96_355:
	v_cmp_ne_u32_e32 vcc, 4, v0
	s_and_saveexec_b64 s[8:9], vcc
	s_cbranch_execz .LBB96_359
; %bb.356:
	v_mov_b32_e32 v73, 0
	v_add_u32_e32 v72, 0x118, v1
	v_add3_u32 v73, v1, v73, 8
	s_mov_b64 s[10:11], 0
	v_mov_b32_e32 v74, v0
.LBB96_357:                             ; =>This Inner Loop Header: Depth=1
	buffer_load_dword v76, v73, s[0:3], 0 offen
	buffer_load_dword v77, v73, s[0:3], 0 offen offset:4
	ds_read_b64 v[78:79], v72
	v_add_u32_e32 v74, 1, v74
	v_cmp_lt_u32_e32 vcc, 3, v74
	v_add_u32_e32 v72, 8, v72
	v_add_u32_e32 v73, 8, v73
	s_or_b64 s[10:11], vcc, s[10:11]
	s_waitcnt vmcnt(0) lgkmcnt(0)
	v_fmac_f64_e32 v[68:69], v[76:77], v[78:79]
	s_andn2_b64 exec, exec, s[10:11]
	s_cbranch_execnz .LBB96_357
; %bb.358:
	s_or_b64 exec, exec, s[10:11]
.LBB96_359:
	s_or_b64 exec, exec, s[8:9]
	v_mov_b32_e32 v72, 0
	ds_read_b64 v[72:73], v72 offset:40
	s_waitcnt lgkmcnt(0)
	v_mul_f64 v[68:69], v[68:69], v[72:73]
	buffer_store_dword v69, off, s[0:3], 0 offset:44
	buffer_store_dword v68, off, s[0:3], 0 offset:40
.LBB96_360:
	s_or_b64 exec, exec, s[6:7]
	buffer_load_dword v68, off, s[0:3], 0 offset:48
	buffer_load_dword v69, off, s[0:3], 0 offset:52
	v_cmp_gt_u32_e32 vcc, 6, v0
	s_waitcnt vmcnt(0)
	ds_write_b64 v70, v[68:69]
	s_waitcnt lgkmcnt(0)
	; wave barrier
	s_waitcnt lgkmcnt(0)
	s_and_saveexec_b64 s[6:7], vcc
	s_cbranch_execz .LBB96_370
; %bb.361:
	s_and_b64 vcc, exec, s[4:5]
	s_cbranch_vccnz .LBB96_363
; %bb.362:
	buffer_load_dword v68, v71, s[0:3], 0 offen
	buffer_load_dword v69, v71, s[0:3], 0 offen offset:4
	ds_read_b64 v[72:73], v70
	s_waitcnt vmcnt(0) lgkmcnt(0)
	v_mul_f64 v[68:69], v[68:69], v[72:73]
	s_cbranch_execz .LBB96_364
	s_branch .LBB96_365
.LBB96_363:
                                        ; implicit-def: $vgpr68_vgpr69
.LBB96_364:
	ds_read_b64 v[68:69], v70
.LBB96_365:
	v_cmp_ne_u32_e32 vcc, 5, v0
	s_and_saveexec_b64 s[8:9], vcc
	s_cbranch_execz .LBB96_369
; %bb.366:
	v_mov_b32_e32 v73, 0
	v_add_u32_e32 v72, 0x118, v1
	v_add3_u32 v73, v1, v73, 8
	s_mov_b64 s[10:11], 0
	v_mov_b32_e32 v74, v0
.LBB96_367:                             ; =>This Inner Loop Header: Depth=1
	buffer_load_dword v76, v73, s[0:3], 0 offen
	buffer_load_dword v77, v73, s[0:3], 0 offen offset:4
	ds_read_b64 v[78:79], v72
	v_add_u32_e32 v74, 1, v74
	v_cmp_lt_u32_e32 vcc, 4, v74
	v_add_u32_e32 v72, 8, v72
	v_add_u32_e32 v73, 8, v73
	s_or_b64 s[10:11], vcc, s[10:11]
	s_waitcnt vmcnt(0) lgkmcnt(0)
	v_fmac_f64_e32 v[68:69], v[76:77], v[78:79]
	s_andn2_b64 exec, exec, s[10:11]
	s_cbranch_execnz .LBB96_367
; %bb.368:
	s_or_b64 exec, exec, s[10:11]
.LBB96_369:
	s_or_b64 exec, exec, s[8:9]
	v_mov_b32_e32 v72, 0
	ds_read_b64 v[72:73], v72 offset:48
	s_waitcnt lgkmcnt(0)
	v_mul_f64 v[68:69], v[68:69], v[72:73]
	buffer_store_dword v69, off, s[0:3], 0 offset:52
	buffer_store_dword v68, off, s[0:3], 0 offset:48
.LBB96_370:
	s_or_b64 exec, exec, s[6:7]
	buffer_load_dword v68, off, s[0:3], 0 offset:56
	buffer_load_dword v69, off, s[0:3], 0 offset:60
	v_cmp_gt_u32_e32 vcc, 7, v0
	s_waitcnt vmcnt(0)
	ds_write_b64 v70, v[68:69]
	s_waitcnt lgkmcnt(0)
	; wave barrier
	s_waitcnt lgkmcnt(0)
	s_and_saveexec_b64 s[6:7], vcc
	s_cbranch_execz .LBB96_380
; %bb.371:
	s_and_b64 vcc, exec, s[4:5]
	s_cbranch_vccnz .LBB96_373
; %bb.372:
	buffer_load_dword v68, v71, s[0:3], 0 offen
	buffer_load_dword v69, v71, s[0:3], 0 offen offset:4
	ds_read_b64 v[72:73], v70
	s_waitcnt vmcnt(0) lgkmcnt(0)
	v_mul_f64 v[68:69], v[68:69], v[72:73]
	s_cbranch_execz .LBB96_374
	s_branch .LBB96_375
.LBB96_373:
                                        ; implicit-def: $vgpr68_vgpr69
.LBB96_374:
	ds_read_b64 v[68:69], v70
.LBB96_375:
	v_cmp_ne_u32_e32 vcc, 6, v0
	s_and_saveexec_b64 s[8:9], vcc
	s_cbranch_execz .LBB96_379
; %bb.376:
	v_mov_b32_e32 v73, 0
	v_add_u32_e32 v72, 0x118, v1
	v_add3_u32 v73, v1, v73, 8
	s_mov_b64 s[10:11], 0
	v_mov_b32_e32 v74, v0
.LBB96_377:                             ; =>This Inner Loop Header: Depth=1
	buffer_load_dword v76, v73, s[0:3], 0 offen
	buffer_load_dword v77, v73, s[0:3], 0 offen offset:4
	ds_read_b64 v[78:79], v72
	v_add_u32_e32 v74, 1, v74
	v_cmp_lt_u32_e32 vcc, 5, v74
	v_add_u32_e32 v72, 8, v72
	v_add_u32_e32 v73, 8, v73
	s_or_b64 s[10:11], vcc, s[10:11]
	s_waitcnt vmcnt(0) lgkmcnt(0)
	v_fmac_f64_e32 v[68:69], v[76:77], v[78:79]
	s_andn2_b64 exec, exec, s[10:11]
	s_cbranch_execnz .LBB96_377
; %bb.378:
	s_or_b64 exec, exec, s[10:11]
.LBB96_379:
	s_or_b64 exec, exec, s[8:9]
	v_mov_b32_e32 v72, 0
	ds_read_b64 v[72:73], v72 offset:56
	s_waitcnt lgkmcnt(0)
	v_mul_f64 v[68:69], v[68:69], v[72:73]
	buffer_store_dword v69, off, s[0:3], 0 offset:60
	buffer_store_dword v68, off, s[0:3], 0 offset:56
.LBB96_380:
	s_or_b64 exec, exec, s[6:7]
	buffer_load_dword v68, off, s[0:3], 0 offset:64
	buffer_load_dword v69, off, s[0:3], 0 offset:68
	v_cmp_gt_u32_e32 vcc, 8, v0
	s_waitcnt vmcnt(0)
	ds_write_b64 v70, v[68:69]
	s_waitcnt lgkmcnt(0)
	; wave barrier
	s_waitcnt lgkmcnt(0)
	s_and_saveexec_b64 s[6:7], vcc
	s_cbranch_execz .LBB96_390
; %bb.381:
	s_and_b64 vcc, exec, s[4:5]
	s_cbranch_vccnz .LBB96_383
; %bb.382:
	buffer_load_dword v68, v71, s[0:3], 0 offen
	buffer_load_dword v69, v71, s[0:3], 0 offen offset:4
	ds_read_b64 v[72:73], v70
	s_waitcnt vmcnt(0) lgkmcnt(0)
	v_mul_f64 v[68:69], v[68:69], v[72:73]
	s_cbranch_execz .LBB96_384
	s_branch .LBB96_385
.LBB96_383:
                                        ; implicit-def: $vgpr68_vgpr69
.LBB96_384:
	ds_read_b64 v[68:69], v70
.LBB96_385:
	v_cmp_ne_u32_e32 vcc, 7, v0
	s_and_saveexec_b64 s[8:9], vcc
	s_cbranch_execz .LBB96_389
; %bb.386:
	v_mov_b32_e32 v73, 0
	v_add_u32_e32 v72, 0x118, v1
	v_add3_u32 v73, v1, v73, 8
	s_mov_b64 s[10:11], 0
	v_mov_b32_e32 v74, v0
.LBB96_387:                             ; =>This Inner Loop Header: Depth=1
	buffer_load_dword v76, v73, s[0:3], 0 offen
	buffer_load_dword v77, v73, s[0:3], 0 offen offset:4
	ds_read_b64 v[78:79], v72
	v_add_u32_e32 v74, 1, v74
	v_cmp_lt_u32_e32 vcc, 6, v74
	v_add_u32_e32 v72, 8, v72
	v_add_u32_e32 v73, 8, v73
	s_or_b64 s[10:11], vcc, s[10:11]
	s_waitcnt vmcnt(0) lgkmcnt(0)
	v_fmac_f64_e32 v[68:69], v[76:77], v[78:79]
	s_andn2_b64 exec, exec, s[10:11]
	s_cbranch_execnz .LBB96_387
; %bb.388:
	s_or_b64 exec, exec, s[10:11]
.LBB96_389:
	s_or_b64 exec, exec, s[8:9]
	v_mov_b32_e32 v72, 0
	ds_read_b64 v[72:73], v72 offset:64
	s_waitcnt lgkmcnt(0)
	v_mul_f64 v[68:69], v[68:69], v[72:73]
	buffer_store_dword v69, off, s[0:3], 0 offset:68
	buffer_store_dword v68, off, s[0:3], 0 offset:64
.LBB96_390:
	s_or_b64 exec, exec, s[6:7]
	buffer_load_dword v68, off, s[0:3], 0 offset:72
	buffer_load_dword v69, off, s[0:3], 0 offset:76
	v_cmp_gt_u32_e32 vcc, 9, v0
	s_waitcnt vmcnt(0)
	ds_write_b64 v70, v[68:69]
	s_waitcnt lgkmcnt(0)
	; wave barrier
	s_waitcnt lgkmcnt(0)
	s_and_saveexec_b64 s[6:7], vcc
	s_cbranch_execz .LBB96_400
; %bb.391:
	s_and_b64 vcc, exec, s[4:5]
	s_cbranch_vccnz .LBB96_393
; %bb.392:
	buffer_load_dword v68, v71, s[0:3], 0 offen
	buffer_load_dword v69, v71, s[0:3], 0 offen offset:4
	ds_read_b64 v[72:73], v70
	s_waitcnt vmcnt(0) lgkmcnt(0)
	v_mul_f64 v[68:69], v[68:69], v[72:73]
	s_cbranch_execz .LBB96_394
	s_branch .LBB96_395
.LBB96_393:
                                        ; implicit-def: $vgpr68_vgpr69
.LBB96_394:
	ds_read_b64 v[68:69], v70
.LBB96_395:
	v_cmp_ne_u32_e32 vcc, 8, v0
	s_and_saveexec_b64 s[8:9], vcc
	s_cbranch_execz .LBB96_399
; %bb.396:
	v_mov_b32_e32 v73, 0
	v_add_u32_e32 v72, 0x118, v1
	v_add3_u32 v73, v1, v73, 8
	s_mov_b64 s[10:11], 0
	v_mov_b32_e32 v74, v0
.LBB96_397:                             ; =>This Inner Loop Header: Depth=1
	buffer_load_dword v76, v73, s[0:3], 0 offen
	buffer_load_dword v77, v73, s[0:3], 0 offen offset:4
	ds_read_b64 v[78:79], v72
	v_add_u32_e32 v74, 1, v74
	v_cmp_lt_u32_e32 vcc, 7, v74
	v_add_u32_e32 v72, 8, v72
	v_add_u32_e32 v73, 8, v73
	s_or_b64 s[10:11], vcc, s[10:11]
	s_waitcnt vmcnt(0) lgkmcnt(0)
	v_fmac_f64_e32 v[68:69], v[76:77], v[78:79]
	s_andn2_b64 exec, exec, s[10:11]
	s_cbranch_execnz .LBB96_397
; %bb.398:
	s_or_b64 exec, exec, s[10:11]
.LBB96_399:
	s_or_b64 exec, exec, s[8:9]
	v_mov_b32_e32 v72, 0
	ds_read_b64 v[72:73], v72 offset:72
	s_waitcnt lgkmcnt(0)
	v_mul_f64 v[68:69], v[68:69], v[72:73]
	buffer_store_dword v69, off, s[0:3], 0 offset:76
	buffer_store_dword v68, off, s[0:3], 0 offset:72
.LBB96_400:
	s_or_b64 exec, exec, s[6:7]
	buffer_load_dword v68, off, s[0:3], 0 offset:80
	buffer_load_dword v69, off, s[0:3], 0 offset:84
	v_cmp_gt_u32_e32 vcc, 10, v0
	s_waitcnt vmcnt(0)
	ds_write_b64 v70, v[68:69]
	s_waitcnt lgkmcnt(0)
	; wave barrier
	s_waitcnt lgkmcnt(0)
	s_and_saveexec_b64 s[6:7], vcc
	s_cbranch_execz .LBB96_410
; %bb.401:
	s_and_b64 vcc, exec, s[4:5]
	s_cbranch_vccnz .LBB96_403
; %bb.402:
	buffer_load_dword v68, v71, s[0:3], 0 offen
	buffer_load_dword v69, v71, s[0:3], 0 offen offset:4
	ds_read_b64 v[72:73], v70
	s_waitcnt vmcnt(0) lgkmcnt(0)
	v_mul_f64 v[68:69], v[68:69], v[72:73]
	s_cbranch_execz .LBB96_404
	s_branch .LBB96_405
.LBB96_403:
                                        ; implicit-def: $vgpr68_vgpr69
.LBB96_404:
	ds_read_b64 v[68:69], v70
.LBB96_405:
	v_cmp_ne_u32_e32 vcc, 9, v0
	s_and_saveexec_b64 s[8:9], vcc
	s_cbranch_execz .LBB96_409
; %bb.406:
	v_mov_b32_e32 v73, 0
	v_add_u32_e32 v72, 0x118, v1
	v_add3_u32 v73, v1, v73, 8
	s_mov_b64 s[10:11], 0
	v_mov_b32_e32 v74, v0
.LBB96_407:                             ; =>This Inner Loop Header: Depth=1
	buffer_load_dword v76, v73, s[0:3], 0 offen
	buffer_load_dword v77, v73, s[0:3], 0 offen offset:4
	ds_read_b64 v[78:79], v72
	v_add_u32_e32 v74, 1, v74
	v_cmp_lt_u32_e32 vcc, 8, v74
	v_add_u32_e32 v72, 8, v72
	v_add_u32_e32 v73, 8, v73
	s_or_b64 s[10:11], vcc, s[10:11]
	s_waitcnt vmcnt(0) lgkmcnt(0)
	v_fmac_f64_e32 v[68:69], v[76:77], v[78:79]
	s_andn2_b64 exec, exec, s[10:11]
	s_cbranch_execnz .LBB96_407
; %bb.408:
	s_or_b64 exec, exec, s[10:11]
.LBB96_409:
	s_or_b64 exec, exec, s[8:9]
	v_mov_b32_e32 v72, 0
	ds_read_b64 v[72:73], v72 offset:80
	s_waitcnt lgkmcnt(0)
	v_mul_f64 v[68:69], v[68:69], v[72:73]
	buffer_store_dword v69, off, s[0:3], 0 offset:84
	buffer_store_dword v68, off, s[0:3], 0 offset:80
.LBB96_410:
	s_or_b64 exec, exec, s[6:7]
	buffer_load_dword v68, off, s[0:3], 0 offset:88
	buffer_load_dword v69, off, s[0:3], 0 offset:92
	v_cmp_gt_u32_e32 vcc, 11, v0
	s_waitcnt vmcnt(0)
	ds_write_b64 v70, v[68:69]
	s_waitcnt lgkmcnt(0)
	; wave barrier
	s_waitcnt lgkmcnt(0)
	s_and_saveexec_b64 s[6:7], vcc
	s_cbranch_execz .LBB96_420
; %bb.411:
	s_and_b64 vcc, exec, s[4:5]
	s_cbranch_vccnz .LBB96_413
; %bb.412:
	buffer_load_dword v68, v71, s[0:3], 0 offen
	buffer_load_dword v69, v71, s[0:3], 0 offen offset:4
	ds_read_b64 v[72:73], v70
	s_waitcnt vmcnt(0) lgkmcnt(0)
	v_mul_f64 v[68:69], v[68:69], v[72:73]
	s_cbranch_execz .LBB96_414
	s_branch .LBB96_415
.LBB96_413:
                                        ; implicit-def: $vgpr68_vgpr69
.LBB96_414:
	ds_read_b64 v[68:69], v70
.LBB96_415:
	v_cmp_ne_u32_e32 vcc, 10, v0
	s_and_saveexec_b64 s[8:9], vcc
	s_cbranch_execz .LBB96_419
; %bb.416:
	v_mov_b32_e32 v73, 0
	v_add_u32_e32 v72, 0x118, v1
	v_add3_u32 v73, v1, v73, 8
	s_mov_b64 s[10:11], 0
	v_mov_b32_e32 v74, v0
.LBB96_417:                             ; =>This Inner Loop Header: Depth=1
	buffer_load_dword v76, v73, s[0:3], 0 offen
	buffer_load_dword v77, v73, s[0:3], 0 offen offset:4
	ds_read_b64 v[78:79], v72
	v_add_u32_e32 v74, 1, v74
	v_cmp_lt_u32_e32 vcc, 9, v74
	v_add_u32_e32 v72, 8, v72
	v_add_u32_e32 v73, 8, v73
	s_or_b64 s[10:11], vcc, s[10:11]
	s_waitcnt vmcnt(0) lgkmcnt(0)
	v_fmac_f64_e32 v[68:69], v[76:77], v[78:79]
	s_andn2_b64 exec, exec, s[10:11]
	s_cbranch_execnz .LBB96_417
; %bb.418:
	s_or_b64 exec, exec, s[10:11]
.LBB96_419:
	s_or_b64 exec, exec, s[8:9]
	v_mov_b32_e32 v72, 0
	ds_read_b64 v[72:73], v72 offset:88
	s_waitcnt lgkmcnt(0)
	v_mul_f64 v[68:69], v[68:69], v[72:73]
	buffer_store_dword v69, off, s[0:3], 0 offset:92
	buffer_store_dword v68, off, s[0:3], 0 offset:88
.LBB96_420:
	s_or_b64 exec, exec, s[6:7]
	buffer_load_dword v68, off, s[0:3], 0 offset:96
	buffer_load_dword v69, off, s[0:3], 0 offset:100
	v_cmp_gt_u32_e32 vcc, 12, v0
	s_waitcnt vmcnt(0)
	ds_write_b64 v70, v[68:69]
	s_waitcnt lgkmcnt(0)
	; wave barrier
	s_waitcnt lgkmcnt(0)
	s_and_saveexec_b64 s[6:7], vcc
	s_cbranch_execz .LBB96_430
; %bb.421:
	s_and_b64 vcc, exec, s[4:5]
	s_cbranch_vccnz .LBB96_423
; %bb.422:
	buffer_load_dword v68, v71, s[0:3], 0 offen
	buffer_load_dword v69, v71, s[0:3], 0 offen offset:4
	ds_read_b64 v[72:73], v70
	s_waitcnt vmcnt(0) lgkmcnt(0)
	v_mul_f64 v[68:69], v[68:69], v[72:73]
	s_cbranch_execz .LBB96_424
	s_branch .LBB96_425
.LBB96_423:
                                        ; implicit-def: $vgpr68_vgpr69
.LBB96_424:
	ds_read_b64 v[68:69], v70
.LBB96_425:
	v_cmp_ne_u32_e32 vcc, 11, v0
	s_and_saveexec_b64 s[8:9], vcc
	s_cbranch_execz .LBB96_429
; %bb.426:
	v_mov_b32_e32 v73, 0
	v_add_u32_e32 v72, 0x118, v1
	v_add3_u32 v73, v1, v73, 8
	s_mov_b64 s[10:11], 0
	v_mov_b32_e32 v74, v0
.LBB96_427:                             ; =>This Inner Loop Header: Depth=1
	buffer_load_dword v76, v73, s[0:3], 0 offen
	buffer_load_dword v77, v73, s[0:3], 0 offen offset:4
	ds_read_b64 v[78:79], v72
	v_add_u32_e32 v74, 1, v74
	v_cmp_lt_u32_e32 vcc, 10, v74
	v_add_u32_e32 v72, 8, v72
	v_add_u32_e32 v73, 8, v73
	s_or_b64 s[10:11], vcc, s[10:11]
	s_waitcnt vmcnt(0) lgkmcnt(0)
	v_fmac_f64_e32 v[68:69], v[76:77], v[78:79]
	s_andn2_b64 exec, exec, s[10:11]
	s_cbranch_execnz .LBB96_427
; %bb.428:
	s_or_b64 exec, exec, s[10:11]
.LBB96_429:
	s_or_b64 exec, exec, s[8:9]
	v_mov_b32_e32 v72, 0
	ds_read_b64 v[72:73], v72 offset:96
	s_waitcnt lgkmcnt(0)
	v_mul_f64 v[68:69], v[68:69], v[72:73]
	buffer_store_dword v69, off, s[0:3], 0 offset:100
	buffer_store_dword v68, off, s[0:3], 0 offset:96
.LBB96_430:
	s_or_b64 exec, exec, s[6:7]
	buffer_load_dword v68, off, s[0:3], 0 offset:104
	buffer_load_dword v69, off, s[0:3], 0 offset:108
	v_cmp_gt_u32_e32 vcc, 13, v0
	s_waitcnt vmcnt(0)
	ds_write_b64 v70, v[68:69]
	s_waitcnt lgkmcnt(0)
	; wave barrier
	s_waitcnt lgkmcnt(0)
	s_and_saveexec_b64 s[6:7], vcc
	s_cbranch_execz .LBB96_440
; %bb.431:
	s_and_b64 vcc, exec, s[4:5]
	s_cbranch_vccnz .LBB96_433
; %bb.432:
	buffer_load_dword v68, v71, s[0:3], 0 offen
	buffer_load_dword v69, v71, s[0:3], 0 offen offset:4
	ds_read_b64 v[72:73], v70
	s_waitcnt vmcnt(0) lgkmcnt(0)
	v_mul_f64 v[68:69], v[68:69], v[72:73]
	s_cbranch_execz .LBB96_434
	s_branch .LBB96_435
.LBB96_433:
                                        ; implicit-def: $vgpr68_vgpr69
.LBB96_434:
	ds_read_b64 v[68:69], v70
.LBB96_435:
	v_cmp_ne_u32_e32 vcc, 12, v0
	s_and_saveexec_b64 s[8:9], vcc
	s_cbranch_execz .LBB96_439
; %bb.436:
	v_mov_b32_e32 v73, 0
	v_add_u32_e32 v72, 0x118, v1
	v_add3_u32 v73, v1, v73, 8
	s_mov_b64 s[10:11], 0
	v_mov_b32_e32 v74, v0
.LBB96_437:                             ; =>This Inner Loop Header: Depth=1
	buffer_load_dword v76, v73, s[0:3], 0 offen
	buffer_load_dword v77, v73, s[0:3], 0 offen offset:4
	ds_read_b64 v[78:79], v72
	v_add_u32_e32 v74, 1, v74
	v_cmp_lt_u32_e32 vcc, 11, v74
	v_add_u32_e32 v72, 8, v72
	v_add_u32_e32 v73, 8, v73
	s_or_b64 s[10:11], vcc, s[10:11]
	s_waitcnt vmcnt(0) lgkmcnt(0)
	v_fmac_f64_e32 v[68:69], v[76:77], v[78:79]
	s_andn2_b64 exec, exec, s[10:11]
	s_cbranch_execnz .LBB96_437
; %bb.438:
	s_or_b64 exec, exec, s[10:11]
.LBB96_439:
	s_or_b64 exec, exec, s[8:9]
	v_mov_b32_e32 v72, 0
	ds_read_b64 v[72:73], v72 offset:104
	s_waitcnt lgkmcnt(0)
	v_mul_f64 v[68:69], v[68:69], v[72:73]
	buffer_store_dword v69, off, s[0:3], 0 offset:108
	buffer_store_dword v68, off, s[0:3], 0 offset:104
.LBB96_440:
	s_or_b64 exec, exec, s[6:7]
	buffer_load_dword v68, off, s[0:3], 0 offset:112
	buffer_load_dword v69, off, s[0:3], 0 offset:116
	v_cmp_gt_u32_e32 vcc, 14, v0
	s_waitcnt vmcnt(0)
	ds_write_b64 v70, v[68:69]
	s_waitcnt lgkmcnt(0)
	; wave barrier
	s_waitcnt lgkmcnt(0)
	s_and_saveexec_b64 s[6:7], vcc
	s_cbranch_execz .LBB96_450
; %bb.441:
	s_and_b64 vcc, exec, s[4:5]
	s_cbranch_vccnz .LBB96_443
; %bb.442:
	buffer_load_dword v68, v71, s[0:3], 0 offen
	buffer_load_dword v69, v71, s[0:3], 0 offen offset:4
	ds_read_b64 v[72:73], v70
	s_waitcnt vmcnt(0) lgkmcnt(0)
	v_mul_f64 v[68:69], v[68:69], v[72:73]
	s_cbranch_execz .LBB96_444
	s_branch .LBB96_445
.LBB96_443:
                                        ; implicit-def: $vgpr68_vgpr69
.LBB96_444:
	ds_read_b64 v[68:69], v70
.LBB96_445:
	v_cmp_ne_u32_e32 vcc, 13, v0
	s_and_saveexec_b64 s[8:9], vcc
	s_cbranch_execz .LBB96_449
; %bb.446:
	v_mov_b32_e32 v73, 0
	v_add_u32_e32 v72, 0x118, v1
	v_add3_u32 v73, v1, v73, 8
	s_mov_b64 s[10:11], 0
	v_mov_b32_e32 v74, v0
.LBB96_447:                             ; =>This Inner Loop Header: Depth=1
	buffer_load_dword v76, v73, s[0:3], 0 offen
	buffer_load_dword v77, v73, s[0:3], 0 offen offset:4
	ds_read_b64 v[78:79], v72
	v_add_u32_e32 v74, 1, v74
	v_cmp_lt_u32_e32 vcc, 12, v74
	v_add_u32_e32 v72, 8, v72
	v_add_u32_e32 v73, 8, v73
	s_or_b64 s[10:11], vcc, s[10:11]
	s_waitcnt vmcnt(0) lgkmcnt(0)
	v_fmac_f64_e32 v[68:69], v[76:77], v[78:79]
	s_andn2_b64 exec, exec, s[10:11]
	s_cbranch_execnz .LBB96_447
; %bb.448:
	s_or_b64 exec, exec, s[10:11]
.LBB96_449:
	s_or_b64 exec, exec, s[8:9]
	v_mov_b32_e32 v72, 0
	ds_read_b64 v[72:73], v72 offset:112
	s_waitcnt lgkmcnt(0)
	v_mul_f64 v[68:69], v[68:69], v[72:73]
	buffer_store_dword v69, off, s[0:3], 0 offset:116
	buffer_store_dword v68, off, s[0:3], 0 offset:112
.LBB96_450:
	s_or_b64 exec, exec, s[6:7]
	buffer_load_dword v68, off, s[0:3], 0 offset:120
	buffer_load_dword v69, off, s[0:3], 0 offset:124
	v_cmp_gt_u32_e32 vcc, 15, v0
	s_waitcnt vmcnt(0)
	ds_write_b64 v70, v[68:69]
	s_waitcnt lgkmcnt(0)
	; wave barrier
	s_waitcnt lgkmcnt(0)
	s_and_saveexec_b64 s[6:7], vcc
	s_cbranch_execz .LBB96_460
; %bb.451:
	s_and_b64 vcc, exec, s[4:5]
	s_cbranch_vccnz .LBB96_453
; %bb.452:
	buffer_load_dword v68, v71, s[0:3], 0 offen
	buffer_load_dword v69, v71, s[0:3], 0 offen offset:4
	ds_read_b64 v[72:73], v70
	s_waitcnt vmcnt(0) lgkmcnt(0)
	v_mul_f64 v[68:69], v[68:69], v[72:73]
	s_cbranch_execz .LBB96_454
	s_branch .LBB96_455
.LBB96_453:
                                        ; implicit-def: $vgpr68_vgpr69
.LBB96_454:
	ds_read_b64 v[68:69], v70
.LBB96_455:
	v_cmp_ne_u32_e32 vcc, 14, v0
	s_and_saveexec_b64 s[8:9], vcc
	s_cbranch_execz .LBB96_459
; %bb.456:
	v_mov_b32_e32 v73, 0
	v_add_u32_e32 v72, 0x118, v1
	v_add3_u32 v73, v1, v73, 8
	s_mov_b64 s[10:11], 0
	v_mov_b32_e32 v74, v0
.LBB96_457:                             ; =>This Inner Loop Header: Depth=1
	buffer_load_dword v76, v73, s[0:3], 0 offen
	buffer_load_dword v77, v73, s[0:3], 0 offen offset:4
	ds_read_b64 v[78:79], v72
	v_add_u32_e32 v74, 1, v74
	v_cmp_lt_u32_e32 vcc, 13, v74
	v_add_u32_e32 v72, 8, v72
	v_add_u32_e32 v73, 8, v73
	s_or_b64 s[10:11], vcc, s[10:11]
	s_waitcnt vmcnt(0) lgkmcnt(0)
	v_fmac_f64_e32 v[68:69], v[76:77], v[78:79]
	s_andn2_b64 exec, exec, s[10:11]
	s_cbranch_execnz .LBB96_457
; %bb.458:
	s_or_b64 exec, exec, s[10:11]
.LBB96_459:
	s_or_b64 exec, exec, s[8:9]
	v_mov_b32_e32 v72, 0
	ds_read_b64 v[72:73], v72 offset:120
	s_waitcnt lgkmcnt(0)
	v_mul_f64 v[68:69], v[68:69], v[72:73]
	buffer_store_dword v69, off, s[0:3], 0 offset:124
	buffer_store_dword v68, off, s[0:3], 0 offset:120
.LBB96_460:
	s_or_b64 exec, exec, s[6:7]
	buffer_load_dword v68, off, s[0:3], 0 offset:128
	buffer_load_dword v69, off, s[0:3], 0 offset:132
	v_cmp_gt_u32_e32 vcc, 16, v0
	s_waitcnt vmcnt(0)
	ds_write_b64 v70, v[68:69]
	s_waitcnt lgkmcnt(0)
	; wave barrier
	s_waitcnt lgkmcnt(0)
	s_and_saveexec_b64 s[6:7], vcc
	s_cbranch_execz .LBB96_470
; %bb.461:
	s_and_b64 vcc, exec, s[4:5]
	s_cbranch_vccnz .LBB96_463
; %bb.462:
	buffer_load_dword v68, v71, s[0:3], 0 offen
	buffer_load_dword v69, v71, s[0:3], 0 offen offset:4
	ds_read_b64 v[72:73], v70
	s_waitcnt vmcnt(0) lgkmcnt(0)
	v_mul_f64 v[68:69], v[68:69], v[72:73]
	s_cbranch_execz .LBB96_464
	s_branch .LBB96_465
.LBB96_463:
                                        ; implicit-def: $vgpr68_vgpr69
.LBB96_464:
	ds_read_b64 v[68:69], v70
.LBB96_465:
	v_cmp_ne_u32_e32 vcc, 15, v0
	s_and_saveexec_b64 s[8:9], vcc
	s_cbranch_execz .LBB96_469
; %bb.466:
	v_mov_b32_e32 v73, 0
	v_add_u32_e32 v72, 0x118, v1
	v_add3_u32 v73, v1, v73, 8
	s_mov_b64 s[10:11], 0
	v_mov_b32_e32 v74, v0
.LBB96_467:                             ; =>This Inner Loop Header: Depth=1
	buffer_load_dword v76, v73, s[0:3], 0 offen
	buffer_load_dword v77, v73, s[0:3], 0 offen offset:4
	ds_read_b64 v[78:79], v72
	v_add_u32_e32 v74, 1, v74
	v_cmp_lt_u32_e32 vcc, 14, v74
	v_add_u32_e32 v72, 8, v72
	v_add_u32_e32 v73, 8, v73
	s_or_b64 s[10:11], vcc, s[10:11]
	s_waitcnt vmcnt(0) lgkmcnt(0)
	v_fmac_f64_e32 v[68:69], v[76:77], v[78:79]
	s_andn2_b64 exec, exec, s[10:11]
	s_cbranch_execnz .LBB96_467
; %bb.468:
	s_or_b64 exec, exec, s[10:11]
.LBB96_469:
	s_or_b64 exec, exec, s[8:9]
	v_mov_b32_e32 v72, 0
	ds_read_b64 v[72:73], v72 offset:128
	s_waitcnt lgkmcnt(0)
	v_mul_f64 v[68:69], v[68:69], v[72:73]
	buffer_store_dword v69, off, s[0:3], 0 offset:132
	buffer_store_dword v68, off, s[0:3], 0 offset:128
.LBB96_470:
	s_or_b64 exec, exec, s[6:7]
	buffer_load_dword v68, off, s[0:3], 0 offset:136
	buffer_load_dword v69, off, s[0:3], 0 offset:140
	v_cmp_gt_u32_e32 vcc, 17, v0
	s_waitcnt vmcnt(0)
	ds_write_b64 v70, v[68:69]
	s_waitcnt lgkmcnt(0)
	; wave barrier
	s_waitcnt lgkmcnt(0)
	s_and_saveexec_b64 s[6:7], vcc
	s_cbranch_execz .LBB96_480
; %bb.471:
	s_and_b64 vcc, exec, s[4:5]
	s_cbranch_vccnz .LBB96_473
; %bb.472:
	buffer_load_dword v68, v71, s[0:3], 0 offen
	buffer_load_dword v69, v71, s[0:3], 0 offen offset:4
	ds_read_b64 v[72:73], v70
	s_waitcnt vmcnt(0) lgkmcnt(0)
	v_mul_f64 v[68:69], v[68:69], v[72:73]
	s_cbranch_execz .LBB96_474
	s_branch .LBB96_475
.LBB96_473:
                                        ; implicit-def: $vgpr68_vgpr69
.LBB96_474:
	ds_read_b64 v[68:69], v70
.LBB96_475:
	v_cmp_ne_u32_e32 vcc, 16, v0
	s_and_saveexec_b64 s[8:9], vcc
	s_cbranch_execz .LBB96_479
; %bb.476:
	v_mov_b32_e32 v73, 0
	v_add_u32_e32 v72, 0x118, v1
	v_add3_u32 v73, v1, v73, 8
	s_mov_b64 s[10:11], 0
	v_mov_b32_e32 v74, v0
.LBB96_477:                             ; =>This Inner Loop Header: Depth=1
	buffer_load_dword v76, v73, s[0:3], 0 offen
	buffer_load_dword v77, v73, s[0:3], 0 offen offset:4
	ds_read_b64 v[78:79], v72
	v_add_u32_e32 v74, 1, v74
	v_cmp_lt_u32_e32 vcc, 15, v74
	v_add_u32_e32 v72, 8, v72
	v_add_u32_e32 v73, 8, v73
	s_or_b64 s[10:11], vcc, s[10:11]
	s_waitcnt vmcnt(0) lgkmcnt(0)
	v_fmac_f64_e32 v[68:69], v[76:77], v[78:79]
	s_andn2_b64 exec, exec, s[10:11]
	s_cbranch_execnz .LBB96_477
; %bb.478:
	s_or_b64 exec, exec, s[10:11]
.LBB96_479:
	s_or_b64 exec, exec, s[8:9]
	v_mov_b32_e32 v72, 0
	ds_read_b64 v[72:73], v72 offset:136
	s_waitcnt lgkmcnt(0)
	v_mul_f64 v[68:69], v[68:69], v[72:73]
	buffer_store_dword v69, off, s[0:3], 0 offset:140
	buffer_store_dword v68, off, s[0:3], 0 offset:136
.LBB96_480:
	s_or_b64 exec, exec, s[6:7]
	buffer_load_dword v68, off, s[0:3], 0 offset:144
	buffer_load_dword v69, off, s[0:3], 0 offset:148
	v_cmp_gt_u32_e32 vcc, 18, v0
	s_waitcnt vmcnt(0)
	ds_write_b64 v70, v[68:69]
	s_waitcnt lgkmcnt(0)
	; wave barrier
	s_waitcnt lgkmcnt(0)
	s_and_saveexec_b64 s[6:7], vcc
	s_cbranch_execz .LBB96_490
; %bb.481:
	s_and_b64 vcc, exec, s[4:5]
	s_cbranch_vccnz .LBB96_483
; %bb.482:
	buffer_load_dword v68, v71, s[0:3], 0 offen
	buffer_load_dword v69, v71, s[0:3], 0 offen offset:4
	ds_read_b64 v[72:73], v70
	s_waitcnt vmcnt(0) lgkmcnt(0)
	v_mul_f64 v[68:69], v[68:69], v[72:73]
	s_cbranch_execz .LBB96_484
	s_branch .LBB96_485
.LBB96_483:
                                        ; implicit-def: $vgpr68_vgpr69
.LBB96_484:
	ds_read_b64 v[68:69], v70
.LBB96_485:
	v_cmp_ne_u32_e32 vcc, 17, v0
	s_and_saveexec_b64 s[8:9], vcc
	s_cbranch_execz .LBB96_489
; %bb.486:
	v_mov_b32_e32 v73, 0
	v_add_u32_e32 v72, 0x118, v1
	v_add3_u32 v73, v1, v73, 8
	s_mov_b64 s[10:11], 0
	v_mov_b32_e32 v74, v0
.LBB96_487:                             ; =>This Inner Loop Header: Depth=1
	buffer_load_dword v76, v73, s[0:3], 0 offen
	buffer_load_dword v77, v73, s[0:3], 0 offen offset:4
	ds_read_b64 v[78:79], v72
	v_add_u32_e32 v74, 1, v74
	v_cmp_lt_u32_e32 vcc, 16, v74
	v_add_u32_e32 v72, 8, v72
	v_add_u32_e32 v73, 8, v73
	s_or_b64 s[10:11], vcc, s[10:11]
	s_waitcnt vmcnt(0) lgkmcnt(0)
	v_fmac_f64_e32 v[68:69], v[76:77], v[78:79]
	s_andn2_b64 exec, exec, s[10:11]
	s_cbranch_execnz .LBB96_487
; %bb.488:
	s_or_b64 exec, exec, s[10:11]
.LBB96_489:
	s_or_b64 exec, exec, s[8:9]
	v_mov_b32_e32 v72, 0
	ds_read_b64 v[72:73], v72 offset:144
	s_waitcnt lgkmcnt(0)
	v_mul_f64 v[68:69], v[68:69], v[72:73]
	buffer_store_dword v69, off, s[0:3], 0 offset:148
	buffer_store_dword v68, off, s[0:3], 0 offset:144
.LBB96_490:
	s_or_b64 exec, exec, s[6:7]
	buffer_load_dword v68, off, s[0:3], 0 offset:152
	buffer_load_dword v69, off, s[0:3], 0 offset:156
	v_cmp_gt_u32_e32 vcc, 19, v0
	s_waitcnt vmcnt(0)
	ds_write_b64 v70, v[68:69]
	s_waitcnt lgkmcnt(0)
	; wave barrier
	s_waitcnt lgkmcnt(0)
	s_and_saveexec_b64 s[6:7], vcc
	s_cbranch_execz .LBB96_500
; %bb.491:
	s_and_b64 vcc, exec, s[4:5]
	s_cbranch_vccnz .LBB96_493
; %bb.492:
	buffer_load_dword v68, v71, s[0:3], 0 offen
	buffer_load_dword v69, v71, s[0:3], 0 offen offset:4
	ds_read_b64 v[72:73], v70
	s_waitcnt vmcnt(0) lgkmcnt(0)
	v_mul_f64 v[68:69], v[68:69], v[72:73]
	s_cbranch_execz .LBB96_494
	s_branch .LBB96_495
.LBB96_493:
                                        ; implicit-def: $vgpr68_vgpr69
.LBB96_494:
	ds_read_b64 v[68:69], v70
.LBB96_495:
	v_cmp_ne_u32_e32 vcc, 18, v0
	s_and_saveexec_b64 s[8:9], vcc
	s_cbranch_execz .LBB96_499
; %bb.496:
	v_mov_b32_e32 v73, 0
	v_add_u32_e32 v72, 0x118, v1
	v_add3_u32 v73, v1, v73, 8
	s_mov_b64 s[10:11], 0
	v_mov_b32_e32 v74, v0
.LBB96_497:                             ; =>This Inner Loop Header: Depth=1
	buffer_load_dword v76, v73, s[0:3], 0 offen
	buffer_load_dword v77, v73, s[0:3], 0 offen offset:4
	ds_read_b64 v[78:79], v72
	v_add_u32_e32 v74, 1, v74
	v_cmp_lt_u32_e32 vcc, 17, v74
	v_add_u32_e32 v72, 8, v72
	v_add_u32_e32 v73, 8, v73
	s_or_b64 s[10:11], vcc, s[10:11]
	s_waitcnt vmcnt(0) lgkmcnt(0)
	v_fmac_f64_e32 v[68:69], v[76:77], v[78:79]
	s_andn2_b64 exec, exec, s[10:11]
	s_cbranch_execnz .LBB96_497
; %bb.498:
	s_or_b64 exec, exec, s[10:11]
.LBB96_499:
	s_or_b64 exec, exec, s[8:9]
	v_mov_b32_e32 v72, 0
	ds_read_b64 v[72:73], v72 offset:152
	s_waitcnt lgkmcnt(0)
	v_mul_f64 v[68:69], v[68:69], v[72:73]
	buffer_store_dword v69, off, s[0:3], 0 offset:156
	buffer_store_dword v68, off, s[0:3], 0 offset:152
.LBB96_500:
	s_or_b64 exec, exec, s[6:7]
	buffer_load_dword v68, off, s[0:3], 0 offset:160
	buffer_load_dword v69, off, s[0:3], 0 offset:164
	v_cmp_gt_u32_e32 vcc, 20, v0
	s_waitcnt vmcnt(0)
	ds_write_b64 v70, v[68:69]
	s_waitcnt lgkmcnt(0)
	; wave barrier
	s_waitcnt lgkmcnt(0)
	s_and_saveexec_b64 s[6:7], vcc
	s_cbranch_execz .LBB96_510
; %bb.501:
	s_and_b64 vcc, exec, s[4:5]
	s_cbranch_vccnz .LBB96_503
; %bb.502:
	buffer_load_dword v68, v71, s[0:3], 0 offen
	buffer_load_dword v69, v71, s[0:3], 0 offen offset:4
	ds_read_b64 v[72:73], v70
	s_waitcnt vmcnt(0) lgkmcnt(0)
	v_mul_f64 v[68:69], v[68:69], v[72:73]
	s_cbranch_execz .LBB96_504
	s_branch .LBB96_505
.LBB96_503:
                                        ; implicit-def: $vgpr68_vgpr69
.LBB96_504:
	ds_read_b64 v[68:69], v70
.LBB96_505:
	v_cmp_ne_u32_e32 vcc, 19, v0
	s_and_saveexec_b64 s[8:9], vcc
	s_cbranch_execz .LBB96_509
; %bb.506:
	v_mov_b32_e32 v73, 0
	v_add_u32_e32 v72, 0x118, v1
	v_add3_u32 v73, v1, v73, 8
	s_mov_b64 s[10:11], 0
	v_mov_b32_e32 v74, v0
.LBB96_507:                             ; =>This Inner Loop Header: Depth=1
	buffer_load_dword v76, v73, s[0:3], 0 offen
	buffer_load_dword v77, v73, s[0:3], 0 offen offset:4
	ds_read_b64 v[78:79], v72
	v_add_u32_e32 v74, 1, v74
	v_cmp_lt_u32_e32 vcc, 18, v74
	v_add_u32_e32 v72, 8, v72
	v_add_u32_e32 v73, 8, v73
	s_or_b64 s[10:11], vcc, s[10:11]
	s_waitcnt vmcnt(0) lgkmcnt(0)
	v_fmac_f64_e32 v[68:69], v[76:77], v[78:79]
	s_andn2_b64 exec, exec, s[10:11]
	s_cbranch_execnz .LBB96_507
; %bb.508:
	s_or_b64 exec, exec, s[10:11]
.LBB96_509:
	s_or_b64 exec, exec, s[8:9]
	v_mov_b32_e32 v72, 0
	ds_read_b64 v[72:73], v72 offset:160
	s_waitcnt lgkmcnt(0)
	v_mul_f64 v[68:69], v[68:69], v[72:73]
	buffer_store_dword v69, off, s[0:3], 0 offset:164
	buffer_store_dword v68, off, s[0:3], 0 offset:160
.LBB96_510:
	s_or_b64 exec, exec, s[6:7]
	buffer_load_dword v68, off, s[0:3], 0 offset:168
	buffer_load_dword v69, off, s[0:3], 0 offset:172
	v_cmp_gt_u32_e32 vcc, 21, v0
	s_waitcnt vmcnt(0)
	ds_write_b64 v70, v[68:69]
	s_waitcnt lgkmcnt(0)
	; wave barrier
	s_waitcnt lgkmcnt(0)
	s_and_saveexec_b64 s[6:7], vcc
	s_cbranch_execz .LBB96_520
; %bb.511:
	s_and_b64 vcc, exec, s[4:5]
	s_cbranch_vccnz .LBB96_513
; %bb.512:
	buffer_load_dword v68, v71, s[0:3], 0 offen
	buffer_load_dword v69, v71, s[0:3], 0 offen offset:4
	ds_read_b64 v[72:73], v70
	s_waitcnt vmcnt(0) lgkmcnt(0)
	v_mul_f64 v[68:69], v[68:69], v[72:73]
	s_cbranch_execz .LBB96_514
	s_branch .LBB96_515
.LBB96_513:
                                        ; implicit-def: $vgpr68_vgpr69
.LBB96_514:
	ds_read_b64 v[68:69], v70
.LBB96_515:
	v_cmp_ne_u32_e32 vcc, 20, v0
	s_and_saveexec_b64 s[8:9], vcc
	s_cbranch_execz .LBB96_519
; %bb.516:
	v_mov_b32_e32 v73, 0
	v_add_u32_e32 v72, 0x118, v1
	v_add3_u32 v73, v1, v73, 8
	s_mov_b64 s[10:11], 0
	v_mov_b32_e32 v74, v0
.LBB96_517:                             ; =>This Inner Loop Header: Depth=1
	buffer_load_dword v76, v73, s[0:3], 0 offen
	buffer_load_dword v77, v73, s[0:3], 0 offen offset:4
	ds_read_b64 v[78:79], v72
	v_add_u32_e32 v74, 1, v74
	v_cmp_lt_u32_e32 vcc, 19, v74
	v_add_u32_e32 v72, 8, v72
	v_add_u32_e32 v73, 8, v73
	s_or_b64 s[10:11], vcc, s[10:11]
	s_waitcnt vmcnt(0) lgkmcnt(0)
	v_fmac_f64_e32 v[68:69], v[76:77], v[78:79]
	s_andn2_b64 exec, exec, s[10:11]
	s_cbranch_execnz .LBB96_517
; %bb.518:
	s_or_b64 exec, exec, s[10:11]
.LBB96_519:
	s_or_b64 exec, exec, s[8:9]
	v_mov_b32_e32 v72, 0
	ds_read_b64 v[72:73], v72 offset:168
	s_waitcnt lgkmcnt(0)
	v_mul_f64 v[68:69], v[68:69], v[72:73]
	buffer_store_dword v69, off, s[0:3], 0 offset:172
	buffer_store_dword v68, off, s[0:3], 0 offset:168
.LBB96_520:
	s_or_b64 exec, exec, s[6:7]
	buffer_load_dword v68, off, s[0:3], 0 offset:176
	buffer_load_dword v69, off, s[0:3], 0 offset:180
	v_cmp_gt_u32_e32 vcc, 22, v0
	s_waitcnt vmcnt(0)
	ds_write_b64 v70, v[68:69]
	s_waitcnt lgkmcnt(0)
	; wave barrier
	s_waitcnt lgkmcnt(0)
	s_and_saveexec_b64 s[6:7], vcc
	s_cbranch_execz .LBB96_530
; %bb.521:
	s_and_b64 vcc, exec, s[4:5]
	s_cbranch_vccnz .LBB96_523
; %bb.522:
	buffer_load_dword v68, v71, s[0:3], 0 offen
	buffer_load_dword v69, v71, s[0:3], 0 offen offset:4
	ds_read_b64 v[72:73], v70
	s_waitcnt vmcnt(0) lgkmcnt(0)
	v_mul_f64 v[68:69], v[68:69], v[72:73]
	s_cbranch_execz .LBB96_524
	s_branch .LBB96_525
.LBB96_523:
                                        ; implicit-def: $vgpr68_vgpr69
.LBB96_524:
	ds_read_b64 v[68:69], v70
.LBB96_525:
	v_cmp_ne_u32_e32 vcc, 21, v0
	s_and_saveexec_b64 s[8:9], vcc
	s_cbranch_execz .LBB96_529
; %bb.526:
	v_mov_b32_e32 v73, 0
	v_add_u32_e32 v72, 0x118, v1
	v_add3_u32 v73, v1, v73, 8
	s_mov_b64 s[10:11], 0
	v_mov_b32_e32 v74, v0
.LBB96_527:                             ; =>This Inner Loop Header: Depth=1
	buffer_load_dword v76, v73, s[0:3], 0 offen
	buffer_load_dword v77, v73, s[0:3], 0 offen offset:4
	ds_read_b64 v[78:79], v72
	v_add_u32_e32 v74, 1, v74
	v_cmp_lt_u32_e32 vcc, 20, v74
	v_add_u32_e32 v72, 8, v72
	v_add_u32_e32 v73, 8, v73
	s_or_b64 s[10:11], vcc, s[10:11]
	s_waitcnt vmcnt(0) lgkmcnt(0)
	v_fmac_f64_e32 v[68:69], v[76:77], v[78:79]
	s_andn2_b64 exec, exec, s[10:11]
	s_cbranch_execnz .LBB96_527
; %bb.528:
	s_or_b64 exec, exec, s[10:11]
.LBB96_529:
	s_or_b64 exec, exec, s[8:9]
	v_mov_b32_e32 v72, 0
	ds_read_b64 v[72:73], v72 offset:176
	s_waitcnt lgkmcnt(0)
	v_mul_f64 v[68:69], v[68:69], v[72:73]
	buffer_store_dword v69, off, s[0:3], 0 offset:180
	buffer_store_dword v68, off, s[0:3], 0 offset:176
.LBB96_530:
	s_or_b64 exec, exec, s[6:7]
	buffer_load_dword v68, off, s[0:3], 0 offset:184
	buffer_load_dword v69, off, s[0:3], 0 offset:188
	v_cmp_gt_u32_e32 vcc, 23, v0
	s_waitcnt vmcnt(0)
	ds_write_b64 v70, v[68:69]
	s_waitcnt lgkmcnt(0)
	; wave barrier
	s_waitcnt lgkmcnt(0)
	s_and_saveexec_b64 s[6:7], vcc
	s_cbranch_execz .LBB96_540
; %bb.531:
	s_and_b64 vcc, exec, s[4:5]
	s_cbranch_vccnz .LBB96_533
; %bb.532:
	buffer_load_dword v68, v71, s[0:3], 0 offen
	buffer_load_dword v69, v71, s[0:3], 0 offen offset:4
	ds_read_b64 v[72:73], v70
	s_waitcnt vmcnt(0) lgkmcnt(0)
	v_mul_f64 v[68:69], v[68:69], v[72:73]
	s_cbranch_execz .LBB96_534
	s_branch .LBB96_535
.LBB96_533:
                                        ; implicit-def: $vgpr68_vgpr69
.LBB96_534:
	ds_read_b64 v[68:69], v70
.LBB96_535:
	v_cmp_ne_u32_e32 vcc, 22, v0
	s_and_saveexec_b64 s[8:9], vcc
	s_cbranch_execz .LBB96_539
; %bb.536:
	v_mov_b32_e32 v73, 0
	v_add_u32_e32 v72, 0x118, v1
	v_add3_u32 v73, v1, v73, 8
	s_mov_b64 s[10:11], 0
	v_mov_b32_e32 v74, v0
.LBB96_537:                             ; =>This Inner Loop Header: Depth=1
	buffer_load_dword v76, v73, s[0:3], 0 offen
	buffer_load_dword v77, v73, s[0:3], 0 offen offset:4
	ds_read_b64 v[78:79], v72
	v_add_u32_e32 v74, 1, v74
	v_cmp_lt_u32_e32 vcc, 21, v74
	v_add_u32_e32 v72, 8, v72
	v_add_u32_e32 v73, 8, v73
	s_or_b64 s[10:11], vcc, s[10:11]
	s_waitcnt vmcnt(0) lgkmcnt(0)
	v_fmac_f64_e32 v[68:69], v[76:77], v[78:79]
	s_andn2_b64 exec, exec, s[10:11]
	s_cbranch_execnz .LBB96_537
; %bb.538:
	s_or_b64 exec, exec, s[10:11]
.LBB96_539:
	s_or_b64 exec, exec, s[8:9]
	v_mov_b32_e32 v72, 0
	ds_read_b64 v[72:73], v72 offset:184
	s_waitcnt lgkmcnt(0)
	v_mul_f64 v[68:69], v[68:69], v[72:73]
	buffer_store_dword v69, off, s[0:3], 0 offset:188
	buffer_store_dword v68, off, s[0:3], 0 offset:184
.LBB96_540:
	s_or_b64 exec, exec, s[6:7]
	buffer_load_dword v68, off, s[0:3], 0 offset:192
	buffer_load_dword v69, off, s[0:3], 0 offset:196
	v_cmp_gt_u32_e32 vcc, 24, v0
	s_waitcnt vmcnt(0)
	ds_write_b64 v70, v[68:69]
	s_waitcnt lgkmcnt(0)
	; wave barrier
	s_waitcnt lgkmcnt(0)
	s_and_saveexec_b64 s[6:7], vcc
	s_cbranch_execz .LBB96_550
; %bb.541:
	s_and_b64 vcc, exec, s[4:5]
	s_cbranch_vccnz .LBB96_543
; %bb.542:
	buffer_load_dword v68, v71, s[0:3], 0 offen
	buffer_load_dword v69, v71, s[0:3], 0 offen offset:4
	ds_read_b64 v[72:73], v70
	s_waitcnt vmcnt(0) lgkmcnt(0)
	v_mul_f64 v[68:69], v[68:69], v[72:73]
	s_cbranch_execz .LBB96_544
	s_branch .LBB96_545
.LBB96_543:
                                        ; implicit-def: $vgpr68_vgpr69
.LBB96_544:
	ds_read_b64 v[68:69], v70
.LBB96_545:
	v_cmp_ne_u32_e32 vcc, 23, v0
	s_and_saveexec_b64 s[8:9], vcc
	s_cbranch_execz .LBB96_549
; %bb.546:
	v_mov_b32_e32 v73, 0
	v_add_u32_e32 v72, 0x118, v1
	v_add3_u32 v73, v1, v73, 8
	s_mov_b64 s[10:11], 0
	v_mov_b32_e32 v74, v0
.LBB96_547:                             ; =>This Inner Loop Header: Depth=1
	buffer_load_dword v76, v73, s[0:3], 0 offen
	buffer_load_dword v77, v73, s[0:3], 0 offen offset:4
	ds_read_b64 v[78:79], v72
	v_add_u32_e32 v74, 1, v74
	v_cmp_lt_u32_e32 vcc, 22, v74
	v_add_u32_e32 v72, 8, v72
	v_add_u32_e32 v73, 8, v73
	s_or_b64 s[10:11], vcc, s[10:11]
	s_waitcnt vmcnt(0) lgkmcnt(0)
	v_fmac_f64_e32 v[68:69], v[76:77], v[78:79]
	s_andn2_b64 exec, exec, s[10:11]
	s_cbranch_execnz .LBB96_547
; %bb.548:
	s_or_b64 exec, exec, s[10:11]
.LBB96_549:
	s_or_b64 exec, exec, s[8:9]
	v_mov_b32_e32 v72, 0
	ds_read_b64 v[72:73], v72 offset:192
	s_waitcnt lgkmcnt(0)
	v_mul_f64 v[68:69], v[68:69], v[72:73]
	buffer_store_dword v69, off, s[0:3], 0 offset:196
	buffer_store_dword v68, off, s[0:3], 0 offset:192
.LBB96_550:
	s_or_b64 exec, exec, s[6:7]
	buffer_load_dword v68, off, s[0:3], 0 offset:200
	buffer_load_dword v69, off, s[0:3], 0 offset:204
	v_cmp_gt_u32_e32 vcc, 25, v0
	s_waitcnt vmcnt(0)
	ds_write_b64 v70, v[68:69]
	s_waitcnt lgkmcnt(0)
	; wave barrier
	s_waitcnt lgkmcnt(0)
	s_and_saveexec_b64 s[6:7], vcc
	s_cbranch_execz .LBB96_560
; %bb.551:
	s_and_b64 vcc, exec, s[4:5]
	s_cbranch_vccnz .LBB96_553
; %bb.552:
	buffer_load_dword v68, v71, s[0:3], 0 offen
	buffer_load_dword v69, v71, s[0:3], 0 offen offset:4
	ds_read_b64 v[72:73], v70
	s_waitcnt vmcnt(0) lgkmcnt(0)
	v_mul_f64 v[68:69], v[68:69], v[72:73]
	s_cbranch_execz .LBB96_554
	s_branch .LBB96_555
.LBB96_553:
                                        ; implicit-def: $vgpr68_vgpr69
.LBB96_554:
	ds_read_b64 v[68:69], v70
.LBB96_555:
	v_cmp_ne_u32_e32 vcc, 24, v0
	s_and_saveexec_b64 s[8:9], vcc
	s_cbranch_execz .LBB96_559
; %bb.556:
	v_mov_b32_e32 v73, 0
	v_add_u32_e32 v72, 0x118, v1
	v_add3_u32 v73, v1, v73, 8
	s_mov_b64 s[10:11], 0
	v_mov_b32_e32 v74, v0
.LBB96_557:                             ; =>This Inner Loop Header: Depth=1
	buffer_load_dword v76, v73, s[0:3], 0 offen
	buffer_load_dword v77, v73, s[0:3], 0 offen offset:4
	ds_read_b64 v[78:79], v72
	v_add_u32_e32 v74, 1, v74
	v_cmp_lt_u32_e32 vcc, 23, v74
	v_add_u32_e32 v72, 8, v72
	v_add_u32_e32 v73, 8, v73
	s_or_b64 s[10:11], vcc, s[10:11]
	s_waitcnt vmcnt(0) lgkmcnt(0)
	v_fmac_f64_e32 v[68:69], v[76:77], v[78:79]
	s_andn2_b64 exec, exec, s[10:11]
	s_cbranch_execnz .LBB96_557
; %bb.558:
	s_or_b64 exec, exec, s[10:11]
.LBB96_559:
	s_or_b64 exec, exec, s[8:9]
	v_mov_b32_e32 v72, 0
	ds_read_b64 v[72:73], v72 offset:200
	s_waitcnt lgkmcnt(0)
	v_mul_f64 v[68:69], v[68:69], v[72:73]
	buffer_store_dword v69, off, s[0:3], 0 offset:204
	buffer_store_dword v68, off, s[0:3], 0 offset:200
.LBB96_560:
	s_or_b64 exec, exec, s[6:7]
	buffer_load_dword v68, off, s[0:3], 0 offset:208
	buffer_load_dword v69, off, s[0:3], 0 offset:212
	v_cmp_gt_u32_e32 vcc, 26, v0
	s_waitcnt vmcnt(0)
	ds_write_b64 v70, v[68:69]
	s_waitcnt lgkmcnt(0)
	; wave barrier
	s_waitcnt lgkmcnt(0)
	s_and_saveexec_b64 s[6:7], vcc
	s_cbranch_execz .LBB96_570
; %bb.561:
	s_and_b64 vcc, exec, s[4:5]
	s_cbranch_vccnz .LBB96_563
; %bb.562:
	buffer_load_dword v68, v71, s[0:3], 0 offen
	buffer_load_dword v69, v71, s[0:3], 0 offen offset:4
	ds_read_b64 v[72:73], v70
	s_waitcnt vmcnt(0) lgkmcnt(0)
	v_mul_f64 v[68:69], v[68:69], v[72:73]
	s_cbranch_execz .LBB96_564
	s_branch .LBB96_565
.LBB96_563:
                                        ; implicit-def: $vgpr68_vgpr69
.LBB96_564:
	ds_read_b64 v[68:69], v70
.LBB96_565:
	v_cmp_ne_u32_e32 vcc, 25, v0
	s_and_saveexec_b64 s[8:9], vcc
	s_cbranch_execz .LBB96_569
; %bb.566:
	v_mov_b32_e32 v73, 0
	v_add_u32_e32 v72, 0x118, v1
	v_add3_u32 v73, v1, v73, 8
	s_mov_b64 s[10:11], 0
	v_mov_b32_e32 v74, v0
.LBB96_567:                             ; =>This Inner Loop Header: Depth=1
	buffer_load_dword v76, v73, s[0:3], 0 offen
	buffer_load_dword v77, v73, s[0:3], 0 offen offset:4
	ds_read_b64 v[78:79], v72
	v_add_u32_e32 v74, 1, v74
	v_cmp_lt_u32_e32 vcc, 24, v74
	v_add_u32_e32 v72, 8, v72
	v_add_u32_e32 v73, 8, v73
	s_or_b64 s[10:11], vcc, s[10:11]
	s_waitcnt vmcnt(0) lgkmcnt(0)
	v_fmac_f64_e32 v[68:69], v[76:77], v[78:79]
	s_andn2_b64 exec, exec, s[10:11]
	s_cbranch_execnz .LBB96_567
; %bb.568:
	s_or_b64 exec, exec, s[10:11]
.LBB96_569:
	s_or_b64 exec, exec, s[8:9]
	v_mov_b32_e32 v72, 0
	ds_read_b64 v[72:73], v72 offset:208
	s_waitcnt lgkmcnt(0)
	v_mul_f64 v[68:69], v[68:69], v[72:73]
	buffer_store_dword v69, off, s[0:3], 0 offset:212
	buffer_store_dword v68, off, s[0:3], 0 offset:208
.LBB96_570:
	s_or_b64 exec, exec, s[6:7]
	buffer_load_dword v68, off, s[0:3], 0 offset:216
	buffer_load_dword v69, off, s[0:3], 0 offset:220
	v_cmp_gt_u32_e32 vcc, 27, v0
	s_waitcnt vmcnt(0)
	ds_write_b64 v70, v[68:69]
	s_waitcnt lgkmcnt(0)
	; wave barrier
	s_waitcnt lgkmcnt(0)
	s_and_saveexec_b64 s[6:7], vcc
	s_cbranch_execz .LBB96_580
; %bb.571:
	s_and_b64 vcc, exec, s[4:5]
	s_cbranch_vccnz .LBB96_573
; %bb.572:
	buffer_load_dword v68, v71, s[0:3], 0 offen
	buffer_load_dword v69, v71, s[0:3], 0 offen offset:4
	ds_read_b64 v[72:73], v70
	s_waitcnt vmcnt(0) lgkmcnt(0)
	v_mul_f64 v[68:69], v[68:69], v[72:73]
	s_cbranch_execz .LBB96_574
	s_branch .LBB96_575
.LBB96_573:
                                        ; implicit-def: $vgpr68_vgpr69
.LBB96_574:
	ds_read_b64 v[68:69], v70
.LBB96_575:
	v_cmp_ne_u32_e32 vcc, 26, v0
	s_and_saveexec_b64 s[8:9], vcc
	s_cbranch_execz .LBB96_579
; %bb.576:
	v_mov_b32_e32 v73, 0
	v_add_u32_e32 v72, 0x118, v1
	v_add3_u32 v73, v1, v73, 8
	s_mov_b64 s[10:11], 0
	v_mov_b32_e32 v74, v0
.LBB96_577:                             ; =>This Inner Loop Header: Depth=1
	buffer_load_dword v76, v73, s[0:3], 0 offen
	buffer_load_dword v77, v73, s[0:3], 0 offen offset:4
	ds_read_b64 v[78:79], v72
	v_add_u32_e32 v74, 1, v74
	v_cmp_lt_u32_e32 vcc, 25, v74
	v_add_u32_e32 v72, 8, v72
	v_add_u32_e32 v73, 8, v73
	s_or_b64 s[10:11], vcc, s[10:11]
	s_waitcnt vmcnt(0) lgkmcnt(0)
	v_fmac_f64_e32 v[68:69], v[76:77], v[78:79]
	s_andn2_b64 exec, exec, s[10:11]
	s_cbranch_execnz .LBB96_577
; %bb.578:
	s_or_b64 exec, exec, s[10:11]
.LBB96_579:
	s_or_b64 exec, exec, s[8:9]
	v_mov_b32_e32 v72, 0
	ds_read_b64 v[72:73], v72 offset:216
	s_waitcnt lgkmcnt(0)
	v_mul_f64 v[68:69], v[68:69], v[72:73]
	buffer_store_dword v69, off, s[0:3], 0 offset:220
	buffer_store_dword v68, off, s[0:3], 0 offset:216
.LBB96_580:
	s_or_b64 exec, exec, s[6:7]
	buffer_load_dword v68, off, s[0:3], 0 offset:224
	buffer_load_dword v69, off, s[0:3], 0 offset:228
	v_cmp_gt_u32_e32 vcc, 28, v0
	s_waitcnt vmcnt(0)
	ds_write_b64 v70, v[68:69]
	s_waitcnt lgkmcnt(0)
	; wave barrier
	s_waitcnt lgkmcnt(0)
	s_and_saveexec_b64 s[6:7], vcc
	s_cbranch_execz .LBB96_590
; %bb.581:
	s_and_b64 vcc, exec, s[4:5]
	s_cbranch_vccnz .LBB96_583
; %bb.582:
	buffer_load_dword v68, v71, s[0:3], 0 offen
	buffer_load_dword v69, v71, s[0:3], 0 offen offset:4
	ds_read_b64 v[72:73], v70
	s_waitcnt vmcnt(0) lgkmcnt(0)
	v_mul_f64 v[68:69], v[68:69], v[72:73]
	s_cbranch_execz .LBB96_584
	s_branch .LBB96_585
.LBB96_583:
                                        ; implicit-def: $vgpr68_vgpr69
.LBB96_584:
	ds_read_b64 v[68:69], v70
.LBB96_585:
	v_cmp_ne_u32_e32 vcc, 27, v0
	s_and_saveexec_b64 s[8:9], vcc
	s_cbranch_execz .LBB96_589
; %bb.586:
	v_mov_b32_e32 v73, 0
	v_add_u32_e32 v72, 0x118, v1
	v_add3_u32 v73, v1, v73, 8
	s_mov_b64 s[10:11], 0
	v_mov_b32_e32 v74, v0
.LBB96_587:                             ; =>This Inner Loop Header: Depth=1
	buffer_load_dword v76, v73, s[0:3], 0 offen
	buffer_load_dword v77, v73, s[0:3], 0 offen offset:4
	ds_read_b64 v[78:79], v72
	v_add_u32_e32 v74, 1, v74
	v_cmp_lt_u32_e32 vcc, 26, v74
	v_add_u32_e32 v72, 8, v72
	v_add_u32_e32 v73, 8, v73
	s_or_b64 s[10:11], vcc, s[10:11]
	s_waitcnt vmcnt(0) lgkmcnt(0)
	v_fmac_f64_e32 v[68:69], v[76:77], v[78:79]
	s_andn2_b64 exec, exec, s[10:11]
	s_cbranch_execnz .LBB96_587
; %bb.588:
	s_or_b64 exec, exec, s[10:11]
.LBB96_589:
	s_or_b64 exec, exec, s[8:9]
	v_mov_b32_e32 v72, 0
	ds_read_b64 v[72:73], v72 offset:224
	s_waitcnt lgkmcnt(0)
	v_mul_f64 v[68:69], v[68:69], v[72:73]
	buffer_store_dword v69, off, s[0:3], 0 offset:228
	buffer_store_dword v68, off, s[0:3], 0 offset:224
.LBB96_590:
	s_or_b64 exec, exec, s[6:7]
	buffer_load_dword v68, off, s[0:3], 0 offset:232
	buffer_load_dword v69, off, s[0:3], 0 offset:236
	v_cmp_gt_u32_e32 vcc, 29, v0
	s_waitcnt vmcnt(0)
	ds_write_b64 v70, v[68:69]
	s_waitcnt lgkmcnt(0)
	; wave barrier
	s_waitcnt lgkmcnt(0)
	s_and_saveexec_b64 s[6:7], vcc
	s_cbranch_execz .LBB96_600
; %bb.591:
	s_and_b64 vcc, exec, s[4:5]
	s_cbranch_vccnz .LBB96_593
; %bb.592:
	buffer_load_dword v68, v71, s[0:3], 0 offen
	buffer_load_dword v69, v71, s[0:3], 0 offen offset:4
	ds_read_b64 v[72:73], v70
	s_waitcnt vmcnt(0) lgkmcnt(0)
	v_mul_f64 v[68:69], v[68:69], v[72:73]
	s_cbranch_execz .LBB96_594
	s_branch .LBB96_595
.LBB96_593:
                                        ; implicit-def: $vgpr68_vgpr69
.LBB96_594:
	ds_read_b64 v[68:69], v70
.LBB96_595:
	v_cmp_ne_u32_e32 vcc, 28, v0
	s_and_saveexec_b64 s[8:9], vcc
	s_cbranch_execz .LBB96_599
; %bb.596:
	v_mov_b32_e32 v73, 0
	v_add_u32_e32 v72, 0x118, v1
	v_add3_u32 v73, v1, v73, 8
	s_mov_b64 s[10:11], 0
	v_mov_b32_e32 v74, v0
.LBB96_597:                             ; =>This Inner Loop Header: Depth=1
	buffer_load_dword v76, v73, s[0:3], 0 offen
	buffer_load_dword v77, v73, s[0:3], 0 offen offset:4
	ds_read_b64 v[78:79], v72
	v_add_u32_e32 v74, 1, v74
	v_cmp_lt_u32_e32 vcc, 27, v74
	v_add_u32_e32 v72, 8, v72
	v_add_u32_e32 v73, 8, v73
	s_or_b64 s[10:11], vcc, s[10:11]
	s_waitcnt vmcnt(0) lgkmcnt(0)
	v_fmac_f64_e32 v[68:69], v[76:77], v[78:79]
	s_andn2_b64 exec, exec, s[10:11]
	s_cbranch_execnz .LBB96_597
; %bb.598:
	s_or_b64 exec, exec, s[10:11]
.LBB96_599:
	s_or_b64 exec, exec, s[8:9]
	v_mov_b32_e32 v72, 0
	ds_read_b64 v[72:73], v72 offset:232
	s_waitcnt lgkmcnt(0)
	v_mul_f64 v[68:69], v[68:69], v[72:73]
	buffer_store_dword v69, off, s[0:3], 0 offset:236
	buffer_store_dword v68, off, s[0:3], 0 offset:232
.LBB96_600:
	s_or_b64 exec, exec, s[6:7]
	buffer_load_dword v68, off, s[0:3], 0 offset:240
	buffer_load_dword v69, off, s[0:3], 0 offset:244
	v_cmp_gt_u32_e32 vcc, 30, v0
	s_waitcnt vmcnt(0)
	ds_write_b64 v70, v[68:69]
	s_waitcnt lgkmcnt(0)
	; wave barrier
	s_waitcnt lgkmcnt(0)
	s_and_saveexec_b64 s[6:7], vcc
	s_cbranch_execz .LBB96_610
; %bb.601:
	s_and_b64 vcc, exec, s[4:5]
	s_cbranch_vccnz .LBB96_603
; %bb.602:
	buffer_load_dword v68, v71, s[0:3], 0 offen
	buffer_load_dword v69, v71, s[0:3], 0 offen offset:4
	ds_read_b64 v[72:73], v70
	s_waitcnt vmcnt(0) lgkmcnt(0)
	v_mul_f64 v[68:69], v[68:69], v[72:73]
	s_cbranch_execz .LBB96_604
	s_branch .LBB96_605
.LBB96_603:
                                        ; implicit-def: $vgpr68_vgpr69
.LBB96_604:
	ds_read_b64 v[68:69], v70
.LBB96_605:
	v_cmp_ne_u32_e32 vcc, 29, v0
	s_and_saveexec_b64 s[8:9], vcc
	s_cbranch_execz .LBB96_609
; %bb.606:
	v_mov_b32_e32 v73, 0
	v_add_u32_e32 v72, 0x118, v1
	v_add3_u32 v73, v1, v73, 8
	s_mov_b64 s[10:11], 0
	v_mov_b32_e32 v74, v0
.LBB96_607:                             ; =>This Inner Loop Header: Depth=1
	buffer_load_dword v76, v73, s[0:3], 0 offen
	buffer_load_dword v77, v73, s[0:3], 0 offen offset:4
	ds_read_b64 v[78:79], v72
	v_add_u32_e32 v74, 1, v74
	v_cmp_lt_u32_e32 vcc, 28, v74
	v_add_u32_e32 v72, 8, v72
	v_add_u32_e32 v73, 8, v73
	s_or_b64 s[10:11], vcc, s[10:11]
	s_waitcnt vmcnt(0) lgkmcnt(0)
	v_fmac_f64_e32 v[68:69], v[76:77], v[78:79]
	s_andn2_b64 exec, exec, s[10:11]
	s_cbranch_execnz .LBB96_607
; %bb.608:
	s_or_b64 exec, exec, s[10:11]
.LBB96_609:
	s_or_b64 exec, exec, s[8:9]
	v_mov_b32_e32 v72, 0
	ds_read_b64 v[72:73], v72 offset:240
	s_waitcnt lgkmcnt(0)
	v_mul_f64 v[68:69], v[68:69], v[72:73]
	buffer_store_dword v69, off, s[0:3], 0 offset:244
	buffer_store_dword v68, off, s[0:3], 0 offset:240
.LBB96_610:
	s_or_b64 exec, exec, s[6:7]
	buffer_load_dword v68, off, s[0:3], 0 offset:248
	buffer_load_dword v69, off, s[0:3], 0 offset:252
	v_cmp_gt_u32_e64 s[6:7], 31, v0
	s_waitcnt vmcnt(0)
	ds_write_b64 v70, v[68:69]
	s_waitcnt lgkmcnt(0)
	; wave barrier
	s_waitcnt lgkmcnt(0)
	s_and_saveexec_b64 s[8:9], s[6:7]
	s_cbranch_execz .LBB96_620
; %bb.611:
	s_and_b64 vcc, exec, s[4:5]
	s_cbranch_vccnz .LBB96_613
; %bb.612:
	buffer_load_dword v68, v71, s[0:3], 0 offen
	buffer_load_dword v69, v71, s[0:3], 0 offen offset:4
	ds_read_b64 v[72:73], v70
	s_waitcnt vmcnt(0) lgkmcnt(0)
	v_mul_f64 v[68:69], v[68:69], v[72:73]
	s_cbranch_execz .LBB96_614
	s_branch .LBB96_615
.LBB96_613:
                                        ; implicit-def: $vgpr68_vgpr69
.LBB96_614:
	ds_read_b64 v[68:69], v70
.LBB96_615:
	v_cmp_ne_u32_e32 vcc, 30, v0
	s_and_saveexec_b64 s[10:11], vcc
	s_cbranch_execz .LBB96_619
; %bb.616:
	v_mov_b32_e32 v73, 0
	v_add_u32_e32 v72, 0x118, v1
	v_add3_u32 v73, v1, v73, 8
	s_mov_b64 s[12:13], 0
	v_mov_b32_e32 v74, v0
.LBB96_617:                             ; =>This Inner Loop Header: Depth=1
	buffer_load_dword v76, v73, s[0:3], 0 offen
	buffer_load_dword v77, v73, s[0:3], 0 offen offset:4
	ds_read_b64 v[78:79], v72
	v_add_u32_e32 v74, 1, v74
	v_cmp_lt_u32_e32 vcc, 29, v74
	v_add_u32_e32 v72, 8, v72
	v_add_u32_e32 v73, 8, v73
	s_or_b64 s[12:13], vcc, s[12:13]
	s_waitcnt vmcnt(0) lgkmcnt(0)
	v_fmac_f64_e32 v[68:69], v[76:77], v[78:79]
	s_andn2_b64 exec, exec, s[12:13]
	s_cbranch_execnz .LBB96_617
; %bb.618:
	s_or_b64 exec, exec, s[12:13]
.LBB96_619:
	s_or_b64 exec, exec, s[10:11]
	v_mov_b32_e32 v72, 0
	ds_read_b64 v[72:73], v72 offset:248
	s_waitcnt lgkmcnt(0)
	v_mul_f64 v[68:69], v[68:69], v[72:73]
	buffer_store_dword v69, off, s[0:3], 0 offset:252
	buffer_store_dword v68, off, s[0:3], 0 offset:248
.LBB96_620:
	s_or_b64 exec, exec, s[8:9]
	buffer_load_dword v68, off, s[0:3], 0 offset:256
	buffer_load_dword v69, off, s[0:3], 0 offset:260
	v_cmp_ne_u32_e32 vcc, 32, v0
	s_waitcnt vmcnt(0)
	ds_write_b64 v70, v[68:69]
	s_waitcnt lgkmcnt(0)
	; wave barrier
	s_waitcnt lgkmcnt(0)
	s_and_saveexec_b64 s[8:9], vcc
	s_cbranch_execz .LBB96_630
; %bb.621:
	s_and_b64 vcc, exec, s[4:5]
	s_cbranch_vccnz .LBB96_623
; %bb.622:
	buffer_load_dword v68, v71, s[0:3], 0 offen
	buffer_load_dword v69, v71, s[0:3], 0 offen offset:4
	ds_read_b64 v[72:73], v70
	s_waitcnt vmcnt(0) lgkmcnt(0)
	v_mul_f64 v[68:69], v[68:69], v[72:73]
	s_cbranch_execz .LBB96_624
	s_branch .LBB96_625
.LBB96_623:
                                        ; implicit-def: $vgpr68_vgpr69
.LBB96_624:
	ds_read_b64 v[68:69], v70
.LBB96_625:
	s_and_saveexec_b64 s[4:5], s[6:7]
	s_cbranch_execz .LBB96_629
; %bb.626:
	v_mov_b32_e32 v71, 0
	v_add_u32_e32 v70, 0x118, v1
	v_add3_u32 v1, v1, v71, 8
	s_mov_b64 s[6:7], 0
.LBB96_627:                             ; =>This Inner Loop Header: Depth=1
	buffer_load_dword v72, v1, s[0:3], 0 offen
	buffer_load_dword v73, v1, s[0:3], 0 offen offset:4
	ds_read_b64 v[74:75], v70
	v_add_u32_e32 v0, 1, v0
	v_cmp_lt_u32_e32 vcc, 30, v0
	v_add_u32_e32 v70, 8, v70
	v_add_u32_e32 v1, 8, v1
	s_or_b64 s[6:7], vcc, s[6:7]
	s_waitcnt vmcnt(0) lgkmcnt(0)
	v_fmac_f64_e32 v[68:69], v[72:73], v[74:75]
	s_andn2_b64 exec, exec, s[6:7]
	s_cbranch_execnz .LBB96_627
; %bb.628:
	s_or_b64 exec, exec, s[6:7]
.LBB96_629:
	s_or_b64 exec, exec, s[4:5]
	v_mov_b32_e32 v0, 0
	ds_read_b64 v[0:1], v0 offset:256
	s_waitcnt lgkmcnt(0)
	v_mul_f64 v[0:1], v[68:69], v[0:1]
	buffer_store_dword v1, off, s[0:3], 0 offset:260
	buffer_store_dword v0, off, s[0:3], 0 offset:256
.LBB96_630:
	s_or_b64 exec, exec, s[8:9]
.LBB96_631:
	buffer_load_dword v0, off, s[0:3], 0
	buffer_load_dword v1, off, s[0:3], 0 offset:4
	buffer_load_dword v68, off, s[0:3], 0 offset:8
	;; [unrolled: 1-line block ×15, first 2 shown]
	s_waitcnt vmcnt(14)
	global_store_dwordx2 v[64:65], v[0:1], off
	s_waitcnt vmcnt(13)
	global_store_dwordx2 v[66:67], v[68:69], off
	;; [unrolled: 2-line block ×8, first 2 shown]
	buffer_load_dword v1, off, s[0:3], 0 offset:68
	buffer_load_dword v0, off, s[0:3], 0 offset:64
	s_waitcnt vmcnt(0)
	global_store_dwordx2 v[20:21], v[0:1], off
	buffer_load_dword v0, off, s[0:3], 0 offset:72
	s_nop 0
	buffer_load_dword v1, off, s[0:3], 0 offset:76
	s_waitcnt vmcnt(0)
	global_store_dwordx2 v[12:13], v[0:1], off
	buffer_load_dword v0, off, s[0:3], 0 offset:80
	s_nop 0
	;; [unrolled: 5-line block ×24, first 2 shown]
	buffer_load_dword v1, off, s[0:3], 0 offset:260
	s_waitcnt vmcnt(0)
	global_store_dwordx2 v[60:61], v[0:1], off
.LBB96_632:
	s_endpgm
	.section	.rodata,"a",@progbits
	.p2align	6, 0x0
	.amdhsa_kernel _ZN9rocsolver6v33100L18trti2_kernel_smallILi33EdPKPdEEv13rocblas_fill_17rocblas_diagonal_T1_iil
		.amdhsa_group_segment_fixed_size 536
		.amdhsa_private_segment_fixed_size 272
		.amdhsa_kernarg_size 32
		.amdhsa_user_sgpr_count 8
		.amdhsa_user_sgpr_private_segment_buffer 1
		.amdhsa_user_sgpr_dispatch_ptr 0
		.amdhsa_user_sgpr_queue_ptr 0
		.amdhsa_user_sgpr_kernarg_segment_ptr 1
		.amdhsa_user_sgpr_dispatch_id 0
		.amdhsa_user_sgpr_flat_scratch_init 1
		.amdhsa_user_sgpr_kernarg_preload_length 0
		.amdhsa_user_sgpr_kernarg_preload_offset 0
		.amdhsa_user_sgpr_private_segment_size 0
		.amdhsa_uses_dynamic_stack 0
		.amdhsa_system_sgpr_private_segment_wavefront_offset 1
		.amdhsa_system_sgpr_workgroup_id_x 1
		.amdhsa_system_sgpr_workgroup_id_y 0
		.amdhsa_system_sgpr_workgroup_id_z 0
		.amdhsa_system_sgpr_workgroup_info 0
		.amdhsa_system_vgpr_workitem_id 0
		.amdhsa_next_free_vgpr 124
		.amdhsa_next_free_sgpr 16
		.amdhsa_accum_offset 124
		.amdhsa_reserve_vcc 1
		.amdhsa_reserve_flat_scratch 0
		.amdhsa_float_round_mode_32 0
		.amdhsa_float_round_mode_16_64 0
		.amdhsa_float_denorm_mode_32 3
		.amdhsa_float_denorm_mode_16_64 3
		.amdhsa_dx10_clamp 1
		.amdhsa_ieee_mode 1
		.amdhsa_fp16_overflow 0
		.amdhsa_tg_split 0
		.amdhsa_exception_fp_ieee_invalid_op 0
		.amdhsa_exception_fp_denorm_src 0
		.amdhsa_exception_fp_ieee_div_zero 0
		.amdhsa_exception_fp_ieee_overflow 0
		.amdhsa_exception_fp_ieee_underflow 0
		.amdhsa_exception_fp_ieee_inexact 0
		.amdhsa_exception_int_div_zero 0
	.end_amdhsa_kernel
	.section	.text._ZN9rocsolver6v33100L18trti2_kernel_smallILi33EdPKPdEEv13rocblas_fill_17rocblas_diagonal_T1_iil,"axG",@progbits,_ZN9rocsolver6v33100L18trti2_kernel_smallILi33EdPKPdEEv13rocblas_fill_17rocblas_diagonal_T1_iil,comdat
.Lfunc_end96:
	.size	_ZN9rocsolver6v33100L18trti2_kernel_smallILi33EdPKPdEEv13rocblas_fill_17rocblas_diagonal_T1_iil, .Lfunc_end96-_ZN9rocsolver6v33100L18trti2_kernel_smallILi33EdPKPdEEv13rocblas_fill_17rocblas_diagonal_T1_iil
                                        ; -- End function
	.section	.AMDGPU.csdata,"",@progbits
; Kernel info:
; codeLenInByte = 19192
; NumSgprs: 20
; NumVgprs: 124
; NumAgprs: 0
; TotalNumVgprs: 124
; ScratchSize: 272
; MemoryBound: 0
; FloatMode: 240
; IeeeMode: 1
; LDSByteSize: 536 bytes/workgroup (compile time only)
; SGPRBlocks: 2
; VGPRBlocks: 15
; NumSGPRsForWavesPerEU: 20
; NumVGPRsForWavesPerEU: 124
; AccumOffset: 124
; Occupancy: 4
; WaveLimiterHint : 1
; COMPUTE_PGM_RSRC2:SCRATCH_EN: 1
; COMPUTE_PGM_RSRC2:USER_SGPR: 8
; COMPUTE_PGM_RSRC2:TRAP_HANDLER: 0
; COMPUTE_PGM_RSRC2:TGID_X_EN: 1
; COMPUTE_PGM_RSRC2:TGID_Y_EN: 0
; COMPUTE_PGM_RSRC2:TGID_Z_EN: 0
; COMPUTE_PGM_RSRC2:TIDIG_COMP_CNT: 0
; COMPUTE_PGM_RSRC3_GFX90A:ACCUM_OFFSET: 30
; COMPUTE_PGM_RSRC3_GFX90A:TG_SPLIT: 0
	.section	.text._ZN9rocsolver6v33100L18trti2_kernel_smallILi34EdPKPdEEv13rocblas_fill_17rocblas_diagonal_T1_iil,"axG",@progbits,_ZN9rocsolver6v33100L18trti2_kernel_smallILi34EdPKPdEEv13rocblas_fill_17rocblas_diagonal_T1_iil,comdat
	.globl	_ZN9rocsolver6v33100L18trti2_kernel_smallILi34EdPKPdEEv13rocblas_fill_17rocblas_diagonal_T1_iil ; -- Begin function _ZN9rocsolver6v33100L18trti2_kernel_smallILi34EdPKPdEEv13rocblas_fill_17rocblas_diagonal_T1_iil
	.p2align	8
	.type	_ZN9rocsolver6v33100L18trti2_kernel_smallILi34EdPKPdEEv13rocblas_fill_17rocblas_diagonal_T1_iil,@function
_ZN9rocsolver6v33100L18trti2_kernel_smallILi34EdPKPdEEv13rocblas_fill_17rocblas_diagonal_T1_iil: ; @_ZN9rocsolver6v33100L18trti2_kernel_smallILi34EdPKPdEEv13rocblas_fill_17rocblas_diagonal_T1_iil
; %bb.0:
	s_add_u32 s0, s0, s9
	s_addc_u32 s1, s1, 0
	v_cmp_gt_u32_e32 vcc, 34, v0
	s_and_saveexec_b64 s[6:7], vcc
	s_cbranch_execz .LBB97_652
; %bb.1:
	s_load_dwordx2 s[6:7], s[4:5], 0x10
	s_load_dwordx4 s[12:15], s[4:5], 0x0
	s_ashr_i32 s9, s8, 31
	s_lshl_b64 s[4:5], s[8:9], 3
	s_waitcnt lgkmcnt(0)
	s_ashr_i32 s9, s6, 31
	s_add_u32 s4, s14, s4
	s_addc_u32 s5, s15, s5
	s_load_dwordx2 s[4:5], s[4:5], 0x0
	s_mov_b32 s8, s6
	s_lshl_b64 s[8:9], s[8:9], 3
	s_waitcnt lgkmcnt(0)
	s_add_u32 s4, s4, s8
	s_addc_u32 s5, s5, s9
	s_add_i32 s6, s7, s7
	v_add_u32_e32 v4, s6, v0
	v_ashrrev_i32_e32 v5, 31, v4
	v_lshlrev_b64 v[2:3], 3, v[4:5]
	v_add_u32_e32 v6, s7, v4
	v_mov_b32_e32 v1, s5
	v_add_co_u32_e32 v2, vcc, s4, v2
	v_ashrrev_i32_e32 v7, 31, v6
	v_addc_co_u32_e32 v3, vcc, v1, v3, vcc
	v_lshlrev_b64 v[4:5], 3, v[6:7]
	v_add_u32_e32 v8, s7, v6
	v_add_co_u32_e32 v4, vcc, s4, v4
	v_ashrrev_i32_e32 v9, 31, v8
	v_addc_co_u32_e32 v5, vcc, v1, v5, vcc
	v_lshlrev_b64 v[6:7], 3, v[8:9]
	v_add_u32_e32 v10, s7, v8
	;; [unrolled: 5-line block ×5, first 2 shown]
	v_add_co_u32_e32 v14, vcc, s4, v14
	v_ashrrev_i32_e32 v13, 31, v12
	v_addc_co_u32_e32 v15, vcc, v1, v15, vcc
	v_lshlrev_b64 v[16:17], 3, v[12:13]
	v_add_co_u32_e32 v20, vcc, s4, v16
	v_add_u32_e32 v16, s7, v12
	v_addc_co_u32_e32 v21, vcc, v1, v17, vcc
	v_ashrrev_i32_e32 v17, 31, v16
	v_lshlrev_b64 v[12:13], 3, v[16:17]
	v_add_u32_e32 v18, s7, v16
	v_add_co_u32_e32 v12, vcc, s4, v12
	v_ashrrev_i32_e32 v19, 31, v18
	v_addc_co_u32_e32 v13, vcc, v1, v13, vcc
	v_lshlrev_b64 v[16:17], 3, v[18:19]
	v_add_u32_e32 v22, s7, v18
	v_add_co_u32_e32 v16, vcc, s4, v16
	v_ashrrev_i32_e32 v23, 31, v22
	v_addc_co_u32_e32 v17, vcc, v1, v17, vcc
	;; [unrolled: 5-line block ×16, first 2 shown]
	v_lshlrev_b64 v[48:49], 3, v[50:51]
	v_add_co_u32_e32 v48, vcc, s4, v48
	v_addc_co_u32_e32 v49, vcc, v1, v49, vcc
	v_lshlrev_b32_e32 v1, 3, v0
	global_load_dwordx2 v[70:71], v1, s[4:5]
	global_load_dwordx2 v[74:75], v[2:3], off
	global_load_dwordx2 v[76:77], v[4:5], off
	;; [unrolled: 1-line block ×3, first 2 shown]
	v_mov_b32_e32 v54, s5
	v_add_co_u32_e32 v66, vcc, s4, v1
	s_ashr_i32 s9, s7, 31
	s_mov_b32 s8, s7
	v_addc_co_u32_e32 v67, vcc, 0, v54, vcc
	s_lshl_b64 s[8:9], s[8:9], 3
	v_mov_b32_e32 v54, s9
	v_add_co_u32_e32 v68, vcc, s8, v66
	v_addc_co_u32_e32 v69, vcc, v67, v54, vcc
	global_load_dwordx2 v[72:73], v[68:69], off
	global_load_dwordx2 v[82:83], v[10:11], off
	;; [unrolled: 1-line block ×3, first 2 shown]
	v_add_u32_e32 v52, s7, v50
	v_ashrrev_i32_e32 v53, 31, v52
	v_lshlrev_b64 v[50:51], 3, v[52:53]
	v_add_u32_e32 v54, s7, v52
	v_mov_b32_e32 v53, s5
	v_add_co_u32_e32 v50, vcc, s4, v50
	v_ashrrev_i32_e32 v55, 31, v54
	v_addc_co_u32_e32 v51, vcc, v53, v51, vcc
	v_lshlrev_b64 v[52:53], 3, v[54:55]
	v_mov_b32_e32 v55, s5
	v_add_co_u32_e32 v52, vcc, s4, v52
	v_add_u32_e32 v54, s7, v54
	v_addc_co_u32_e32 v53, vcc, v55, v53, vcc
	v_ashrrev_i32_e32 v55, 31, v54
	v_lshlrev_b64 v[56:57], 3, v[54:55]
	v_mov_b32_e32 v55, s5
	v_add_co_u32_e32 v56, vcc, s4, v56
	v_add_u32_e32 v54, s7, v54
	v_addc_co_u32_e32 v57, vcc, v55, v57, vcc
	v_ashrrev_i32_e32 v55, 31, v54
	;; [unrolled: 6-line block ×3, first 2 shown]
	v_lshlrev_b64 v[60:61], 3, v[54:55]
	v_add_u32_e32 v54, s7, v54
	v_mov_b32_e32 v62, s5
	v_add_co_u32_e32 v60, vcc, s4, v60
	v_ashrrev_i32_e32 v55, 31, v54
	v_addc_co_u32_e32 v61, vcc, v62, v61, vcc
	v_lshlrev_b64 v[62:63], 3, v[54:55]
	v_add_u32_e32 v54, s7, v54
	v_mov_b32_e32 v64, s5
	v_add_co_u32_e32 v62, vcc, s4, v62
	v_ashrrev_i32_e32 v55, 31, v54
	v_addc_co_u32_e32 v63, vcc, v64, v63, vcc
	;; [unrolled: 6-line block ×3, first 2 shown]
	v_lshlrev_b64 v[54:55], 3, v[54:55]
	v_mov_b32_e32 v104, s5
	v_add_co_u32_e32 v54, vcc, s4, v54
	global_load_dwordx2 v[84:85], v[14:15], off
	global_load_dwordx2 v[86:87], v[20:21], off
	;; [unrolled: 1-line block ×10, first 2 shown]
	v_addc_co_u32_e32 v55, vcc, v104, v55, vcc
	global_load_dwordx2 v[104:105], v[32:33], off
	global_load_dwordx2 v[106:107], v[54:55], off
	;; [unrolled: 1-line block ×10, first 2 shown]
	s_cmpk_lg_i32 s13, 0x84
	s_waitcnt vmcnt(26)
	buffer_store_dword v71, off, s[0:3], 0 offset:4
	buffer_store_dword v70, off, s[0:3], 0
	global_load_dwordx2 v[70:71], v[38:39], off
	s_cselect_b64 s[8:9], -1, 0
	s_waitcnt vmcnt(25)
	buffer_store_dword v73, off, s[0:3], 0 offset:12
	buffer_store_dword v72, off, s[0:3], 0 offset:8
	global_load_dwordx2 v[72:73], v[42:43], off
	s_cmpk_eq_i32 s13, 0x84
	buffer_store_dword v75, off, s[0:3], 0 offset:20
	buffer_store_dword v74, off, s[0:3], 0 offset:16
	global_load_dwordx2 v[74:75], v[46:47], off
	s_nop 0
	buffer_store_dword v77, off, s[0:3], 0 offset:28
	buffer_store_dword v76, off, s[0:3], 0 offset:24
	global_load_dwordx2 v[76:77], v[50:51], off
	s_nop 0
	buffer_store_dword v79, off, s[0:3], 0 offset:36
	buffer_store_dword v78, off, s[0:3], 0 offset:32
	global_load_dwordx2 v[78:79], v[56:57], off
	s_waitcnt vmcnt(35)
	buffer_store_dword v81, off, s[0:3], 0 offset:44
	buffer_store_dword v80, off, s[0:3], 0 offset:40
	global_load_dwordx2 v[80:81], v[60:61], off
	s_nop 0
	buffer_store_dword v83, off, s[0:3], 0 offset:52
	buffer_store_dword v82, off, s[0:3], 0 offset:48
	global_load_dwordx2 v[82:83], v[64:65], off
	s_waitcnt vmcnt(40)
	buffer_store_dword v85, off, s[0:3], 0 offset:60
	buffer_store_dword v84, off, s[0:3], 0 offset:56
	s_waitcnt vmcnt(41)
	buffer_store_dword v87, off, s[0:3], 0 offset:68
	buffer_store_dword v86, off, s[0:3], 0 offset:64
	s_waitcnt vmcnt(42)
	buffer_store_dword v88, off, s[0:3], 0 offset:72
	buffer_store_dword v89, off, s[0:3], 0 offset:76
	s_waitcnt vmcnt(43)
	buffer_store_dword v90, off, s[0:3], 0 offset:80
	buffer_store_dword v91, off, s[0:3], 0 offset:84
	s_waitcnt vmcnt(44)
	buffer_store_dword v92, off, s[0:3], 0 offset:88
	buffer_store_dword v93, off, s[0:3], 0 offset:92
	s_waitcnt vmcnt(45)
	buffer_store_dword v94, off, s[0:3], 0 offset:96
	buffer_store_dword v95, off, s[0:3], 0 offset:100
	s_waitcnt vmcnt(46)
	buffer_store_dword v96, off, s[0:3], 0 offset:104
	buffer_store_dword v97, off, s[0:3], 0 offset:108
	s_waitcnt vmcnt(47)
	buffer_store_dword v99, off, s[0:3], 0 offset:116
	buffer_store_dword v98, off, s[0:3], 0 offset:112
	s_waitcnt vmcnt(48)
	buffer_store_dword v100, off, s[0:3], 0 offset:120
	buffer_store_dword v101, off, s[0:3], 0 offset:124
	s_waitcnt vmcnt(49)
	buffer_store_dword v102, off, s[0:3], 0 offset:128
	buffer_store_dword v103, off, s[0:3], 0 offset:132
	s_waitcnt vmcnt(50)
	buffer_store_dword v104, off, s[0:3], 0 offset:136
	buffer_store_dword v105, off, s[0:3], 0 offset:140
	s_waitcnt vmcnt(50)
	buffer_store_dword v108, off, s[0:3], 0 offset:144
	buffer_store_dword v109, off, s[0:3], 0 offset:148
	s_waitcnt vmcnt(51)
	buffer_store_dword v111, off, s[0:3], 0 offset:156
	buffer_store_dword v110, off, s[0:3], 0 offset:152
	s_waitcnt vmcnt(44)
	buffer_store_dword v71, off, s[0:3], 0 offset:164
	buffer_store_dword v70, off, s[0:3], 0 offset:160
	buffer_store_dword v112, off, s[0:3], 0 offset:168
	buffer_store_dword v113, off, s[0:3], 0 offset:172
	s_waitcnt vmcnt(45)
	buffer_store_dword v72, off, s[0:3], 0 offset:176
	buffer_store_dword v73, off, s[0:3], 0 offset:180
	buffer_store_dword v114, off, s[0:3], 0 offset:184
	buffer_store_dword v115, off, s[0:3], 0 offset:188
	s_waitcnt vmcnt(46)
	buffer_store_dword v74, off, s[0:3], 0 offset:192
	buffer_store_dword v75, off, s[0:3], 0 offset:196
	;; [unrolled: 5-line block ×6, first 2 shown]
	buffer_store_dword v106, off, s[0:3], 0 offset:264
	buffer_store_dword v107, off, s[0:3], 0 offset:268
	v_mov_b32_e32 v70, 0
	v_mov_b32_e32 v104, 0
	;; [unrolled: 1-line block ×3, first 2 shown]
	s_cbranch_scc1 .LBB97_3
; %bb.2:
	v_lshl_add_u32 v80, v0, 3, v104
	buffer_load_dword v70, v80, s[0:3], 0 offen
	buffer_load_dword v71, v80, s[0:3], 0 offen offset:4
	s_waitcnt vmcnt(0)
	v_div_scale_f64 v[72:73], s[4:5], v[70:71], v[70:71], 1.0
	v_rcp_f64_e32 v[74:75], v[72:73]
	v_div_scale_f64 v[76:77], vcc, 1.0, v[70:71], 1.0
	v_fma_f64 v[78:79], -v[72:73], v[74:75], 1.0
	v_fmac_f64_e32 v[74:75], v[74:75], v[78:79]
	v_fma_f64 v[78:79], -v[72:73], v[74:75], 1.0
	v_fmac_f64_e32 v[74:75], v[74:75], v[78:79]
	v_mul_f64 v[78:79], v[76:77], v[74:75]
	v_fma_f64 v[72:73], -v[72:73], v[78:79], v[76:77]
	v_div_fmas_f64 v[72:73], v[72:73], v[74:75], v[78:79]
	v_div_fixup_f64 v[70:71], v[72:73], v[70:71], 1.0
	buffer_store_dword v70, v80, s[0:3], 0 offen
	buffer_store_dword v71, v80, s[0:3], 0 offen offset:4
	v_xor_b32_e32 v71, 0x80000000, v71
.LBB97_3:
	s_cmpk_eq_i32 s12, 0x79
	v_add_u32_e32 v72, 0x110, v1
	v_add_u32_e32 v73, 0, v1
	s_mov_b64 s[4:5], -1
	ds_write_b64 v1, v[70:71]
	s_cbranch_scc1 .LBB97_327
; %bb.4:
	buffer_load_dword v70, off, s[0:3], 0 offset:256
	buffer_load_dword v71, off, s[0:3], 0 offset:260
	v_cmp_eq_u32_e64 s[4:5], 33, v0
	s_waitcnt vmcnt(0)
	ds_write_b64 v72, v[70:71]
	s_waitcnt lgkmcnt(0)
	; wave barrier
	s_waitcnt lgkmcnt(0)
	s_and_saveexec_b64 s[6:7], s[4:5]
	s_cbranch_execz .LBB97_10
; %bb.5:
	s_and_b64 vcc, exec, s[8:9]
	s_cbranch_vccz .LBB97_7
; %bb.6:
	buffer_load_dword v70, v73, s[0:3], 0 offen
	buffer_load_dword v71, v73, s[0:3], 0 offen offset:4
	ds_read_b64 v[74:75], v72
	s_waitcnt vmcnt(0) lgkmcnt(0)
	v_mul_f64 v[70:71], v[70:71], v[74:75]
	s_cbranch_execz .LBB97_8
	s_branch .LBB97_9
.LBB97_7:
                                        ; implicit-def: $vgpr70_vgpr71
.LBB97_8:
	ds_read_b64 v[70:71], v72
.LBB97_9:
	v_mov_b32_e32 v74, 0
	ds_read_b64 v[74:75], v74 offset:256
	s_waitcnt lgkmcnt(0)
	v_mul_f64 v[70:71], v[70:71], v[74:75]
	buffer_store_dword v71, off, s[0:3], 0 offset:260
	buffer_store_dword v70, off, s[0:3], 0 offset:256
.LBB97_10:
	s_or_b64 exec, exec, s[6:7]
	buffer_load_dword v70, off, s[0:3], 0 offset:248
	buffer_load_dword v71, off, s[0:3], 0 offset:252
	v_or_b32_e32 v74, 8, v104
	v_add_u32_e32 v75, 16, v104
	v_add_u32_e32 v76, 24, v104
	;; [unrolled: 1-line block ×30, first 2 shown]
	v_cmp_lt_u32_e64 s[6:7], 31, v0
	s_waitcnt vmcnt(0)
	ds_write_b64 v72, v[70:71]
	s_waitcnt lgkmcnt(0)
	; wave barrier
	s_waitcnt lgkmcnt(0)
	s_and_saveexec_b64 s[10:11], s[6:7]
	s_cbranch_execz .LBB97_16
; %bb.11:
	s_andn2_b64 vcc, exec, s[8:9]
	s_cbranch_vccnz .LBB97_13
; %bb.12:
	buffer_load_dword v70, v73, s[0:3], 0 offen
	buffer_load_dword v71, v73, s[0:3], 0 offen offset:4
	ds_read_b64 v[106:107], v72
	s_waitcnt vmcnt(0) lgkmcnt(0)
	v_mul_f64 v[70:71], v[70:71], v[106:107]
	s_cbranch_execz .LBB97_14
	s_branch .LBB97_15
.LBB97_13:
                                        ; implicit-def: $vgpr70_vgpr71
.LBB97_14:
	ds_read_b64 v[70:71], v72
.LBB97_15:
	buffer_load_dword v110, off, s[0:3], 0 offset:256
	buffer_load_dword v111, off, s[0:3], 0 offset:260
	v_mov_b32_e32 v105, 0
	ds_read2_b64 v[106:109], v105 offset0:31 offset1:66
	s_waitcnt vmcnt(0) lgkmcnt(0)
	v_fma_f64 v[108:109], v[110:111], v[108:109], v[70:71]
	v_cndmask_b32_e64 v71, v71, v109, s[4:5]
	v_cndmask_b32_e64 v70, v70, v108, s[4:5]
	v_mul_f64 v[70:71], v[70:71], v[106:107]
	buffer_store_dword v71, off, s[0:3], 0 offset:252
	buffer_store_dword v70, off, s[0:3], 0 offset:248
.LBB97_16:
	s_or_b64 exec, exec, s[10:11]
	buffer_load_dword v70, off, s[0:3], 0 offset:240
	buffer_load_dword v71, off, s[0:3], 0 offset:244
	v_cmp_lt_u32_e64 s[4:5], 30, v0
	s_waitcnt vmcnt(0)
	ds_write_b64 v72, v[70:71]
	s_waitcnt lgkmcnt(0)
	; wave barrier
	s_waitcnt lgkmcnt(0)
	s_and_saveexec_b64 s[10:11], s[4:5]
	s_cbranch_execz .LBB97_26
; %bb.17:
	s_andn2_b64 vcc, exec, s[8:9]
	s_cbranch_vccnz .LBB97_19
; %bb.18:
	buffer_load_dword v70, v73, s[0:3], 0 offen
	buffer_load_dword v71, v73, s[0:3], 0 offen offset:4
	ds_read_b64 v[106:107], v72
	s_waitcnt vmcnt(0) lgkmcnt(0)
	v_mul_f64 v[70:71], v[70:71], v[106:107]
	s_cbranch_execz .LBB97_20
	s_branch .LBB97_21
.LBB97_19:
                                        ; implicit-def: $vgpr70_vgpr71
.LBB97_20:
	ds_read_b64 v[70:71], v72
.LBB97_21:
	s_and_saveexec_b64 s[12:13], s[6:7]
	s_cbranch_execz .LBB97_25
; %bb.22:
	v_subrev_u32_e32 v105, 31, v0
	s_movk_i32 s14, 0x208
	s_mov_b64 s[6:7], 0
.LBB97_23:                              ; =>This Inner Loop Header: Depth=1
	buffer_load_dword v106, v104, s[0:3], 0 offen
	buffer_load_dword v107, v104, s[0:3], 0 offen offset:4
	v_mov_b32_e32 v108, s14
	ds_read_b64 v[108:109], v108
	v_add_u32_e32 v105, -1, v105
	s_add_i32 s14, s14, 8
	v_cmp_eq_u32_e32 vcc, 0, v105
	v_add_u32_e32 v104, 8, v104
	s_or_b64 s[6:7], vcc, s[6:7]
	s_waitcnt vmcnt(0) lgkmcnt(0)
	v_fmac_f64_e32 v[70:71], v[106:107], v[108:109]
	s_andn2_b64 exec, exec, s[6:7]
	s_cbranch_execnz .LBB97_23
; %bb.24:
	s_or_b64 exec, exec, s[6:7]
.LBB97_25:
	s_or_b64 exec, exec, s[12:13]
	v_mov_b32_e32 v104, 0
	ds_read_b64 v[104:105], v104 offset:240
	s_waitcnt lgkmcnt(0)
	v_mul_f64 v[70:71], v[70:71], v[104:105]
	buffer_store_dword v71, off, s[0:3], 0 offset:244
	buffer_store_dword v70, off, s[0:3], 0 offset:240
.LBB97_26:
	s_or_b64 exec, exec, s[10:11]
	buffer_load_dword v70, off, s[0:3], 0 offset:232
	buffer_load_dword v71, off, s[0:3], 0 offset:236
	v_cmp_lt_u32_e64 s[6:7], 29, v0
	s_waitcnt vmcnt(0)
	ds_write_b64 v72, v[70:71]
	s_waitcnt lgkmcnt(0)
	; wave barrier
	s_waitcnt lgkmcnt(0)
	s_and_saveexec_b64 s[10:11], s[6:7]
	s_cbranch_execz .LBB97_36
; %bb.27:
	s_andn2_b64 vcc, exec, s[8:9]
	s_cbranch_vccnz .LBB97_29
; %bb.28:
	buffer_load_dword v70, v73, s[0:3], 0 offen
	buffer_load_dword v71, v73, s[0:3], 0 offen offset:4
	ds_read_b64 v[104:105], v72
	s_waitcnt vmcnt(0) lgkmcnt(0)
	v_mul_f64 v[70:71], v[70:71], v[104:105]
	s_cbranch_execz .LBB97_30
	s_branch .LBB97_31
.LBB97_29:
                                        ; implicit-def: $vgpr70_vgpr71
.LBB97_30:
	ds_read_b64 v[70:71], v72
.LBB97_31:
	s_and_saveexec_b64 s[12:13], s[4:5]
	s_cbranch_execz .LBB97_35
; %bb.32:
	v_subrev_u32_e32 v104, 30, v0
	s_movk_i32 s14, 0x200
	s_mov_b64 s[4:5], 0
.LBB97_33:                              ; =>This Inner Loop Header: Depth=1
	buffer_load_dword v106, v103, s[0:3], 0 offen
	buffer_load_dword v107, v103, s[0:3], 0 offen offset:4
	v_mov_b32_e32 v105, s14
	ds_read_b64 v[108:109], v105
	v_add_u32_e32 v104, -1, v104
	s_add_i32 s14, s14, 8
	v_cmp_eq_u32_e32 vcc, 0, v104
	v_add_u32_e32 v103, 8, v103
	s_or_b64 s[4:5], vcc, s[4:5]
	s_waitcnt vmcnt(0) lgkmcnt(0)
	v_fmac_f64_e32 v[70:71], v[106:107], v[108:109]
	s_andn2_b64 exec, exec, s[4:5]
	s_cbranch_execnz .LBB97_33
; %bb.34:
	s_or_b64 exec, exec, s[4:5]
.LBB97_35:
	s_or_b64 exec, exec, s[12:13]
	v_mov_b32_e32 v103, 0
	ds_read_b64 v[104:105], v103 offset:232
	s_waitcnt lgkmcnt(0)
	v_mul_f64 v[70:71], v[70:71], v[104:105]
	buffer_store_dword v71, off, s[0:3], 0 offset:236
	buffer_store_dword v70, off, s[0:3], 0 offset:232
.LBB97_36:
	;; [unrolled: 58-line block ×8, first 2 shown]
	s_or_b64 exec, exec, s[10:11]
	buffer_load_dword v70, off, s[0:3], 0 offset:176
	buffer_load_dword v71, off, s[0:3], 0 offset:180
	v_cmp_lt_u32_e64 s[4:5], 22, v0
	s_waitcnt vmcnt(0)
	ds_write_b64 v72, v[70:71]
	s_waitcnt lgkmcnt(0)
	; wave barrier
	s_waitcnt lgkmcnt(0)
	s_and_saveexec_b64 s[10:11], s[4:5]
	s_cbranch_execz .LBB97_106
; %bb.97:
	s_andn2_b64 vcc, exec, s[8:9]
	s_cbranch_vccnz .LBB97_99
; %bb.98:
	buffer_load_dword v70, v73, s[0:3], 0 offen
	buffer_load_dword v71, v73, s[0:3], 0 offen offset:4
	ds_read_b64 v[98:99], v72
	s_waitcnt vmcnt(0) lgkmcnt(0)
	v_mul_f64 v[70:71], v[70:71], v[98:99]
	s_cbranch_execz .LBB97_100
	s_branch .LBB97_101
.LBB97_99:
                                        ; implicit-def: $vgpr70_vgpr71
.LBB97_100:
	ds_read_b64 v[70:71], v72
.LBB97_101:
	s_and_saveexec_b64 s[12:13], s[6:7]
	s_cbranch_execz .LBB97_105
; %bb.102:
	v_subrev_u32_e32 v97, 23, v0
	s_movk_i32 s14, 0x1c8
	s_mov_b64 s[6:7], 0
.LBB97_103:                             ; =>This Inner Loop Header: Depth=1
	buffer_load_dword v98, v96, s[0:3], 0 offen
	buffer_load_dword v99, v96, s[0:3], 0 offen offset:4
	v_mov_b32_e32 v100, s14
	ds_read_b64 v[100:101], v100
	v_add_u32_e32 v97, -1, v97
	s_add_i32 s14, s14, 8
	v_cmp_eq_u32_e32 vcc, 0, v97
	v_add_u32_e32 v96, 8, v96
	s_or_b64 s[6:7], vcc, s[6:7]
	s_waitcnt vmcnt(0) lgkmcnt(0)
	v_fmac_f64_e32 v[70:71], v[98:99], v[100:101]
	s_andn2_b64 exec, exec, s[6:7]
	s_cbranch_execnz .LBB97_103
; %bb.104:
	s_or_b64 exec, exec, s[6:7]
.LBB97_105:
	s_or_b64 exec, exec, s[12:13]
	v_mov_b32_e32 v96, 0
	ds_read_b64 v[96:97], v96 offset:176
	s_waitcnt lgkmcnt(0)
	v_mul_f64 v[70:71], v[70:71], v[96:97]
	buffer_store_dword v71, off, s[0:3], 0 offset:180
	buffer_store_dword v70, off, s[0:3], 0 offset:176
.LBB97_106:
	s_or_b64 exec, exec, s[10:11]
	buffer_load_dword v70, off, s[0:3], 0 offset:168
	buffer_load_dword v71, off, s[0:3], 0 offset:172
	v_cmp_lt_u32_e64 s[6:7], 21, v0
	s_waitcnt vmcnt(0)
	ds_write_b64 v72, v[70:71]
	s_waitcnt lgkmcnt(0)
	; wave barrier
	s_waitcnt lgkmcnt(0)
	s_and_saveexec_b64 s[10:11], s[6:7]
	s_cbranch_execz .LBB97_116
; %bb.107:
	s_andn2_b64 vcc, exec, s[8:9]
	s_cbranch_vccnz .LBB97_109
; %bb.108:
	buffer_load_dword v70, v73, s[0:3], 0 offen
	buffer_load_dword v71, v73, s[0:3], 0 offen offset:4
	ds_read_b64 v[96:97], v72
	s_waitcnt vmcnt(0) lgkmcnt(0)
	v_mul_f64 v[70:71], v[70:71], v[96:97]
	s_cbranch_execz .LBB97_110
	s_branch .LBB97_111
.LBB97_109:
                                        ; implicit-def: $vgpr70_vgpr71
.LBB97_110:
	ds_read_b64 v[70:71], v72
.LBB97_111:
	s_and_saveexec_b64 s[12:13], s[4:5]
	s_cbranch_execz .LBB97_115
; %bb.112:
	v_subrev_u32_e32 v96, 22, v0
	s_movk_i32 s14, 0x1c0
	s_mov_b64 s[4:5], 0
.LBB97_113:                             ; =>This Inner Loop Header: Depth=1
	buffer_load_dword v98, v95, s[0:3], 0 offen
	buffer_load_dword v99, v95, s[0:3], 0 offen offset:4
	v_mov_b32_e32 v97, s14
	ds_read_b64 v[100:101], v97
	v_add_u32_e32 v96, -1, v96
	s_add_i32 s14, s14, 8
	v_cmp_eq_u32_e32 vcc, 0, v96
	v_add_u32_e32 v95, 8, v95
	s_or_b64 s[4:5], vcc, s[4:5]
	s_waitcnt vmcnt(0) lgkmcnt(0)
	v_fmac_f64_e32 v[70:71], v[98:99], v[100:101]
	s_andn2_b64 exec, exec, s[4:5]
	s_cbranch_execnz .LBB97_113
; %bb.114:
	s_or_b64 exec, exec, s[4:5]
.LBB97_115:
	s_or_b64 exec, exec, s[12:13]
	v_mov_b32_e32 v95, 0
	ds_read_b64 v[96:97], v95 offset:168
	s_waitcnt lgkmcnt(0)
	v_mul_f64 v[70:71], v[70:71], v[96:97]
	buffer_store_dword v71, off, s[0:3], 0 offset:172
	buffer_store_dword v70, off, s[0:3], 0 offset:168
.LBB97_116:
	;; [unrolled: 58-line block ×7, first 2 shown]
	s_or_b64 exec, exec, s[10:11]
	buffer_load_dword v70, off, s[0:3], 0 offset:120
	buffer_load_dword v71, off, s[0:3], 0 offset:124
	v_cmp_lt_u32_e64 s[6:7], 15, v0
	s_waitcnt vmcnt(0)
	ds_write_b64 v72, v[70:71]
	s_waitcnt lgkmcnt(0)
	; wave barrier
	s_waitcnt lgkmcnt(0)
	s_and_saveexec_b64 s[10:11], s[6:7]
	s_cbranch_execz .LBB97_176
; %bb.167:
	s_andn2_b64 vcc, exec, s[8:9]
	s_cbranch_vccnz .LBB97_169
; %bb.168:
	buffer_load_dword v70, v73, s[0:3], 0 offen
	buffer_load_dword v71, v73, s[0:3], 0 offen offset:4
	ds_read_b64 v[90:91], v72
	s_waitcnt vmcnt(0) lgkmcnt(0)
	v_mul_f64 v[70:71], v[70:71], v[90:91]
	s_cbranch_execz .LBB97_170
	s_branch .LBB97_171
.LBB97_169:
                                        ; implicit-def: $vgpr70_vgpr71
.LBB97_170:
	ds_read_b64 v[70:71], v72
.LBB97_171:
	s_and_saveexec_b64 s[12:13], s[4:5]
	s_cbranch_execz .LBB97_175
; %bb.172:
	v_add_u32_e32 v90, -16, v0
	s_movk_i32 s14, 0x190
	s_mov_b64 s[4:5], 0
.LBB97_173:                             ; =>This Inner Loop Header: Depth=1
	buffer_load_dword v92, v89, s[0:3], 0 offen
	buffer_load_dword v93, v89, s[0:3], 0 offen offset:4
	v_mov_b32_e32 v91, s14
	ds_read_b64 v[94:95], v91
	v_add_u32_e32 v90, -1, v90
	s_add_i32 s14, s14, 8
	v_cmp_eq_u32_e32 vcc, 0, v90
	v_add_u32_e32 v89, 8, v89
	s_or_b64 s[4:5], vcc, s[4:5]
	s_waitcnt vmcnt(0) lgkmcnt(0)
	v_fmac_f64_e32 v[70:71], v[92:93], v[94:95]
	s_andn2_b64 exec, exec, s[4:5]
	s_cbranch_execnz .LBB97_173
; %bb.174:
	s_or_b64 exec, exec, s[4:5]
.LBB97_175:
	s_or_b64 exec, exec, s[12:13]
	v_mov_b32_e32 v89, 0
	ds_read_b64 v[90:91], v89 offset:120
	s_waitcnt lgkmcnt(0)
	v_mul_f64 v[70:71], v[70:71], v[90:91]
	buffer_store_dword v71, off, s[0:3], 0 offset:124
	buffer_store_dword v70, off, s[0:3], 0 offset:120
.LBB97_176:
	s_or_b64 exec, exec, s[10:11]
	buffer_load_dword v70, off, s[0:3], 0 offset:112
	buffer_load_dword v71, off, s[0:3], 0 offset:116
	v_cmp_lt_u32_e64 s[4:5], 14, v0
	s_waitcnt vmcnt(0)
	ds_write_b64 v72, v[70:71]
	s_waitcnt lgkmcnt(0)
	; wave barrier
	s_waitcnt lgkmcnt(0)
	s_and_saveexec_b64 s[10:11], s[4:5]
	s_cbranch_execz .LBB97_186
; %bb.177:
	s_andn2_b64 vcc, exec, s[8:9]
	s_cbranch_vccnz .LBB97_179
; %bb.178:
	buffer_load_dword v70, v73, s[0:3], 0 offen
	buffer_load_dword v71, v73, s[0:3], 0 offen offset:4
	ds_read_b64 v[90:91], v72
	s_waitcnt vmcnt(0) lgkmcnt(0)
	v_mul_f64 v[70:71], v[70:71], v[90:91]
	s_cbranch_execz .LBB97_180
	s_branch .LBB97_181
.LBB97_179:
                                        ; implicit-def: $vgpr70_vgpr71
.LBB97_180:
	ds_read_b64 v[70:71], v72
.LBB97_181:
	s_and_saveexec_b64 s[12:13], s[6:7]
	s_cbranch_execz .LBB97_185
; %bb.182:
	v_add_u32_e32 v89, -15, v0
	s_movk_i32 s14, 0x188
	s_mov_b64 s[6:7], 0
.LBB97_183:                             ; =>This Inner Loop Header: Depth=1
	buffer_load_dword v90, v88, s[0:3], 0 offen
	buffer_load_dword v91, v88, s[0:3], 0 offen offset:4
	v_mov_b32_e32 v92, s14
	ds_read_b64 v[92:93], v92
	v_add_u32_e32 v89, -1, v89
	s_add_i32 s14, s14, 8
	v_cmp_eq_u32_e32 vcc, 0, v89
	v_add_u32_e32 v88, 8, v88
	s_or_b64 s[6:7], vcc, s[6:7]
	s_waitcnt vmcnt(0) lgkmcnt(0)
	v_fmac_f64_e32 v[70:71], v[90:91], v[92:93]
	s_andn2_b64 exec, exec, s[6:7]
	s_cbranch_execnz .LBB97_183
; %bb.184:
	s_or_b64 exec, exec, s[6:7]
.LBB97_185:
	s_or_b64 exec, exec, s[12:13]
	v_mov_b32_e32 v88, 0
	ds_read_b64 v[88:89], v88 offset:112
	s_waitcnt lgkmcnt(0)
	v_mul_f64 v[70:71], v[70:71], v[88:89]
	buffer_store_dword v71, off, s[0:3], 0 offset:116
	buffer_store_dword v70, off, s[0:3], 0 offset:112
.LBB97_186:
	;; [unrolled: 58-line block ×15, first 2 shown]
	s_or_b64 exec, exec, s[10:11]
	buffer_load_dword v70, off, s[0:3], 0
	buffer_load_dword v71, off, s[0:3], 0 offset:4
	v_cmp_ne_u32_e32 vcc, 0, v0
	s_waitcnt vmcnt(0)
	ds_write_b64 v72, v[70:71]
	s_waitcnt lgkmcnt(0)
	; wave barrier
	s_waitcnt lgkmcnt(0)
	s_and_saveexec_b64 s[4:5], vcc
	s_cbranch_execz .LBB97_326
; %bb.317:
	s_andn2_b64 vcc, exec, s[8:9]
	s_cbranch_vccnz .LBB97_319
; %bb.318:
	buffer_load_dword v70, v73, s[0:3], 0 offen
	buffer_load_dword v71, v73, s[0:3], 0 offen offset:4
	ds_read_b64 v[76:77], v72
	s_waitcnt vmcnt(0) lgkmcnt(0)
	v_mul_f64 v[70:71], v[70:71], v[76:77]
	s_cbranch_execz .LBB97_320
	s_branch .LBB97_321
.LBB97_319:
                                        ; implicit-def: $vgpr70_vgpr71
.LBB97_320:
	ds_read_b64 v[70:71], v72
.LBB97_321:
	s_and_saveexec_b64 s[10:11], s[6:7]
	s_cbranch_execz .LBB97_325
; %bb.322:
	v_add_u32_e32 v75, -1, v0
	s_movk_i32 s12, 0x118
	s_mov_b64 s[6:7], 0
.LBB97_323:                             ; =>This Inner Loop Header: Depth=1
	buffer_load_dword v76, v74, s[0:3], 0 offen
	buffer_load_dword v77, v74, s[0:3], 0 offen offset:4
	v_mov_b32_e32 v78, s12
	ds_read_b64 v[78:79], v78
	v_add_u32_e32 v75, -1, v75
	s_add_i32 s12, s12, 8
	v_cmp_eq_u32_e32 vcc, 0, v75
	v_add_u32_e32 v74, 8, v74
	s_or_b64 s[6:7], vcc, s[6:7]
	s_waitcnt vmcnt(0) lgkmcnt(0)
	v_fmac_f64_e32 v[70:71], v[76:77], v[78:79]
	s_andn2_b64 exec, exec, s[6:7]
	s_cbranch_execnz .LBB97_323
; %bb.324:
	s_or_b64 exec, exec, s[6:7]
.LBB97_325:
	s_or_b64 exec, exec, s[10:11]
	v_mov_b32_e32 v74, 0
	ds_read_b64 v[74:75], v74
	s_waitcnt lgkmcnt(0)
	v_mul_f64 v[70:71], v[70:71], v[74:75]
	buffer_store_dword v71, off, s[0:3], 0 offset:4
	buffer_store_dword v70, off, s[0:3], 0
.LBB97_326:
	s_or_b64 exec, exec, s[4:5]
	s_mov_b64 s[4:5], 0
.LBB97_327:
	s_and_b64 vcc, exec, s[4:5]
	s_cbranch_vccz .LBB97_651
; %bb.328:
	buffer_load_dword v70, off, s[0:3], 0 offset:8
	buffer_load_dword v71, off, s[0:3], 0 offset:12
	v_cmp_eq_u32_e64 s[6:7], 0, v0
	s_waitcnt vmcnt(0)
	ds_write_b64 v72, v[70:71]
	s_waitcnt lgkmcnt(0)
	; wave barrier
	s_waitcnt lgkmcnt(0)
	s_and_saveexec_b64 s[4:5], s[6:7]
	s_cbranch_execz .LBB97_334
; %bb.329:
	s_and_b64 vcc, exec, s[8:9]
	s_cbranch_vccz .LBB97_331
; %bb.330:
	buffer_load_dword v70, v73, s[0:3], 0 offen
	buffer_load_dword v71, v73, s[0:3], 0 offen offset:4
	ds_read_b64 v[74:75], v72
	s_waitcnt vmcnt(0) lgkmcnt(0)
	v_mul_f64 v[70:71], v[70:71], v[74:75]
	s_cbranch_execz .LBB97_332
	s_branch .LBB97_333
.LBB97_331:
                                        ; implicit-def: $vgpr70_vgpr71
.LBB97_332:
	ds_read_b64 v[70:71], v72
.LBB97_333:
	v_mov_b32_e32 v74, 0
	ds_read_b64 v[74:75], v74 offset:8
	s_waitcnt lgkmcnt(0)
	v_mul_f64 v[70:71], v[70:71], v[74:75]
	buffer_store_dword v71, off, s[0:3], 0 offset:12
	buffer_store_dword v70, off, s[0:3], 0 offset:8
.LBB97_334:
	s_or_b64 exec, exec, s[4:5]
	buffer_load_dword v70, off, s[0:3], 0 offset:16
	buffer_load_dword v71, off, s[0:3], 0 offset:20
	v_cndmask_b32_e64 v74, 0, 1, s[8:9]
	v_cmp_gt_u32_e32 vcc, 2, v0
	v_cmp_ne_u32_e64 s[4:5], 1, v74
	s_waitcnt vmcnt(0)
	ds_write_b64 v72, v[70:71]
	s_waitcnt lgkmcnt(0)
	; wave barrier
	s_waitcnt lgkmcnt(0)
	s_and_saveexec_b64 s[8:9], vcc
	s_cbranch_execz .LBB97_342
; %bb.335:
	s_and_b64 vcc, exec, s[4:5]
	s_cbranch_vccnz .LBB97_337
; %bb.336:
	buffer_load_dword v70, v73, s[0:3], 0 offen
	buffer_load_dword v71, v73, s[0:3], 0 offen offset:4
	ds_read_b64 v[74:75], v72
	s_waitcnt vmcnt(0) lgkmcnt(0)
	v_mul_f64 v[70:71], v[70:71], v[74:75]
	s_cbranch_execz .LBB97_338
	s_branch .LBB97_339
.LBB97_337:
                                        ; implicit-def: $vgpr70_vgpr71
.LBB97_338:
	ds_read_b64 v[70:71], v72
.LBB97_339:
	s_and_saveexec_b64 s[10:11], s[6:7]
	s_cbranch_execz .LBB97_341
; %bb.340:
	buffer_load_dword v74, v73, s[0:3], 0 offen offset:8
	buffer_load_dword v75, v73, s[0:3], 0 offen offset:12
	ds_read_b64 v[76:77], v72 offset:8
	s_waitcnt vmcnt(0) lgkmcnt(0)
	v_fmac_f64_e32 v[70:71], v[74:75], v[76:77]
.LBB97_341:
	s_or_b64 exec, exec, s[10:11]
	v_mov_b32_e32 v74, 0
	ds_read_b64 v[74:75], v74 offset:16
	s_waitcnt lgkmcnt(0)
	v_mul_f64 v[70:71], v[70:71], v[74:75]
	buffer_store_dword v71, off, s[0:3], 0 offset:20
	buffer_store_dword v70, off, s[0:3], 0 offset:16
.LBB97_342:
	s_or_b64 exec, exec, s[8:9]
	buffer_load_dword v70, off, s[0:3], 0 offset:24
	buffer_load_dword v71, off, s[0:3], 0 offset:28
	v_cmp_gt_u32_e32 vcc, 3, v0
	s_waitcnt vmcnt(0)
	ds_write_b64 v72, v[70:71]
	s_waitcnt lgkmcnt(0)
	; wave barrier
	s_waitcnt lgkmcnt(0)
	s_and_saveexec_b64 s[8:9], vcc
	s_cbranch_execz .LBB97_350
; %bb.343:
	s_and_b64 vcc, exec, s[4:5]
	s_cbranch_vccnz .LBB97_345
; %bb.344:
	buffer_load_dword v70, v73, s[0:3], 0 offen
	buffer_load_dword v71, v73, s[0:3], 0 offen offset:4
	ds_read_b64 v[74:75], v72
	s_waitcnt vmcnt(0) lgkmcnt(0)
	v_mul_f64 v[70:71], v[70:71], v[74:75]
	s_cbranch_execz .LBB97_346
	s_branch .LBB97_347
.LBB97_345:
                                        ; implicit-def: $vgpr70_vgpr71
.LBB97_346:
	ds_read_b64 v[70:71], v72
.LBB97_347:
	v_cmp_ne_u32_e32 vcc, 2, v0
	s_and_saveexec_b64 s[10:11], vcc
	s_cbranch_execz .LBB97_349
; %bb.348:
	buffer_load_dword v75, v73, s[0:3], 0 offen offset:12
	buffer_load_dword v76, off, s[0:3], 0 offset:16
	buffer_load_dword v74, v73, s[0:3], 0 offen offset:8
	buffer_load_dword v77, off, s[0:3], 0 offset:20
	v_mov_b32_e32 v80, 0
	ds_read_b64 v[78:79], v72 offset:8
	ds_read_b64 v[80:81], v80 offset:288
	s_waitcnt vmcnt(1) lgkmcnt(1)
	v_fmac_f64_e32 v[70:71], v[74:75], v[78:79]
	s_waitcnt vmcnt(0) lgkmcnt(0)
	v_fma_f64 v[74:75], v[76:77], v[80:81], v[70:71]
	v_cndmask_b32_e64 v71, v71, v75, s[6:7]
	v_cndmask_b32_e64 v70, v70, v74, s[6:7]
.LBB97_349:
	s_or_b64 exec, exec, s[10:11]
	v_mov_b32_e32 v74, 0
	ds_read_b64 v[74:75], v74 offset:24
	s_waitcnt lgkmcnt(0)
	v_mul_f64 v[70:71], v[70:71], v[74:75]
	buffer_store_dword v71, off, s[0:3], 0 offset:28
	buffer_store_dword v70, off, s[0:3], 0 offset:24
.LBB97_350:
	s_or_b64 exec, exec, s[8:9]
	buffer_load_dword v70, off, s[0:3], 0 offset:32
	buffer_load_dword v71, off, s[0:3], 0 offset:36
	v_cmp_gt_u32_e32 vcc, 4, v0
	s_waitcnt vmcnt(0)
	ds_write_b64 v72, v[70:71]
	s_waitcnt lgkmcnt(0)
	; wave barrier
	s_waitcnt lgkmcnt(0)
	s_and_saveexec_b64 s[6:7], vcc
	s_cbranch_execz .LBB97_360
; %bb.351:
	s_and_b64 vcc, exec, s[4:5]
	s_cbranch_vccnz .LBB97_353
; %bb.352:
	buffer_load_dword v70, v73, s[0:3], 0 offen
	buffer_load_dword v71, v73, s[0:3], 0 offen offset:4
	ds_read_b64 v[74:75], v72
	s_waitcnt vmcnt(0) lgkmcnt(0)
	v_mul_f64 v[70:71], v[70:71], v[74:75]
	s_cbranch_execz .LBB97_354
	s_branch .LBB97_355
.LBB97_353:
                                        ; implicit-def: $vgpr70_vgpr71
.LBB97_354:
	ds_read_b64 v[70:71], v72
.LBB97_355:
	v_cmp_ne_u32_e32 vcc, 3, v0
	s_and_saveexec_b64 s[8:9], vcc
	s_cbranch_execz .LBB97_359
; %bb.356:
	v_mov_b32_e32 v75, 0
	v_add_u32_e32 v74, 0x118, v1
	v_add3_u32 v75, v1, v75, 8
	s_mov_b64 s[10:11], 0
	v_mov_b32_e32 v76, v0
.LBB97_357:                             ; =>This Inner Loop Header: Depth=1
	buffer_load_dword v78, v75, s[0:3], 0 offen
	buffer_load_dword v79, v75, s[0:3], 0 offen offset:4
	ds_read_b64 v[80:81], v74
	v_add_u32_e32 v76, 1, v76
	v_cmp_lt_u32_e32 vcc, 2, v76
	v_add_u32_e32 v74, 8, v74
	v_add_u32_e32 v75, 8, v75
	s_or_b64 s[10:11], vcc, s[10:11]
	s_waitcnt vmcnt(0) lgkmcnt(0)
	v_fmac_f64_e32 v[70:71], v[78:79], v[80:81]
	s_andn2_b64 exec, exec, s[10:11]
	s_cbranch_execnz .LBB97_357
; %bb.358:
	s_or_b64 exec, exec, s[10:11]
.LBB97_359:
	s_or_b64 exec, exec, s[8:9]
	v_mov_b32_e32 v74, 0
	ds_read_b64 v[74:75], v74 offset:32
	s_waitcnt lgkmcnt(0)
	v_mul_f64 v[70:71], v[70:71], v[74:75]
	buffer_store_dword v71, off, s[0:3], 0 offset:36
	buffer_store_dword v70, off, s[0:3], 0 offset:32
.LBB97_360:
	s_or_b64 exec, exec, s[6:7]
	buffer_load_dword v70, off, s[0:3], 0 offset:40
	buffer_load_dword v71, off, s[0:3], 0 offset:44
	v_cmp_gt_u32_e32 vcc, 5, v0
	s_waitcnt vmcnt(0)
	ds_write_b64 v72, v[70:71]
	s_waitcnt lgkmcnt(0)
	; wave barrier
	s_waitcnt lgkmcnt(0)
	s_and_saveexec_b64 s[6:7], vcc
	s_cbranch_execz .LBB97_370
; %bb.361:
	s_and_b64 vcc, exec, s[4:5]
	s_cbranch_vccnz .LBB97_363
; %bb.362:
	buffer_load_dword v70, v73, s[0:3], 0 offen
	buffer_load_dword v71, v73, s[0:3], 0 offen offset:4
	ds_read_b64 v[74:75], v72
	s_waitcnt vmcnt(0) lgkmcnt(0)
	v_mul_f64 v[70:71], v[70:71], v[74:75]
	s_cbranch_execz .LBB97_364
	s_branch .LBB97_365
.LBB97_363:
                                        ; implicit-def: $vgpr70_vgpr71
.LBB97_364:
	ds_read_b64 v[70:71], v72
.LBB97_365:
	v_cmp_ne_u32_e32 vcc, 4, v0
	s_and_saveexec_b64 s[8:9], vcc
	s_cbranch_execz .LBB97_369
; %bb.366:
	v_mov_b32_e32 v75, 0
	v_add_u32_e32 v74, 0x118, v1
	v_add3_u32 v75, v1, v75, 8
	s_mov_b64 s[10:11], 0
	v_mov_b32_e32 v76, v0
.LBB97_367:                             ; =>This Inner Loop Header: Depth=1
	buffer_load_dword v78, v75, s[0:3], 0 offen
	buffer_load_dword v79, v75, s[0:3], 0 offen offset:4
	ds_read_b64 v[80:81], v74
	v_add_u32_e32 v76, 1, v76
	v_cmp_lt_u32_e32 vcc, 3, v76
	v_add_u32_e32 v74, 8, v74
	v_add_u32_e32 v75, 8, v75
	s_or_b64 s[10:11], vcc, s[10:11]
	s_waitcnt vmcnt(0) lgkmcnt(0)
	v_fmac_f64_e32 v[70:71], v[78:79], v[80:81]
	s_andn2_b64 exec, exec, s[10:11]
	s_cbranch_execnz .LBB97_367
; %bb.368:
	s_or_b64 exec, exec, s[10:11]
.LBB97_369:
	s_or_b64 exec, exec, s[8:9]
	v_mov_b32_e32 v74, 0
	ds_read_b64 v[74:75], v74 offset:40
	s_waitcnt lgkmcnt(0)
	v_mul_f64 v[70:71], v[70:71], v[74:75]
	buffer_store_dword v71, off, s[0:3], 0 offset:44
	buffer_store_dword v70, off, s[0:3], 0 offset:40
.LBB97_370:
	;; [unrolled: 60-line block ×28, first 2 shown]
	s_or_b64 exec, exec, s[6:7]
	buffer_load_dword v70, off, s[0:3], 0 offset:256
	buffer_load_dword v71, off, s[0:3], 0 offset:260
	v_cmp_gt_u32_e64 s[6:7], 32, v0
	s_waitcnt vmcnt(0)
	ds_write_b64 v72, v[70:71]
	s_waitcnt lgkmcnt(0)
	; wave barrier
	s_waitcnt lgkmcnt(0)
	s_and_saveexec_b64 s[8:9], s[6:7]
	s_cbranch_execz .LBB97_640
; %bb.631:
	s_and_b64 vcc, exec, s[4:5]
	s_cbranch_vccnz .LBB97_633
; %bb.632:
	buffer_load_dword v70, v73, s[0:3], 0 offen
	buffer_load_dword v71, v73, s[0:3], 0 offen offset:4
	ds_read_b64 v[74:75], v72
	s_waitcnt vmcnt(0) lgkmcnt(0)
	v_mul_f64 v[70:71], v[70:71], v[74:75]
	s_cbranch_execz .LBB97_634
	s_branch .LBB97_635
.LBB97_633:
                                        ; implicit-def: $vgpr70_vgpr71
.LBB97_634:
	ds_read_b64 v[70:71], v72
.LBB97_635:
	v_cmp_ne_u32_e32 vcc, 31, v0
	s_and_saveexec_b64 s[10:11], vcc
	s_cbranch_execz .LBB97_639
; %bb.636:
	v_mov_b32_e32 v75, 0
	v_add_u32_e32 v74, 0x118, v1
	v_add3_u32 v75, v1, v75, 8
	s_mov_b64 s[12:13], 0
	v_mov_b32_e32 v76, v0
.LBB97_637:                             ; =>This Inner Loop Header: Depth=1
	buffer_load_dword v78, v75, s[0:3], 0 offen
	buffer_load_dword v79, v75, s[0:3], 0 offen offset:4
	ds_read_b64 v[80:81], v74
	v_add_u32_e32 v76, 1, v76
	v_cmp_lt_u32_e32 vcc, 30, v76
	v_add_u32_e32 v74, 8, v74
	v_add_u32_e32 v75, 8, v75
	s_or_b64 s[12:13], vcc, s[12:13]
	s_waitcnt vmcnt(0) lgkmcnt(0)
	v_fmac_f64_e32 v[70:71], v[78:79], v[80:81]
	s_andn2_b64 exec, exec, s[12:13]
	s_cbranch_execnz .LBB97_637
; %bb.638:
	s_or_b64 exec, exec, s[12:13]
.LBB97_639:
	s_or_b64 exec, exec, s[10:11]
	v_mov_b32_e32 v74, 0
	ds_read_b64 v[74:75], v74 offset:256
	s_waitcnt lgkmcnt(0)
	v_mul_f64 v[70:71], v[70:71], v[74:75]
	buffer_store_dword v71, off, s[0:3], 0 offset:260
	buffer_store_dword v70, off, s[0:3], 0 offset:256
.LBB97_640:
	s_or_b64 exec, exec, s[8:9]
	buffer_load_dword v70, off, s[0:3], 0 offset:264
	buffer_load_dword v71, off, s[0:3], 0 offset:268
	v_cmp_ne_u32_e32 vcc, 33, v0
	s_waitcnt vmcnt(0)
	ds_write_b64 v72, v[70:71]
	s_waitcnt lgkmcnt(0)
	; wave barrier
	s_waitcnt lgkmcnt(0)
	s_and_saveexec_b64 s[8:9], vcc
	s_cbranch_execz .LBB97_650
; %bb.641:
	s_and_b64 vcc, exec, s[4:5]
	s_cbranch_vccnz .LBB97_643
; %bb.642:
	buffer_load_dword v70, v73, s[0:3], 0 offen
	buffer_load_dword v71, v73, s[0:3], 0 offen offset:4
	ds_read_b64 v[74:75], v72
	s_waitcnt vmcnt(0) lgkmcnt(0)
	v_mul_f64 v[70:71], v[70:71], v[74:75]
	s_cbranch_execz .LBB97_644
	s_branch .LBB97_645
.LBB97_643:
                                        ; implicit-def: $vgpr70_vgpr71
.LBB97_644:
	ds_read_b64 v[70:71], v72
.LBB97_645:
	s_and_saveexec_b64 s[4:5], s[6:7]
	s_cbranch_execz .LBB97_649
; %bb.646:
	v_mov_b32_e32 v73, 0
	v_add_u32_e32 v72, 0x118, v1
	v_add3_u32 v1, v1, v73, 8
	s_mov_b64 s[6:7], 0
.LBB97_647:                             ; =>This Inner Loop Header: Depth=1
	buffer_load_dword v74, v1, s[0:3], 0 offen
	buffer_load_dword v75, v1, s[0:3], 0 offen offset:4
	ds_read_b64 v[76:77], v72
	v_add_u32_e32 v0, 1, v0
	v_cmp_lt_u32_e32 vcc, 31, v0
	v_add_u32_e32 v72, 8, v72
	v_add_u32_e32 v1, 8, v1
	s_or_b64 s[6:7], vcc, s[6:7]
	s_waitcnt vmcnt(0) lgkmcnt(0)
	v_fmac_f64_e32 v[70:71], v[74:75], v[76:77]
	s_andn2_b64 exec, exec, s[6:7]
	s_cbranch_execnz .LBB97_647
; %bb.648:
	s_or_b64 exec, exec, s[6:7]
.LBB97_649:
	s_or_b64 exec, exec, s[4:5]
	v_mov_b32_e32 v0, 0
	ds_read_b64 v[0:1], v0 offset:264
	s_waitcnt lgkmcnt(0)
	v_mul_f64 v[0:1], v[70:71], v[0:1]
	buffer_store_dword v1, off, s[0:3], 0 offset:268
	buffer_store_dword v0, off, s[0:3], 0 offset:264
.LBB97_650:
	s_or_b64 exec, exec, s[8:9]
.LBB97_651:
	buffer_load_dword v0, off, s[0:3], 0
	buffer_load_dword v1, off, s[0:3], 0 offset:4
	buffer_load_dword v70, off, s[0:3], 0 offset:8
	;; [unrolled: 1-line block ×15, first 2 shown]
	s_waitcnt vmcnt(14)
	global_store_dwordx2 v[66:67], v[0:1], off
	s_waitcnt vmcnt(13)
	global_store_dwordx2 v[68:69], v[70:71], off
	;; [unrolled: 2-line block ×8, first 2 shown]
	buffer_load_dword v1, off, s[0:3], 0 offset:68
	buffer_load_dword v0, off, s[0:3], 0 offset:64
	s_waitcnt vmcnt(0)
	global_store_dwordx2 v[20:21], v[0:1], off
	buffer_load_dword v0, off, s[0:3], 0 offset:72
	s_nop 0
	buffer_load_dword v1, off, s[0:3], 0 offset:76
	s_waitcnt vmcnt(0)
	global_store_dwordx2 v[12:13], v[0:1], off
	buffer_load_dword v0, off, s[0:3], 0 offset:80
	s_nop 0
	;; [unrolled: 5-line block ×25, first 2 shown]
	buffer_load_dword v1, off, s[0:3], 0 offset:268
	s_waitcnt vmcnt(0)
	global_store_dwordx2 v[54:55], v[0:1], off
.LBB97_652:
	s_endpgm
	.section	.rodata,"a",@progbits
	.p2align	6, 0x0
	.amdhsa_kernel _ZN9rocsolver6v33100L18trti2_kernel_smallILi34EdPKPdEEv13rocblas_fill_17rocblas_diagonal_T1_iil
		.amdhsa_group_segment_fixed_size 544
		.amdhsa_private_segment_fixed_size 288
		.amdhsa_kernarg_size 32
		.amdhsa_user_sgpr_count 8
		.amdhsa_user_sgpr_private_segment_buffer 1
		.amdhsa_user_sgpr_dispatch_ptr 0
		.amdhsa_user_sgpr_queue_ptr 0
		.amdhsa_user_sgpr_kernarg_segment_ptr 1
		.amdhsa_user_sgpr_dispatch_id 0
		.amdhsa_user_sgpr_flat_scratch_init 1
		.amdhsa_user_sgpr_kernarg_preload_length 0
		.amdhsa_user_sgpr_kernarg_preload_offset 0
		.amdhsa_user_sgpr_private_segment_size 0
		.amdhsa_uses_dynamic_stack 0
		.amdhsa_system_sgpr_private_segment_wavefront_offset 1
		.amdhsa_system_sgpr_workgroup_id_x 1
		.amdhsa_system_sgpr_workgroup_id_y 0
		.amdhsa_system_sgpr_workgroup_id_z 0
		.amdhsa_system_sgpr_workgroup_info 0
		.amdhsa_system_vgpr_workitem_id 0
		.amdhsa_next_free_vgpr 124
		.amdhsa_next_free_sgpr 16
		.amdhsa_accum_offset 124
		.amdhsa_reserve_vcc 1
		.amdhsa_reserve_flat_scratch 0
		.amdhsa_float_round_mode_32 0
		.amdhsa_float_round_mode_16_64 0
		.amdhsa_float_denorm_mode_32 3
		.amdhsa_float_denorm_mode_16_64 3
		.amdhsa_dx10_clamp 1
		.amdhsa_ieee_mode 1
		.amdhsa_fp16_overflow 0
		.amdhsa_tg_split 0
		.amdhsa_exception_fp_ieee_invalid_op 0
		.amdhsa_exception_fp_denorm_src 0
		.amdhsa_exception_fp_ieee_div_zero 0
		.amdhsa_exception_fp_ieee_overflow 0
		.amdhsa_exception_fp_ieee_underflow 0
		.amdhsa_exception_fp_ieee_inexact 0
		.amdhsa_exception_int_div_zero 0
	.end_amdhsa_kernel
	.section	.text._ZN9rocsolver6v33100L18trti2_kernel_smallILi34EdPKPdEEv13rocblas_fill_17rocblas_diagonal_T1_iil,"axG",@progbits,_ZN9rocsolver6v33100L18trti2_kernel_smallILi34EdPKPdEEv13rocblas_fill_17rocblas_diagonal_T1_iil,comdat
.Lfunc_end97:
	.size	_ZN9rocsolver6v33100L18trti2_kernel_smallILi34EdPKPdEEv13rocblas_fill_17rocblas_diagonal_T1_iil, .Lfunc_end97-_ZN9rocsolver6v33100L18trti2_kernel_smallILi34EdPKPdEEv13rocblas_fill_17rocblas_diagonal_T1_iil
                                        ; -- End function
	.section	.AMDGPU.csdata,"",@progbits
; Kernel info:
; codeLenInByte = 19788
; NumSgprs: 20
; NumVgprs: 124
; NumAgprs: 0
; TotalNumVgprs: 124
; ScratchSize: 288
; MemoryBound: 0
; FloatMode: 240
; IeeeMode: 1
; LDSByteSize: 544 bytes/workgroup (compile time only)
; SGPRBlocks: 2
; VGPRBlocks: 15
; NumSGPRsForWavesPerEU: 20
; NumVGPRsForWavesPerEU: 124
; AccumOffset: 124
; Occupancy: 4
; WaveLimiterHint : 1
; COMPUTE_PGM_RSRC2:SCRATCH_EN: 1
; COMPUTE_PGM_RSRC2:USER_SGPR: 8
; COMPUTE_PGM_RSRC2:TRAP_HANDLER: 0
; COMPUTE_PGM_RSRC2:TGID_X_EN: 1
; COMPUTE_PGM_RSRC2:TGID_Y_EN: 0
; COMPUTE_PGM_RSRC2:TGID_Z_EN: 0
; COMPUTE_PGM_RSRC2:TIDIG_COMP_CNT: 0
; COMPUTE_PGM_RSRC3_GFX90A:ACCUM_OFFSET: 30
; COMPUTE_PGM_RSRC3_GFX90A:TG_SPLIT: 0
	.section	.text._ZN9rocsolver6v33100L18trti2_kernel_smallILi35EdPKPdEEv13rocblas_fill_17rocblas_diagonal_T1_iil,"axG",@progbits,_ZN9rocsolver6v33100L18trti2_kernel_smallILi35EdPKPdEEv13rocblas_fill_17rocblas_diagonal_T1_iil,comdat
	.globl	_ZN9rocsolver6v33100L18trti2_kernel_smallILi35EdPKPdEEv13rocblas_fill_17rocblas_diagonal_T1_iil ; -- Begin function _ZN9rocsolver6v33100L18trti2_kernel_smallILi35EdPKPdEEv13rocblas_fill_17rocblas_diagonal_T1_iil
	.p2align	8
	.type	_ZN9rocsolver6v33100L18trti2_kernel_smallILi35EdPKPdEEv13rocblas_fill_17rocblas_diagonal_T1_iil,@function
_ZN9rocsolver6v33100L18trti2_kernel_smallILi35EdPKPdEEv13rocblas_fill_17rocblas_diagonal_T1_iil: ; @_ZN9rocsolver6v33100L18trti2_kernel_smallILi35EdPKPdEEv13rocblas_fill_17rocblas_diagonal_T1_iil
; %bb.0:
	s_add_u32 s0, s0, s9
	s_addc_u32 s1, s1, 0
	v_cmp_gt_u32_e32 vcc, 35, v0
	s_and_saveexec_b64 s[6:7], vcc
	s_cbranch_execz .LBB98_672
; %bb.1:
	s_load_dwordx2 s[6:7], s[4:5], 0x10
	s_load_dwordx4 s[12:15], s[4:5], 0x0
	s_ashr_i32 s9, s8, 31
	s_lshl_b64 s[4:5], s[8:9], 3
	s_waitcnt lgkmcnt(0)
	s_ashr_i32 s9, s6, 31
	s_add_u32 s4, s14, s4
	s_addc_u32 s5, s15, s5
	s_load_dwordx2 s[4:5], s[4:5], 0x0
	s_mov_b32 s8, s6
	s_lshl_b64 s[8:9], s[8:9], 3
	s_waitcnt lgkmcnt(0)
	s_add_u32 s4, s4, s8
	s_addc_u32 s5, s5, s9
	s_add_i32 s6, s7, s7
	v_add_u32_e32 v4, s6, v0
	v_ashrrev_i32_e32 v5, 31, v4
	v_lshlrev_b64 v[2:3], 3, v[4:5]
	v_add_u32_e32 v6, s7, v4
	v_mov_b32_e32 v1, s5
	v_add_co_u32_e32 v2, vcc, s4, v2
	v_ashrrev_i32_e32 v7, 31, v6
	v_addc_co_u32_e32 v3, vcc, v1, v3, vcc
	v_lshlrev_b64 v[4:5], 3, v[6:7]
	v_add_u32_e32 v8, s7, v6
	v_add_co_u32_e32 v4, vcc, s4, v4
	v_ashrrev_i32_e32 v9, 31, v8
	v_addc_co_u32_e32 v5, vcc, v1, v5, vcc
	v_lshlrev_b64 v[6:7], 3, v[8:9]
	v_add_u32_e32 v10, s7, v8
	;; [unrolled: 5-line block ×5, first 2 shown]
	v_add_co_u32_e32 v14, vcc, s4, v14
	v_ashrrev_i32_e32 v13, 31, v12
	v_addc_co_u32_e32 v15, vcc, v1, v15, vcc
	v_lshlrev_b64 v[16:17], 3, v[12:13]
	v_add_co_u32_e32 v20, vcc, s4, v16
	v_add_u32_e32 v16, s7, v12
	v_addc_co_u32_e32 v21, vcc, v1, v17, vcc
	v_ashrrev_i32_e32 v17, 31, v16
	v_lshlrev_b64 v[12:13], 3, v[16:17]
	v_add_u32_e32 v18, s7, v16
	v_add_co_u32_e32 v12, vcc, s4, v12
	v_ashrrev_i32_e32 v19, 31, v18
	v_addc_co_u32_e32 v13, vcc, v1, v13, vcc
	v_lshlrev_b64 v[16:17], 3, v[18:19]
	v_add_u32_e32 v22, s7, v18
	v_add_co_u32_e32 v16, vcc, s4, v16
	v_ashrrev_i32_e32 v23, 31, v22
	v_addc_co_u32_e32 v17, vcc, v1, v17, vcc
	;; [unrolled: 5-line block ×17, first 2 shown]
	v_lshlrev_b64 v[50:51], 3, v[52:53]
	v_add_co_u32_e32 v50, vcc, s4, v50
	v_addc_co_u32_e32 v51, vcc, v1, v51, vcc
	v_lshlrev_b32_e32 v1, 3, v0
	global_load_dwordx2 v[72:73], v1, s[4:5]
	v_mov_b32_e32 v56, s5
	v_add_co_u32_e32 v68, vcc, s4, v1
	s_ashr_i32 s9, s7, 31
	s_mov_b32 s8, s7
	v_addc_co_u32_e32 v69, vcc, 0, v56, vcc
	s_lshl_b64 s[8:9], s[8:9], 3
	v_mov_b32_e32 v56, s9
	v_add_co_u32_e32 v70, vcc, s8, v68
	v_addc_co_u32_e32 v71, vcc, v69, v56, vcc
	global_load_dwordx2 v[74:75], v[70:71], off
	global_load_dwordx2 v[76:77], v[2:3], off
	;; [unrolled: 1-line block ×8, first 2 shown]
	v_add_u32_e32 v52, s7, v52
	v_ashrrev_i32_e32 v53, 31, v52
	v_lshlrev_b64 v[54:55], 3, v[52:53]
	v_mov_b32_e32 v53, s5
	v_add_co_u32_e32 v54, vcc, s4, v54
	v_add_u32_e32 v52, s7, v52
	v_addc_co_u32_e32 v55, vcc, v53, v55, vcc
	v_ashrrev_i32_e32 v53, 31, v52
	v_lshlrev_b64 v[56:57], 3, v[52:53]
	v_mov_b32_e32 v53, s5
	v_add_co_u32_e32 v56, vcc, s4, v56
	v_add_u32_e32 v52, s7, v52
	v_addc_co_u32_e32 v57, vcc, v53, v57, vcc
	v_ashrrev_i32_e32 v53, 31, v52
	v_lshlrev_b64 v[58:59], 3, v[52:53]
	v_mov_b32_e32 v53, s5
	v_add_co_u32_e32 v58, vcc, s4, v58
	v_add_u32_e32 v52, s7, v52
	v_addc_co_u32_e32 v59, vcc, v53, v59, vcc
	v_ashrrev_i32_e32 v53, 31, v52
	v_lshlrev_b64 v[60:61], 3, v[52:53]
	v_add_u32_e32 v52, s7, v52
	v_mov_b32_e32 v62, s5
	v_add_co_u32_e32 v60, vcc, s4, v60
	v_ashrrev_i32_e32 v53, 31, v52
	v_addc_co_u32_e32 v61, vcc, v62, v61, vcc
	v_lshlrev_b64 v[62:63], 3, v[52:53]
	v_add_u32_e32 v52, s7, v52
	v_mov_b32_e32 v64, s5
	v_add_co_u32_e32 v62, vcc, s4, v62
	v_ashrrev_i32_e32 v53, 31, v52
	v_addc_co_u32_e32 v63, vcc, v64, v63, vcc
	;; [unrolled: 6-line block ×4, first 2 shown]
	v_lshlrev_b64 v[52:53], 3, v[52:53]
	v_mov_b32_e32 v100, s5
	v_add_co_u32_e32 v52, vcc, s4, v52
	global_load_dwordx2 v[90:91], v[12:13], off
	global_load_dwordx2 v[92:93], v[16:17], off
	;; [unrolled: 1-line block ×5, first 2 shown]
	v_addc_co_u32_e32 v53, vcc, v100, v53, vcc
	global_load_dwordx2 v[100:101], v[26:27], off
	global_load_dwordx2 v[102:103], v[52:53], off
	;; [unrolled: 1-line block ×12, first 2 shown]
	s_cmpk_lg_i32 s13, 0x84
	s_waitcnt vmcnt(25)
	buffer_store_dword v73, off, s[0:3], 0 offset:4
	buffer_store_dword v72, off, s[0:3], 0
	global_load_dwordx2 v[72:73], v[32:33], off
	s_cselect_b64 s[8:9], -1, 0
	s_waitcnt vmcnt(27)
	buffer_store_dword v75, off, s[0:3], 0 offset:12
	buffer_store_dword v74, off, s[0:3], 0 offset:8
	global_load_dwordx2 v[74:75], v[36:37], off
	s_cmpk_eq_i32 s13, 0x84
	s_waitcnt vmcnt(29)
	buffer_store_dword v77, off, s[0:3], 0 offset:20
	buffer_store_dword v76, off, s[0:3], 0 offset:16
	global_load_dwordx2 v[76:77], v[40:41], off
	s_waitcnt vmcnt(31)
	buffer_store_dword v79, off, s[0:3], 0 offset:28
	buffer_store_dword v78, off, s[0:3], 0 offset:24
	global_load_dwordx2 v[78:79], v[44:45], off
	s_waitcnt vmcnt(33)
	buffer_store_dword v81, off, s[0:3], 0 offset:36
	buffer_store_dword v80, off, s[0:3], 0 offset:32
	global_load_dwordx2 v[80:81], v[48:49], off
	s_waitcnt vmcnt(35)
	buffer_store_dword v83, off, s[0:3], 0 offset:44
	buffer_store_dword v82, off, s[0:3], 0 offset:40
	global_load_dwordx2 v[82:83], v[54:55], off
	s_waitcnt vmcnt(37)
	buffer_store_dword v85, off, s[0:3], 0 offset:52
	buffer_store_dword v84, off, s[0:3], 0 offset:48
	global_load_dwordx2 v[84:85], v[58:59], off
	s_waitcnt vmcnt(39)
	buffer_store_dword v87, off, s[0:3], 0 offset:60
	buffer_store_dword v86, off, s[0:3], 0 offset:56
	global_load_dwordx2 v[86:87], v[62:63], off
	s_waitcnt vmcnt(41)
	buffer_store_dword v89, off, s[0:3], 0 offset:68
	buffer_store_dword v88, off, s[0:3], 0 offset:64
	global_load_dwordx2 v[88:89], v[66:67], off
	s_waitcnt vmcnt(43)
	buffer_store_dword v90, off, s[0:3], 0 offset:72
	buffer_store_dword v91, off, s[0:3], 0 offset:76
	s_waitcnt vmcnt(44)
	buffer_store_dword v92, off, s[0:3], 0 offset:80
	buffer_store_dword v93, off, s[0:3], 0 offset:84
	;; [unrolled: 3-line block ×9, first 2 shown]
	buffer_store_dword v108, off, s[0:3], 0 offset:144
	buffer_store_dword v109, off, s[0:3], 0 offset:148
	s_waitcnt vmcnt(41)
	buffer_store_dword v75, off, s[0:3], 0 offset:156
	buffer_store_dword v74, off, s[0:3], 0 offset:152
	buffer_store_dword v111, off, s[0:3], 0 offset:164
	buffer_store_dword v110, off, s[0:3], 0 offset:160
	s_waitcnt vmcnt(42)
	buffer_store_dword v76, off, s[0:3], 0 offset:168
	buffer_store_dword v77, off, s[0:3], 0 offset:172
	;; [unrolled: 5-line block ×8, first 2 shown]
	buffer_store_dword v102, off, s[0:3], 0 offset:272
	buffer_store_dword v103, off, s[0:3], 0 offset:276
	v_mov_b32_e32 v72, 0
	v_mov_b32_e32 v107, 0
	;; [unrolled: 1-line block ×3, first 2 shown]
	s_cbranch_scc1 .LBB98_3
; %bb.2:
	v_lshl_add_u32 v82, v0, 3, v107
	buffer_load_dword v72, v82, s[0:3], 0 offen
	buffer_load_dword v73, v82, s[0:3], 0 offen offset:4
	s_waitcnt vmcnt(0)
	v_div_scale_f64 v[74:75], s[4:5], v[72:73], v[72:73], 1.0
	v_rcp_f64_e32 v[76:77], v[74:75]
	v_div_scale_f64 v[78:79], vcc, 1.0, v[72:73], 1.0
	v_fma_f64 v[80:81], -v[74:75], v[76:77], 1.0
	v_fmac_f64_e32 v[76:77], v[76:77], v[80:81]
	v_fma_f64 v[80:81], -v[74:75], v[76:77], 1.0
	v_fmac_f64_e32 v[76:77], v[76:77], v[80:81]
	v_mul_f64 v[80:81], v[78:79], v[76:77]
	v_fma_f64 v[74:75], -v[74:75], v[80:81], v[78:79]
	v_div_fmas_f64 v[74:75], v[74:75], v[76:77], v[80:81]
	v_div_fixup_f64 v[72:73], v[74:75], v[72:73], 1.0
	buffer_store_dword v72, v82, s[0:3], 0 offen
	buffer_store_dword v73, v82, s[0:3], 0 offen offset:4
	v_xor_b32_e32 v73, 0x80000000, v73
.LBB98_3:
	s_cmpk_eq_i32 s12, 0x79
	v_add_u32_e32 v74, 0x120, v1
	v_add_u32_e32 v75, 0, v1
	s_mov_b64 s[4:5], -1
	ds_write_b64 v1, v[72:73]
	s_cbranch_scc1 .LBB98_337
; %bb.4:
	buffer_load_dword v72, off, s[0:3], 0 offset:264
	buffer_load_dword v73, off, s[0:3], 0 offset:268
	v_cmp_eq_u32_e64 s[4:5], 34, v0
	s_waitcnt vmcnt(0)
	ds_write_b64 v74, v[72:73]
	s_waitcnt lgkmcnt(0)
	; wave barrier
	s_waitcnt lgkmcnt(0)
	s_and_saveexec_b64 s[6:7], s[4:5]
	s_cbranch_execz .LBB98_10
; %bb.5:
	s_and_b64 vcc, exec, s[8:9]
	s_cbranch_vccz .LBB98_7
; %bb.6:
	buffer_load_dword v72, v75, s[0:3], 0 offen
	buffer_load_dword v73, v75, s[0:3], 0 offen offset:4
	ds_read_b64 v[76:77], v74
	s_waitcnt vmcnt(0) lgkmcnt(0)
	v_mul_f64 v[72:73], v[72:73], v[76:77]
	s_cbranch_execz .LBB98_8
	s_branch .LBB98_9
.LBB98_7:
                                        ; implicit-def: $vgpr72_vgpr73
.LBB98_8:
	ds_read_b64 v[72:73], v74
.LBB98_9:
	v_mov_b32_e32 v76, 0
	ds_read_b64 v[76:77], v76 offset:264
	s_waitcnt lgkmcnt(0)
	v_mul_f64 v[72:73], v[72:73], v[76:77]
	buffer_store_dword v73, off, s[0:3], 0 offset:268
	buffer_store_dword v72, off, s[0:3], 0 offset:264
.LBB98_10:
	s_or_b64 exec, exec, s[6:7]
	buffer_load_dword v72, off, s[0:3], 0 offset:256
	buffer_load_dword v73, off, s[0:3], 0 offset:260
	v_or_b32_e32 v76, 8, v107
	v_add_u32_e32 v77, 16, v107
	v_add_u32_e32 v78, 24, v107
	;; [unrolled: 1-line block ×31, first 2 shown]
	v_cmp_lt_u32_e64 s[6:7], 32, v0
	s_waitcnt vmcnt(0)
	ds_write_b64 v74, v[72:73]
	s_waitcnt lgkmcnt(0)
	; wave barrier
	s_waitcnt lgkmcnt(0)
	s_and_saveexec_b64 s[10:11], s[6:7]
	s_cbranch_execz .LBB98_16
; %bb.11:
	s_andn2_b64 vcc, exec, s[8:9]
	s_cbranch_vccnz .LBB98_13
; %bb.12:
	buffer_load_dword v72, v75, s[0:3], 0 offen
	buffer_load_dword v73, v75, s[0:3], 0 offen offset:4
	ds_read_b64 v[108:109], v74
	s_waitcnt vmcnt(0) lgkmcnt(0)
	v_mul_f64 v[72:73], v[72:73], v[108:109]
	s_cbranch_execz .LBB98_14
	s_branch .LBB98_15
.LBB98_13:
                                        ; implicit-def: $vgpr72_vgpr73
.LBB98_14:
	ds_read_b64 v[72:73], v74
.LBB98_15:
	buffer_load_dword v112, off, s[0:3], 0 offset:264
	buffer_load_dword v113, off, s[0:3], 0 offset:268
	v_mov_b32_e32 v108, 0
	ds_read2_b64 v[108:111], v108 offset0:32 offset1:69
	s_waitcnt vmcnt(0) lgkmcnt(0)
	v_fma_f64 v[110:111], v[112:113], v[110:111], v[72:73]
	v_cndmask_b32_e64 v73, v73, v111, s[4:5]
	v_cndmask_b32_e64 v72, v72, v110, s[4:5]
	v_mul_f64 v[72:73], v[72:73], v[108:109]
	buffer_store_dword v73, off, s[0:3], 0 offset:260
	buffer_store_dword v72, off, s[0:3], 0 offset:256
.LBB98_16:
	s_or_b64 exec, exec, s[10:11]
	buffer_load_dword v72, off, s[0:3], 0 offset:248
	buffer_load_dword v73, off, s[0:3], 0 offset:252
	v_cmp_lt_u32_e64 s[4:5], 31, v0
	s_waitcnt vmcnt(0)
	ds_write_b64 v74, v[72:73]
	s_waitcnt lgkmcnt(0)
	; wave barrier
	s_waitcnt lgkmcnt(0)
	s_and_saveexec_b64 s[10:11], s[4:5]
	s_cbranch_execz .LBB98_26
; %bb.17:
	s_andn2_b64 vcc, exec, s[8:9]
	s_cbranch_vccnz .LBB98_19
; %bb.18:
	buffer_load_dword v72, v75, s[0:3], 0 offen
	buffer_load_dword v73, v75, s[0:3], 0 offen offset:4
	ds_read_b64 v[108:109], v74
	s_waitcnt vmcnt(0) lgkmcnt(0)
	v_mul_f64 v[72:73], v[72:73], v[108:109]
	s_cbranch_execz .LBB98_20
	s_branch .LBB98_21
.LBB98_19:
                                        ; implicit-def: $vgpr72_vgpr73
.LBB98_20:
	ds_read_b64 v[72:73], v74
.LBB98_21:
	s_and_saveexec_b64 s[12:13], s[6:7]
	s_cbranch_execz .LBB98_25
; %bb.22:
	v_subrev_u32_e32 v108, 32, v0
	s_movk_i32 s14, 0x220
	s_mov_b64 s[6:7], 0
.LBB98_23:                              ; =>This Inner Loop Header: Depth=1
	buffer_load_dword v110, v107, s[0:3], 0 offen
	buffer_load_dword v111, v107, s[0:3], 0 offen offset:4
	v_mov_b32_e32 v109, s14
	ds_read_b64 v[112:113], v109
	v_add_u32_e32 v108, -1, v108
	s_add_i32 s14, s14, 8
	v_cmp_eq_u32_e32 vcc, 0, v108
	v_add_u32_e32 v107, 8, v107
	s_or_b64 s[6:7], vcc, s[6:7]
	s_waitcnt vmcnt(0) lgkmcnt(0)
	v_fmac_f64_e32 v[72:73], v[110:111], v[112:113]
	s_andn2_b64 exec, exec, s[6:7]
	s_cbranch_execnz .LBB98_23
; %bb.24:
	s_or_b64 exec, exec, s[6:7]
.LBB98_25:
	s_or_b64 exec, exec, s[12:13]
	v_mov_b32_e32 v107, 0
	ds_read_b64 v[108:109], v107 offset:248
	s_waitcnt lgkmcnt(0)
	v_mul_f64 v[72:73], v[72:73], v[108:109]
	buffer_store_dword v73, off, s[0:3], 0 offset:252
	buffer_store_dword v72, off, s[0:3], 0 offset:248
.LBB98_26:
	s_or_b64 exec, exec, s[10:11]
	buffer_load_dword v72, off, s[0:3], 0 offset:240
	buffer_load_dword v73, off, s[0:3], 0 offset:244
	v_cmp_lt_u32_e64 s[6:7], 30, v0
	s_waitcnt vmcnt(0)
	ds_write_b64 v74, v[72:73]
	s_waitcnt lgkmcnt(0)
	; wave barrier
	s_waitcnt lgkmcnt(0)
	s_and_saveexec_b64 s[10:11], s[6:7]
	s_cbranch_execz .LBB98_36
; %bb.27:
	s_andn2_b64 vcc, exec, s[8:9]
	s_cbranch_vccnz .LBB98_29
; %bb.28:
	buffer_load_dword v72, v75, s[0:3], 0 offen
	buffer_load_dword v73, v75, s[0:3], 0 offen offset:4
	ds_read_b64 v[108:109], v74
	s_waitcnt vmcnt(0) lgkmcnt(0)
	v_mul_f64 v[72:73], v[72:73], v[108:109]
	s_cbranch_execz .LBB98_30
	s_branch .LBB98_31
.LBB98_29:
                                        ; implicit-def: $vgpr72_vgpr73
.LBB98_30:
	ds_read_b64 v[72:73], v74
.LBB98_31:
	s_and_saveexec_b64 s[12:13], s[4:5]
	s_cbranch_execz .LBB98_35
; %bb.32:
	v_subrev_u32_e32 v107, 31, v0
	s_movk_i32 s14, 0x218
	s_mov_b64 s[4:5], 0
.LBB98_33:                              ; =>This Inner Loop Header: Depth=1
	buffer_load_dword v108, v106, s[0:3], 0 offen
	buffer_load_dword v109, v106, s[0:3], 0 offen offset:4
	v_mov_b32_e32 v110, s14
	ds_read_b64 v[110:111], v110
	v_add_u32_e32 v107, -1, v107
	s_add_i32 s14, s14, 8
	v_cmp_eq_u32_e32 vcc, 0, v107
	v_add_u32_e32 v106, 8, v106
	s_or_b64 s[4:5], vcc, s[4:5]
	s_waitcnt vmcnt(0) lgkmcnt(0)
	v_fmac_f64_e32 v[72:73], v[108:109], v[110:111]
	s_andn2_b64 exec, exec, s[4:5]
	s_cbranch_execnz .LBB98_33
; %bb.34:
	s_or_b64 exec, exec, s[4:5]
.LBB98_35:
	s_or_b64 exec, exec, s[12:13]
	v_mov_b32_e32 v106, 0
	ds_read_b64 v[106:107], v106 offset:240
	s_waitcnt lgkmcnt(0)
	v_mul_f64 v[72:73], v[72:73], v[106:107]
	buffer_store_dword v73, off, s[0:3], 0 offset:244
	buffer_store_dword v72, off, s[0:3], 0 offset:240
.LBB98_36:
	;; [unrolled: 58-line block ×8, first 2 shown]
	s_or_b64 exec, exec, s[10:11]
	buffer_load_dword v72, off, s[0:3], 0 offset:184
	buffer_load_dword v73, off, s[0:3], 0 offset:188
	v_cmp_lt_u32_e64 s[4:5], 23, v0
	s_waitcnt vmcnt(0)
	ds_write_b64 v74, v[72:73]
	s_waitcnt lgkmcnt(0)
	; wave barrier
	s_waitcnt lgkmcnt(0)
	s_and_saveexec_b64 s[10:11], s[4:5]
	s_cbranch_execz .LBB98_106
; %bb.97:
	s_andn2_b64 vcc, exec, s[8:9]
	s_cbranch_vccnz .LBB98_99
; %bb.98:
	buffer_load_dword v72, v75, s[0:3], 0 offen
	buffer_load_dword v73, v75, s[0:3], 0 offen offset:4
	ds_read_b64 v[100:101], v74
	s_waitcnt vmcnt(0) lgkmcnt(0)
	v_mul_f64 v[72:73], v[72:73], v[100:101]
	s_cbranch_execz .LBB98_100
	s_branch .LBB98_101
.LBB98_99:
                                        ; implicit-def: $vgpr72_vgpr73
.LBB98_100:
	ds_read_b64 v[72:73], v74
.LBB98_101:
	s_and_saveexec_b64 s[12:13], s[6:7]
	s_cbranch_execz .LBB98_105
; %bb.102:
	v_subrev_u32_e32 v100, 24, v0
	s_movk_i32 s14, 0x1e0
	s_mov_b64 s[6:7], 0
.LBB98_103:                             ; =>This Inner Loop Header: Depth=1
	buffer_load_dword v102, v99, s[0:3], 0 offen
	buffer_load_dword v103, v99, s[0:3], 0 offen offset:4
	v_mov_b32_e32 v101, s14
	ds_read_b64 v[104:105], v101
	v_add_u32_e32 v100, -1, v100
	s_add_i32 s14, s14, 8
	v_cmp_eq_u32_e32 vcc, 0, v100
	v_add_u32_e32 v99, 8, v99
	s_or_b64 s[6:7], vcc, s[6:7]
	s_waitcnt vmcnt(0) lgkmcnt(0)
	v_fmac_f64_e32 v[72:73], v[102:103], v[104:105]
	s_andn2_b64 exec, exec, s[6:7]
	s_cbranch_execnz .LBB98_103
; %bb.104:
	s_or_b64 exec, exec, s[6:7]
.LBB98_105:
	s_or_b64 exec, exec, s[12:13]
	v_mov_b32_e32 v99, 0
	ds_read_b64 v[100:101], v99 offset:184
	s_waitcnt lgkmcnt(0)
	v_mul_f64 v[72:73], v[72:73], v[100:101]
	buffer_store_dword v73, off, s[0:3], 0 offset:188
	buffer_store_dword v72, off, s[0:3], 0 offset:184
.LBB98_106:
	s_or_b64 exec, exec, s[10:11]
	buffer_load_dword v72, off, s[0:3], 0 offset:176
	buffer_load_dword v73, off, s[0:3], 0 offset:180
	v_cmp_lt_u32_e64 s[6:7], 22, v0
	s_waitcnt vmcnt(0)
	ds_write_b64 v74, v[72:73]
	s_waitcnt lgkmcnt(0)
	; wave barrier
	s_waitcnt lgkmcnt(0)
	s_and_saveexec_b64 s[10:11], s[6:7]
	s_cbranch_execz .LBB98_116
; %bb.107:
	s_andn2_b64 vcc, exec, s[8:9]
	s_cbranch_vccnz .LBB98_109
; %bb.108:
	buffer_load_dword v72, v75, s[0:3], 0 offen
	buffer_load_dword v73, v75, s[0:3], 0 offen offset:4
	ds_read_b64 v[100:101], v74
	s_waitcnt vmcnt(0) lgkmcnt(0)
	v_mul_f64 v[72:73], v[72:73], v[100:101]
	s_cbranch_execz .LBB98_110
	s_branch .LBB98_111
.LBB98_109:
                                        ; implicit-def: $vgpr72_vgpr73
.LBB98_110:
	ds_read_b64 v[72:73], v74
.LBB98_111:
	s_and_saveexec_b64 s[12:13], s[4:5]
	s_cbranch_execz .LBB98_115
; %bb.112:
	v_subrev_u32_e32 v99, 23, v0
	s_movk_i32 s14, 0x1d8
	s_mov_b64 s[4:5], 0
.LBB98_113:                             ; =>This Inner Loop Header: Depth=1
	buffer_load_dword v100, v98, s[0:3], 0 offen
	buffer_load_dword v101, v98, s[0:3], 0 offen offset:4
	v_mov_b32_e32 v102, s14
	ds_read_b64 v[102:103], v102
	v_add_u32_e32 v99, -1, v99
	s_add_i32 s14, s14, 8
	v_cmp_eq_u32_e32 vcc, 0, v99
	v_add_u32_e32 v98, 8, v98
	s_or_b64 s[4:5], vcc, s[4:5]
	s_waitcnt vmcnt(0) lgkmcnt(0)
	v_fmac_f64_e32 v[72:73], v[100:101], v[102:103]
	s_andn2_b64 exec, exec, s[4:5]
	s_cbranch_execnz .LBB98_113
; %bb.114:
	s_or_b64 exec, exec, s[4:5]
.LBB98_115:
	s_or_b64 exec, exec, s[12:13]
	v_mov_b32_e32 v98, 0
	ds_read_b64 v[98:99], v98 offset:176
	s_waitcnt lgkmcnt(0)
	v_mul_f64 v[72:73], v[72:73], v[98:99]
	buffer_store_dword v73, off, s[0:3], 0 offset:180
	buffer_store_dword v72, off, s[0:3], 0 offset:176
.LBB98_116:
	;; [unrolled: 58-line block ×8, first 2 shown]
	s_or_b64 exec, exec, s[10:11]
	buffer_load_dword v72, off, s[0:3], 0 offset:120
	buffer_load_dword v73, off, s[0:3], 0 offset:124
	v_cmp_lt_u32_e64 s[4:5], 15, v0
	s_waitcnt vmcnt(0)
	ds_write_b64 v74, v[72:73]
	s_waitcnt lgkmcnt(0)
	; wave barrier
	s_waitcnt lgkmcnt(0)
	s_and_saveexec_b64 s[10:11], s[4:5]
	s_cbranch_execz .LBB98_186
; %bb.177:
	s_andn2_b64 vcc, exec, s[8:9]
	s_cbranch_vccnz .LBB98_179
; %bb.178:
	buffer_load_dword v72, v75, s[0:3], 0 offen
	buffer_load_dword v73, v75, s[0:3], 0 offen offset:4
	ds_read_b64 v[92:93], v74
	s_waitcnt vmcnt(0) lgkmcnt(0)
	v_mul_f64 v[72:73], v[72:73], v[92:93]
	s_cbranch_execz .LBB98_180
	s_branch .LBB98_181
.LBB98_179:
                                        ; implicit-def: $vgpr72_vgpr73
.LBB98_180:
	ds_read_b64 v[72:73], v74
.LBB98_181:
	s_and_saveexec_b64 s[12:13], s[6:7]
	s_cbranch_execz .LBB98_185
; %bb.182:
	v_add_u32_e32 v92, -16, v0
	s_movk_i32 s14, 0x1a0
	s_mov_b64 s[6:7], 0
.LBB98_183:                             ; =>This Inner Loop Header: Depth=1
	buffer_load_dword v94, v91, s[0:3], 0 offen
	buffer_load_dword v95, v91, s[0:3], 0 offen offset:4
	v_mov_b32_e32 v93, s14
	ds_read_b64 v[96:97], v93
	v_add_u32_e32 v92, -1, v92
	s_add_i32 s14, s14, 8
	v_cmp_eq_u32_e32 vcc, 0, v92
	v_add_u32_e32 v91, 8, v91
	s_or_b64 s[6:7], vcc, s[6:7]
	s_waitcnt vmcnt(0) lgkmcnt(0)
	v_fmac_f64_e32 v[72:73], v[94:95], v[96:97]
	s_andn2_b64 exec, exec, s[6:7]
	s_cbranch_execnz .LBB98_183
; %bb.184:
	s_or_b64 exec, exec, s[6:7]
.LBB98_185:
	s_or_b64 exec, exec, s[12:13]
	v_mov_b32_e32 v91, 0
	ds_read_b64 v[92:93], v91 offset:120
	s_waitcnt lgkmcnt(0)
	v_mul_f64 v[72:73], v[72:73], v[92:93]
	buffer_store_dword v73, off, s[0:3], 0 offset:124
	buffer_store_dword v72, off, s[0:3], 0 offset:120
.LBB98_186:
	s_or_b64 exec, exec, s[10:11]
	buffer_load_dword v72, off, s[0:3], 0 offset:112
	buffer_load_dword v73, off, s[0:3], 0 offset:116
	v_cmp_lt_u32_e64 s[6:7], 14, v0
	s_waitcnt vmcnt(0)
	ds_write_b64 v74, v[72:73]
	s_waitcnt lgkmcnt(0)
	; wave barrier
	s_waitcnt lgkmcnt(0)
	s_and_saveexec_b64 s[10:11], s[6:7]
	s_cbranch_execz .LBB98_196
; %bb.187:
	s_andn2_b64 vcc, exec, s[8:9]
	s_cbranch_vccnz .LBB98_189
; %bb.188:
	buffer_load_dword v72, v75, s[0:3], 0 offen
	buffer_load_dword v73, v75, s[0:3], 0 offen offset:4
	ds_read_b64 v[92:93], v74
	s_waitcnt vmcnt(0) lgkmcnt(0)
	v_mul_f64 v[72:73], v[72:73], v[92:93]
	s_cbranch_execz .LBB98_190
	s_branch .LBB98_191
.LBB98_189:
                                        ; implicit-def: $vgpr72_vgpr73
.LBB98_190:
	ds_read_b64 v[72:73], v74
.LBB98_191:
	s_and_saveexec_b64 s[12:13], s[4:5]
	s_cbranch_execz .LBB98_195
; %bb.192:
	v_add_u32_e32 v91, -15, v0
	s_movk_i32 s14, 0x198
	s_mov_b64 s[4:5], 0
.LBB98_193:                             ; =>This Inner Loop Header: Depth=1
	buffer_load_dword v92, v90, s[0:3], 0 offen
	buffer_load_dword v93, v90, s[0:3], 0 offen offset:4
	v_mov_b32_e32 v94, s14
	ds_read_b64 v[94:95], v94
	v_add_u32_e32 v91, -1, v91
	s_add_i32 s14, s14, 8
	v_cmp_eq_u32_e32 vcc, 0, v91
	v_add_u32_e32 v90, 8, v90
	s_or_b64 s[4:5], vcc, s[4:5]
	s_waitcnt vmcnt(0) lgkmcnt(0)
	v_fmac_f64_e32 v[72:73], v[92:93], v[94:95]
	s_andn2_b64 exec, exec, s[4:5]
	s_cbranch_execnz .LBB98_193
; %bb.194:
	s_or_b64 exec, exec, s[4:5]
.LBB98_195:
	s_or_b64 exec, exec, s[12:13]
	v_mov_b32_e32 v90, 0
	ds_read_b64 v[90:91], v90 offset:112
	s_waitcnt lgkmcnt(0)
	v_mul_f64 v[72:73], v[72:73], v[90:91]
	buffer_store_dword v73, off, s[0:3], 0 offset:116
	buffer_store_dword v72, off, s[0:3], 0 offset:112
.LBB98_196:
	;; [unrolled: 58-line block ×15, first 2 shown]
	s_or_b64 exec, exec, s[10:11]
	buffer_load_dword v72, off, s[0:3], 0
	buffer_load_dword v73, off, s[0:3], 0 offset:4
	v_cmp_ne_u32_e32 vcc, 0, v0
	s_waitcnt vmcnt(0)
	ds_write_b64 v74, v[72:73]
	s_waitcnt lgkmcnt(0)
	; wave barrier
	s_waitcnt lgkmcnt(0)
	s_and_saveexec_b64 s[6:7], vcc
	s_cbranch_execz .LBB98_336
; %bb.327:
	s_andn2_b64 vcc, exec, s[8:9]
	s_cbranch_vccnz .LBB98_329
; %bb.328:
	buffer_load_dword v72, v75, s[0:3], 0 offen
	buffer_load_dword v73, v75, s[0:3], 0 offen offset:4
	ds_read_b64 v[78:79], v74
	s_waitcnt vmcnt(0) lgkmcnt(0)
	v_mul_f64 v[72:73], v[72:73], v[78:79]
	s_cbranch_execz .LBB98_330
	s_branch .LBB98_331
.LBB98_329:
                                        ; implicit-def: $vgpr72_vgpr73
.LBB98_330:
	ds_read_b64 v[72:73], v74
.LBB98_331:
	s_and_saveexec_b64 s[10:11], s[4:5]
	s_cbranch_execz .LBB98_335
; %bb.332:
	v_add_u32_e32 v77, -1, v0
	s_movk_i32 s12, 0x128
	s_mov_b64 s[4:5], 0
.LBB98_333:                             ; =>This Inner Loop Header: Depth=1
	buffer_load_dword v78, v76, s[0:3], 0 offen
	buffer_load_dword v79, v76, s[0:3], 0 offen offset:4
	v_mov_b32_e32 v80, s12
	ds_read_b64 v[80:81], v80
	v_add_u32_e32 v77, -1, v77
	s_add_i32 s12, s12, 8
	v_cmp_eq_u32_e32 vcc, 0, v77
	v_add_u32_e32 v76, 8, v76
	s_or_b64 s[4:5], vcc, s[4:5]
	s_waitcnt vmcnt(0) lgkmcnt(0)
	v_fmac_f64_e32 v[72:73], v[78:79], v[80:81]
	s_andn2_b64 exec, exec, s[4:5]
	s_cbranch_execnz .LBB98_333
; %bb.334:
	s_or_b64 exec, exec, s[4:5]
.LBB98_335:
	s_or_b64 exec, exec, s[10:11]
	v_mov_b32_e32 v76, 0
	ds_read_b64 v[76:77], v76
	s_waitcnt lgkmcnt(0)
	v_mul_f64 v[72:73], v[72:73], v[76:77]
	buffer_store_dword v73, off, s[0:3], 0 offset:4
	buffer_store_dword v72, off, s[0:3], 0
.LBB98_336:
	s_or_b64 exec, exec, s[6:7]
	s_mov_b64 s[4:5], 0
.LBB98_337:
	s_and_b64 vcc, exec, s[4:5]
	s_cbranch_vccz .LBB98_671
; %bb.338:
	buffer_load_dword v72, off, s[0:3], 0 offset:8
	buffer_load_dword v73, off, s[0:3], 0 offset:12
	v_cmp_eq_u32_e64 s[6:7], 0, v0
	s_waitcnt vmcnt(0)
	ds_write_b64 v74, v[72:73]
	s_waitcnt lgkmcnt(0)
	; wave barrier
	s_waitcnt lgkmcnt(0)
	s_and_saveexec_b64 s[4:5], s[6:7]
	s_cbranch_execz .LBB98_344
; %bb.339:
	s_and_b64 vcc, exec, s[8:9]
	s_cbranch_vccz .LBB98_341
; %bb.340:
	buffer_load_dword v72, v75, s[0:3], 0 offen
	buffer_load_dword v73, v75, s[0:3], 0 offen offset:4
	ds_read_b64 v[76:77], v74
	s_waitcnt vmcnt(0) lgkmcnt(0)
	v_mul_f64 v[72:73], v[72:73], v[76:77]
	s_cbranch_execz .LBB98_342
	s_branch .LBB98_343
.LBB98_341:
                                        ; implicit-def: $vgpr72_vgpr73
.LBB98_342:
	ds_read_b64 v[72:73], v74
.LBB98_343:
	v_mov_b32_e32 v76, 0
	ds_read_b64 v[76:77], v76 offset:8
	s_waitcnt lgkmcnt(0)
	v_mul_f64 v[72:73], v[72:73], v[76:77]
	buffer_store_dword v73, off, s[0:3], 0 offset:12
	buffer_store_dword v72, off, s[0:3], 0 offset:8
.LBB98_344:
	s_or_b64 exec, exec, s[4:5]
	buffer_load_dword v72, off, s[0:3], 0 offset:16
	buffer_load_dword v73, off, s[0:3], 0 offset:20
	v_cndmask_b32_e64 v76, 0, 1, s[8:9]
	v_cmp_gt_u32_e32 vcc, 2, v0
	v_cmp_ne_u32_e64 s[4:5], 1, v76
	s_waitcnt vmcnt(0)
	ds_write_b64 v74, v[72:73]
	s_waitcnt lgkmcnt(0)
	; wave barrier
	s_waitcnt lgkmcnt(0)
	s_and_saveexec_b64 s[8:9], vcc
	s_cbranch_execz .LBB98_352
; %bb.345:
	s_and_b64 vcc, exec, s[4:5]
	s_cbranch_vccnz .LBB98_347
; %bb.346:
	buffer_load_dword v72, v75, s[0:3], 0 offen
	buffer_load_dword v73, v75, s[0:3], 0 offen offset:4
	ds_read_b64 v[76:77], v74
	s_waitcnt vmcnt(0) lgkmcnt(0)
	v_mul_f64 v[72:73], v[72:73], v[76:77]
	s_cbranch_execz .LBB98_348
	s_branch .LBB98_349
.LBB98_347:
                                        ; implicit-def: $vgpr72_vgpr73
.LBB98_348:
	ds_read_b64 v[72:73], v74
.LBB98_349:
	s_and_saveexec_b64 s[10:11], s[6:7]
	s_cbranch_execz .LBB98_351
; %bb.350:
	buffer_load_dword v76, v75, s[0:3], 0 offen offset:8
	buffer_load_dword v77, v75, s[0:3], 0 offen offset:12
	ds_read_b64 v[78:79], v74 offset:8
	s_waitcnt vmcnt(0) lgkmcnt(0)
	v_fmac_f64_e32 v[72:73], v[76:77], v[78:79]
.LBB98_351:
	s_or_b64 exec, exec, s[10:11]
	v_mov_b32_e32 v76, 0
	ds_read_b64 v[76:77], v76 offset:16
	s_waitcnt lgkmcnt(0)
	v_mul_f64 v[72:73], v[72:73], v[76:77]
	buffer_store_dword v73, off, s[0:3], 0 offset:20
	buffer_store_dword v72, off, s[0:3], 0 offset:16
.LBB98_352:
	s_or_b64 exec, exec, s[8:9]
	buffer_load_dword v72, off, s[0:3], 0 offset:24
	buffer_load_dword v73, off, s[0:3], 0 offset:28
	v_cmp_gt_u32_e32 vcc, 3, v0
	s_waitcnt vmcnt(0)
	ds_write_b64 v74, v[72:73]
	s_waitcnt lgkmcnt(0)
	; wave barrier
	s_waitcnt lgkmcnt(0)
	s_and_saveexec_b64 s[8:9], vcc
	s_cbranch_execz .LBB98_360
; %bb.353:
	s_and_b64 vcc, exec, s[4:5]
	s_cbranch_vccnz .LBB98_355
; %bb.354:
	buffer_load_dword v72, v75, s[0:3], 0 offen
	buffer_load_dword v73, v75, s[0:3], 0 offen offset:4
	ds_read_b64 v[76:77], v74
	s_waitcnt vmcnt(0) lgkmcnt(0)
	v_mul_f64 v[72:73], v[72:73], v[76:77]
	s_cbranch_execz .LBB98_356
	s_branch .LBB98_357
.LBB98_355:
                                        ; implicit-def: $vgpr72_vgpr73
.LBB98_356:
	ds_read_b64 v[72:73], v74
.LBB98_357:
	v_cmp_ne_u32_e32 vcc, 2, v0
	s_and_saveexec_b64 s[10:11], vcc
	s_cbranch_execz .LBB98_359
; %bb.358:
	buffer_load_dword v77, v75, s[0:3], 0 offen offset:12
	buffer_load_dword v78, off, s[0:3], 0 offset:16
	buffer_load_dword v76, v75, s[0:3], 0 offen offset:8
	buffer_load_dword v79, off, s[0:3], 0 offset:20
	v_mov_b32_e32 v82, 0
	ds_read_b64 v[80:81], v74 offset:8
	ds_read_b64 v[82:83], v82 offset:304
	s_waitcnt vmcnt(1) lgkmcnt(1)
	v_fmac_f64_e32 v[72:73], v[76:77], v[80:81]
	s_waitcnt vmcnt(0) lgkmcnt(0)
	v_fma_f64 v[76:77], v[78:79], v[82:83], v[72:73]
	v_cndmask_b32_e64 v73, v73, v77, s[6:7]
	v_cndmask_b32_e64 v72, v72, v76, s[6:7]
.LBB98_359:
	s_or_b64 exec, exec, s[10:11]
	v_mov_b32_e32 v76, 0
	ds_read_b64 v[76:77], v76 offset:24
	s_waitcnt lgkmcnt(0)
	v_mul_f64 v[72:73], v[72:73], v[76:77]
	buffer_store_dword v73, off, s[0:3], 0 offset:28
	buffer_store_dword v72, off, s[0:3], 0 offset:24
.LBB98_360:
	s_or_b64 exec, exec, s[8:9]
	buffer_load_dword v72, off, s[0:3], 0 offset:32
	buffer_load_dword v73, off, s[0:3], 0 offset:36
	v_cmp_gt_u32_e32 vcc, 4, v0
	s_waitcnt vmcnt(0)
	ds_write_b64 v74, v[72:73]
	s_waitcnt lgkmcnt(0)
	; wave barrier
	s_waitcnt lgkmcnt(0)
	s_and_saveexec_b64 s[6:7], vcc
	s_cbranch_execz .LBB98_370
; %bb.361:
	s_and_b64 vcc, exec, s[4:5]
	s_cbranch_vccnz .LBB98_363
; %bb.362:
	buffer_load_dword v72, v75, s[0:3], 0 offen
	buffer_load_dword v73, v75, s[0:3], 0 offen offset:4
	ds_read_b64 v[76:77], v74
	s_waitcnt vmcnt(0) lgkmcnt(0)
	v_mul_f64 v[72:73], v[72:73], v[76:77]
	s_cbranch_execz .LBB98_364
	s_branch .LBB98_365
.LBB98_363:
                                        ; implicit-def: $vgpr72_vgpr73
.LBB98_364:
	ds_read_b64 v[72:73], v74
.LBB98_365:
	v_cmp_ne_u32_e32 vcc, 3, v0
	s_and_saveexec_b64 s[8:9], vcc
	s_cbranch_execz .LBB98_369
; %bb.366:
	v_mov_b32_e32 v77, 0
	v_add_u32_e32 v76, 0x128, v1
	v_add3_u32 v77, v1, v77, 8
	s_mov_b64 s[10:11], 0
	v_mov_b32_e32 v78, v0
.LBB98_367:                             ; =>This Inner Loop Header: Depth=1
	buffer_load_dword v80, v77, s[0:3], 0 offen
	buffer_load_dword v81, v77, s[0:3], 0 offen offset:4
	ds_read_b64 v[82:83], v76
	v_add_u32_e32 v78, 1, v78
	v_cmp_lt_u32_e32 vcc, 2, v78
	v_add_u32_e32 v76, 8, v76
	v_add_u32_e32 v77, 8, v77
	s_or_b64 s[10:11], vcc, s[10:11]
	s_waitcnt vmcnt(0) lgkmcnt(0)
	v_fmac_f64_e32 v[72:73], v[80:81], v[82:83]
	s_andn2_b64 exec, exec, s[10:11]
	s_cbranch_execnz .LBB98_367
; %bb.368:
	s_or_b64 exec, exec, s[10:11]
.LBB98_369:
	s_or_b64 exec, exec, s[8:9]
	v_mov_b32_e32 v76, 0
	ds_read_b64 v[76:77], v76 offset:32
	s_waitcnt lgkmcnt(0)
	v_mul_f64 v[72:73], v[72:73], v[76:77]
	buffer_store_dword v73, off, s[0:3], 0 offset:36
	buffer_store_dword v72, off, s[0:3], 0 offset:32
.LBB98_370:
	s_or_b64 exec, exec, s[6:7]
	buffer_load_dword v72, off, s[0:3], 0 offset:40
	buffer_load_dword v73, off, s[0:3], 0 offset:44
	v_cmp_gt_u32_e32 vcc, 5, v0
	s_waitcnt vmcnt(0)
	ds_write_b64 v74, v[72:73]
	s_waitcnt lgkmcnt(0)
	; wave barrier
	s_waitcnt lgkmcnt(0)
	s_and_saveexec_b64 s[6:7], vcc
	s_cbranch_execz .LBB98_380
; %bb.371:
	s_and_b64 vcc, exec, s[4:5]
	s_cbranch_vccnz .LBB98_373
; %bb.372:
	buffer_load_dword v72, v75, s[0:3], 0 offen
	buffer_load_dword v73, v75, s[0:3], 0 offen offset:4
	ds_read_b64 v[76:77], v74
	s_waitcnt vmcnt(0) lgkmcnt(0)
	v_mul_f64 v[72:73], v[72:73], v[76:77]
	s_cbranch_execz .LBB98_374
	s_branch .LBB98_375
.LBB98_373:
                                        ; implicit-def: $vgpr72_vgpr73
.LBB98_374:
	ds_read_b64 v[72:73], v74
.LBB98_375:
	v_cmp_ne_u32_e32 vcc, 4, v0
	s_and_saveexec_b64 s[8:9], vcc
	s_cbranch_execz .LBB98_379
; %bb.376:
	v_mov_b32_e32 v77, 0
	v_add_u32_e32 v76, 0x128, v1
	v_add3_u32 v77, v1, v77, 8
	s_mov_b64 s[10:11], 0
	v_mov_b32_e32 v78, v0
.LBB98_377:                             ; =>This Inner Loop Header: Depth=1
	buffer_load_dword v80, v77, s[0:3], 0 offen
	buffer_load_dword v81, v77, s[0:3], 0 offen offset:4
	ds_read_b64 v[82:83], v76
	v_add_u32_e32 v78, 1, v78
	v_cmp_lt_u32_e32 vcc, 3, v78
	v_add_u32_e32 v76, 8, v76
	v_add_u32_e32 v77, 8, v77
	s_or_b64 s[10:11], vcc, s[10:11]
	s_waitcnt vmcnt(0) lgkmcnt(0)
	v_fmac_f64_e32 v[72:73], v[80:81], v[82:83]
	s_andn2_b64 exec, exec, s[10:11]
	s_cbranch_execnz .LBB98_377
; %bb.378:
	s_or_b64 exec, exec, s[10:11]
.LBB98_379:
	s_or_b64 exec, exec, s[8:9]
	v_mov_b32_e32 v76, 0
	ds_read_b64 v[76:77], v76 offset:40
	s_waitcnt lgkmcnt(0)
	v_mul_f64 v[72:73], v[72:73], v[76:77]
	buffer_store_dword v73, off, s[0:3], 0 offset:44
	buffer_store_dword v72, off, s[0:3], 0 offset:40
.LBB98_380:
	;; [unrolled: 60-line block ×29, first 2 shown]
	s_or_b64 exec, exec, s[6:7]
	buffer_load_dword v72, off, s[0:3], 0 offset:264
	buffer_load_dword v73, off, s[0:3], 0 offset:268
	v_cmp_gt_u32_e64 s[6:7], 33, v0
	s_waitcnt vmcnt(0)
	ds_write_b64 v74, v[72:73]
	s_waitcnt lgkmcnt(0)
	; wave barrier
	s_waitcnt lgkmcnt(0)
	s_and_saveexec_b64 s[8:9], s[6:7]
	s_cbranch_execz .LBB98_660
; %bb.651:
	s_and_b64 vcc, exec, s[4:5]
	s_cbranch_vccnz .LBB98_653
; %bb.652:
	buffer_load_dword v72, v75, s[0:3], 0 offen
	buffer_load_dword v73, v75, s[0:3], 0 offen offset:4
	ds_read_b64 v[76:77], v74
	s_waitcnt vmcnt(0) lgkmcnt(0)
	v_mul_f64 v[72:73], v[72:73], v[76:77]
	s_cbranch_execz .LBB98_654
	s_branch .LBB98_655
.LBB98_653:
                                        ; implicit-def: $vgpr72_vgpr73
.LBB98_654:
	ds_read_b64 v[72:73], v74
.LBB98_655:
	v_cmp_ne_u32_e32 vcc, 32, v0
	s_and_saveexec_b64 s[10:11], vcc
	s_cbranch_execz .LBB98_659
; %bb.656:
	v_mov_b32_e32 v77, 0
	v_add_u32_e32 v76, 0x128, v1
	v_add3_u32 v77, v1, v77, 8
	s_mov_b64 s[12:13], 0
	v_mov_b32_e32 v78, v0
.LBB98_657:                             ; =>This Inner Loop Header: Depth=1
	buffer_load_dword v80, v77, s[0:3], 0 offen
	buffer_load_dword v81, v77, s[0:3], 0 offen offset:4
	ds_read_b64 v[82:83], v76
	v_add_u32_e32 v78, 1, v78
	v_cmp_lt_u32_e32 vcc, 31, v78
	v_add_u32_e32 v76, 8, v76
	v_add_u32_e32 v77, 8, v77
	s_or_b64 s[12:13], vcc, s[12:13]
	s_waitcnt vmcnt(0) lgkmcnt(0)
	v_fmac_f64_e32 v[72:73], v[80:81], v[82:83]
	s_andn2_b64 exec, exec, s[12:13]
	s_cbranch_execnz .LBB98_657
; %bb.658:
	s_or_b64 exec, exec, s[12:13]
.LBB98_659:
	s_or_b64 exec, exec, s[10:11]
	v_mov_b32_e32 v76, 0
	ds_read_b64 v[76:77], v76 offset:264
	s_waitcnt lgkmcnt(0)
	v_mul_f64 v[72:73], v[72:73], v[76:77]
	buffer_store_dword v73, off, s[0:3], 0 offset:268
	buffer_store_dword v72, off, s[0:3], 0 offset:264
.LBB98_660:
	s_or_b64 exec, exec, s[8:9]
	buffer_load_dword v72, off, s[0:3], 0 offset:272
	buffer_load_dword v73, off, s[0:3], 0 offset:276
	v_cmp_ne_u32_e32 vcc, 34, v0
	s_waitcnt vmcnt(0)
	ds_write_b64 v74, v[72:73]
	s_waitcnt lgkmcnt(0)
	; wave barrier
	s_waitcnt lgkmcnt(0)
	s_and_saveexec_b64 s[8:9], vcc
	s_cbranch_execz .LBB98_670
; %bb.661:
	s_and_b64 vcc, exec, s[4:5]
	s_cbranch_vccnz .LBB98_663
; %bb.662:
	buffer_load_dword v72, v75, s[0:3], 0 offen
	buffer_load_dword v73, v75, s[0:3], 0 offen offset:4
	ds_read_b64 v[76:77], v74
	s_waitcnt vmcnt(0) lgkmcnt(0)
	v_mul_f64 v[72:73], v[72:73], v[76:77]
	s_cbranch_execz .LBB98_664
	s_branch .LBB98_665
.LBB98_663:
                                        ; implicit-def: $vgpr72_vgpr73
.LBB98_664:
	ds_read_b64 v[72:73], v74
.LBB98_665:
	s_and_saveexec_b64 s[4:5], s[6:7]
	s_cbranch_execz .LBB98_669
; %bb.666:
	v_mov_b32_e32 v75, 0
	v_add_u32_e32 v74, 0x128, v1
	v_add3_u32 v1, v1, v75, 8
	s_mov_b64 s[6:7], 0
.LBB98_667:                             ; =>This Inner Loop Header: Depth=1
	buffer_load_dword v76, v1, s[0:3], 0 offen
	buffer_load_dword v77, v1, s[0:3], 0 offen offset:4
	ds_read_b64 v[78:79], v74
	v_add_u32_e32 v0, 1, v0
	v_cmp_lt_u32_e32 vcc, 32, v0
	v_add_u32_e32 v74, 8, v74
	v_add_u32_e32 v1, 8, v1
	s_or_b64 s[6:7], vcc, s[6:7]
	s_waitcnt vmcnt(0) lgkmcnt(0)
	v_fmac_f64_e32 v[72:73], v[76:77], v[78:79]
	s_andn2_b64 exec, exec, s[6:7]
	s_cbranch_execnz .LBB98_667
; %bb.668:
	s_or_b64 exec, exec, s[6:7]
.LBB98_669:
	s_or_b64 exec, exec, s[4:5]
	v_mov_b32_e32 v0, 0
	ds_read_b64 v[0:1], v0 offset:272
	s_waitcnt lgkmcnt(0)
	v_mul_f64 v[0:1], v[72:73], v[0:1]
	buffer_store_dword v1, off, s[0:3], 0 offset:276
	buffer_store_dword v0, off, s[0:3], 0 offset:272
.LBB98_670:
	s_or_b64 exec, exec, s[8:9]
.LBB98_671:
	buffer_load_dword v0, off, s[0:3], 0
	buffer_load_dword v1, off, s[0:3], 0 offset:4
	buffer_load_dword v72, off, s[0:3], 0 offset:8
	;; [unrolled: 1-line block ×15, first 2 shown]
	s_waitcnt vmcnt(14)
	global_store_dwordx2 v[68:69], v[0:1], off
	s_waitcnt vmcnt(13)
	global_store_dwordx2 v[70:71], v[72:73], off
	;; [unrolled: 2-line block ×8, first 2 shown]
	buffer_load_dword v1, off, s[0:3], 0 offset:68
	buffer_load_dword v0, off, s[0:3], 0 offset:64
	s_waitcnt vmcnt(0)
	global_store_dwordx2 v[20:21], v[0:1], off
	buffer_load_dword v0, off, s[0:3], 0 offset:72
	s_nop 0
	buffer_load_dword v1, off, s[0:3], 0 offset:76
	s_waitcnt vmcnt(0)
	global_store_dwordx2 v[12:13], v[0:1], off
	buffer_load_dword v0, off, s[0:3], 0 offset:80
	s_nop 0
	;; [unrolled: 5-line block ×26, first 2 shown]
	buffer_load_dword v1, off, s[0:3], 0 offset:276
	s_waitcnt vmcnt(0)
	global_store_dwordx2 v[52:53], v[0:1], off
.LBB98_672:
	s_endpgm
	.section	.rodata,"a",@progbits
	.p2align	6, 0x0
	.amdhsa_kernel _ZN9rocsolver6v33100L18trti2_kernel_smallILi35EdPKPdEEv13rocblas_fill_17rocblas_diagonal_T1_iil
		.amdhsa_group_segment_fixed_size 568
		.amdhsa_private_segment_fixed_size 288
		.amdhsa_kernarg_size 32
		.amdhsa_user_sgpr_count 8
		.amdhsa_user_sgpr_private_segment_buffer 1
		.amdhsa_user_sgpr_dispatch_ptr 0
		.amdhsa_user_sgpr_queue_ptr 0
		.amdhsa_user_sgpr_kernarg_segment_ptr 1
		.amdhsa_user_sgpr_dispatch_id 0
		.amdhsa_user_sgpr_flat_scratch_init 1
		.amdhsa_user_sgpr_kernarg_preload_length 0
		.amdhsa_user_sgpr_kernarg_preload_offset 0
		.amdhsa_user_sgpr_private_segment_size 0
		.amdhsa_uses_dynamic_stack 0
		.amdhsa_system_sgpr_private_segment_wavefront_offset 1
		.amdhsa_system_sgpr_workgroup_id_x 1
		.amdhsa_system_sgpr_workgroup_id_y 0
		.amdhsa_system_sgpr_workgroup_id_z 0
		.amdhsa_system_sgpr_workgroup_info 0
		.amdhsa_system_vgpr_workitem_id 0
		.amdhsa_next_free_vgpr 124
		.amdhsa_next_free_sgpr 16
		.amdhsa_accum_offset 124
		.amdhsa_reserve_vcc 1
		.amdhsa_reserve_flat_scratch 0
		.amdhsa_float_round_mode_32 0
		.amdhsa_float_round_mode_16_64 0
		.amdhsa_float_denorm_mode_32 3
		.amdhsa_float_denorm_mode_16_64 3
		.amdhsa_dx10_clamp 1
		.amdhsa_ieee_mode 1
		.amdhsa_fp16_overflow 0
		.amdhsa_tg_split 0
		.amdhsa_exception_fp_ieee_invalid_op 0
		.amdhsa_exception_fp_denorm_src 0
		.amdhsa_exception_fp_ieee_div_zero 0
		.amdhsa_exception_fp_ieee_overflow 0
		.amdhsa_exception_fp_ieee_underflow 0
		.amdhsa_exception_fp_ieee_inexact 0
		.amdhsa_exception_int_div_zero 0
	.end_amdhsa_kernel
	.section	.text._ZN9rocsolver6v33100L18trti2_kernel_smallILi35EdPKPdEEv13rocblas_fill_17rocblas_diagonal_T1_iil,"axG",@progbits,_ZN9rocsolver6v33100L18trti2_kernel_smallILi35EdPKPdEEv13rocblas_fill_17rocblas_diagonal_T1_iil,comdat
.Lfunc_end98:
	.size	_ZN9rocsolver6v33100L18trti2_kernel_smallILi35EdPKPdEEv13rocblas_fill_17rocblas_diagonal_T1_iil, .Lfunc_end98-_ZN9rocsolver6v33100L18trti2_kernel_smallILi35EdPKPdEEv13rocblas_fill_17rocblas_diagonal_T1_iil
                                        ; -- End function
	.section	.AMDGPU.csdata,"",@progbits
; Kernel info:
; codeLenInByte = 20384
; NumSgprs: 20
; NumVgprs: 124
; NumAgprs: 0
; TotalNumVgprs: 124
; ScratchSize: 288
; MemoryBound: 0
; FloatMode: 240
; IeeeMode: 1
; LDSByteSize: 568 bytes/workgroup (compile time only)
; SGPRBlocks: 2
; VGPRBlocks: 15
; NumSGPRsForWavesPerEU: 20
; NumVGPRsForWavesPerEU: 124
; AccumOffset: 124
; Occupancy: 4
; WaveLimiterHint : 1
; COMPUTE_PGM_RSRC2:SCRATCH_EN: 1
; COMPUTE_PGM_RSRC2:USER_SGPR: 8
; COMPUTE_PGM_RSRC2:TRAP_HANDLER: 0
; COMPUTE_PGM_RSRC2:TGID_X_EN: 1
; COMPUTE_PGM_RSRC2:TGID_Y_EN: 0
; COMPUTE_PGM_RSRC2:TGID_Z_EN: 0
; COMPUTE_PGM_RSRC2:TIDIG_COMP_CNT: 0
; COMPUTE_PGM_RSRC3_GFX90A:ACCUM_OFFSET: 30
; COMPUTE_PGM_RSRC3_GFX90A:TG_SPLIT: 0
	.section	.text._ZN9rocsolver6v33100L18trti2_kernel_smallILi36EdPKPdEEv13rocblas_fill_17rocblas_diagonal_T1_iil,"axG",@progbits,_ZN9rocsolver6v33100L18trti2_kernel_smallILi36EdPKPdEEv13rocblas_fill_17rocblas_diagonal_T1_iil,comdat
	.globl	_ZN9rocsolver6v33100L18trti2_kernel_smallILi36EdPKPdEEv13rocblas_fill_17rocblas_diagonal_T1_iil ; -- Begin function _ZN9rocsolver6v33100L18trti2_kernel_smallILi36EdPKPdEEv13rocblas_fill_17rocblas_diagonal_T1_iil
	.p2align	8
	.type	_ZN9rocsolver6v33100L18trti2_kernel_smallILi36EdPKPdEEv13rocblas_fill_17rocblas_diagonal_T1_iil,@function
_ZN9rocsolver6v33100L18trti2_kernel_smallILi36EdPKPdEEv13rocblas_fill_17rocblas_diagonal_T1_iil: ; @_ZN9rocsolver6v33100L18trti2_kernel_smallILi36EdPKPdEEv13rocblas_fill_17rocblas_diagonal_T1_iil
; %bb.0:
	s_add_u32 s0, s0, s9
	s_addc_u32 s1, s1, 0
	v_cmp_gt_u32_e32 vcc, 36, v0
	s_and_saveexec_b64 s[6:7], vcc
	s_cbranch_execz .LBB99_692
; %bb.1:
	s_load_dwordx2 s[6:7], s[4:5], 0x10
	s_load_dwordx4 s[12:15], s[4:5], 0x0
	s_ashr_i32 s9, s8, 31
	s_lshl_b64 s[4:5], s[8:9], 3
	s_waitcnt lgkmcnt(0)
	s_ashr_i32 s9, s6, 31
	s_add_u32 s4, s14, s4
	s_addc_u32 s5, s15, s5
	s_load_dwordx2 s[4:5], s[4:5], 0x0
	s_mov_b32 s8, s6
	s_lshl_b64 s[8:9], s[8:9], 3
	s_waitcnt lgkmcnt(0)
	s_add_u32 s4, s4, s8
	s_addc_u32 s5, s5, s9
	s_add_i32 s6, s7, s7
	v_add_u32_e32 v4, s6, v0
	v_ashrrev_i32_e32 v5, 31, v4
	v_lshlrev_b64 v[2:3], 3, v[4:5]
	v_add_u32_e32 v6, s7, v4
	v_mov_b32_e32 v1, s5
	v_add_co_u32_e32 v2, vcc, s4, v2
	v_ashrrev_i32_e32 v7, 31, v6
	v_addc_co_u32_e32 v3, vcc, v1, v3, vcc
	v_lshlrev_b64 v[4:5], 3, v[6:7]
	v_add_u32_e32 v8, s7, v6
	v_add_co_u32_e32 v4, vcc, s4, v4
	v_ashrrev_i32_e32 v9, 31, v8
	v_addc_co_u32_e32 v5, vcc, v1, v5, vcc
	v_lshlrev_b64 v[6:7], 3, v[8:9]
	v_add_u32_e32 v10, s7, v8
	;; [unrolled: 5-line block ×5, first 2 shown]
	v_add_co_u32_e32 v14, vcc, s4, v14
	v_ashrrev_i32_e32 v13, 31, v12
	v_addc_co_u32_e32 v15, vcc, v1, v15, vcc
	v_lshlrev_b64 v[16:17], 3, v[12:13]
	v_add_co_u32_e32 v20, vcc, s4, v16
	v_add_u32_e32 v16, s7, v12
	v_addc_co_u32_e32 v21, vcc, v1, v17, vcc
	v_ashrrev_i32_e32 v17, 31, v16
	v_lshlrev_b64 v[12:13], 3, v[16:17]
	v_add_u32_e32 v18, s7, v16
	v_add_co_u32_e32 v12, vcc, s4, v12
	v_ashrrev_i32_e32 v19, 31, v18
	v_addc_co_u32_e32 v13, vcc, v1, v13, vcc
	v_lshlrev_b64 v[16:17], 3, v[18:19]
	v_add_u32_e32 v22, s7, v18
	v_add_co_u32_e32 v16, vcc, s4, v16
	v_ashrrev_i32_e32 v23, 31, v22
	v_addc_co_u32_e32 v17, vcc, v1, v17, vcc
	;; [unrolled: 5-line block ×18, first 2 shown]
	v_lshlrev_b64 v[52:53], 3, v[54:55]
	v_add_co_u32_e32 v52, vcc, s4, v52
	v_addc_co_u32_e32 v53, vcc, v1, v53, vcc
	v_lshlrev_b32_e32 v1, 3, v0
	global_load_dwordx2 v[74:75], v1, s[4:5]
	v_mov_b32_e32 v55, s5
	v_add_co_u32_e32 v70, vcc, s4, v1
	s_ashr_i32 s9, s7, 31
	s_mov_b32 s8, s7
	v_addc_co_u32_e32 v71, vcc, 0, v55, vcc
	s_lshl_b64 s[8:9], s[8:9], 3
	v_mov_b32_e32 v55, s9
	v_add_co_u32_e32 v72, vcc, s8, v70
	v_addc_co_u32_e32 v73, vcc, v71, v55, vcc
	global_load_dwordx2 v[76:77], v[72:73], off
	global_load_dwordx2 v[78:79], v[2:3], off
	global_load_dwordx2 v[80:81], v[4:5], off
	global_load_dwordx2 v[82:83], v[6:7], off
	global_load_dwordx2 v[84:85], v[8:9], off
	global_load_dwordx2 v[86:87], v[10:11], off
	global_load_dwordx2 v[92:93], v[12:13], off
	global_load_dwordx2 v[88:89], v[14:15], off
	global_load_dwordx2 v[94:95], v[16:17], off
	global_load_dwordx2 v[90:91], v[20:21], off
	v_add_u32_e32 v54, s7, v54
	v_ashrrev_i32_e32 v55, 31, v54
	v_lshlrev_b64 v[56:57], 3, v[54:55]
	v_mov_b32_e32 v55, s5
	v_add_co_u32_e32 v56, vcc, s4, v56
	v_add_u32_e32 v54, s7, v54
	v_addc_co_u32_e32 v57, vcc, v55, v57, vcc
	v_ashrrev_i32_e32 v55, 31, v54
	v_lshlrev_b64 v[58:59], 3, v[54:55]
	v_mov_b32_e32 v55, s5
	v_add_co_u32_e32 v58, vcc, s4, v58
	v_add_u32_e32 v54, s7, v54
	v_addc_co_u32_e32 v59, vcc, v55, v59, vcc
	v_ashrrev_i32_e32 v55, 31, v54
	v_lshlrev_b64 v[60:61], 3, v[54:55]
	v_add_u32_e32 v54, s7, v54
	v_mov_b32_e32 v62, s5
	v_add_co_u32_e32 v60, vcc, s4, v60
	v_ashrrev_i32_e32 v55, 31, v54
	v_addc_co_u32_e32 v61, vcc, v62, v61, vcc
	v_lshlrev_b64 v[62:63], 3, v[54:55]
	v_add_u32_e32 v54, s7, v54
	v_mov_b32_e32 v64, s5
	v_add_co_u32_e32 v62, vcc, s4, v62
	v_ashrrev_i32_e32 v55, 31, v54
	v_addc_co_u32_e32 v63, vcc, v64, v63, vcc
	;; [unrolled: 6-line block ×5, first 2 shown]
	v_lshlrev_b64 v[54:55], 3, v[54:55]
	v_add_co_u32_e32 v54, vcc, s4, v54
	v_addc_co_u32_e32 v55, vcc, v96, v55, vcc
	global_load_dwordx2 v[96:97], v[18:19], off
	global_load_dwordx2 v[98:99], v[54:55], off
	;; [unrolled: 1-line block ×14, first 2 shown]
	s_cmpk_lg_i32 s13, 0x84
	s_waitcnt vmcnt(24)
	buffer_store_dword v75, off, s[0:3], 0 offset:4
	buffer_store_dword v74, off, s[0:3], 0
	global_load_dwordx2 v[74:75], v[26:27], off
	s_cselect_b64 s[8:9], -1, 0
	s_waitcnt vmcnt(26)
	buffer_store_dword v77, off, s[0:3], 0 offset:12
	buffer_store_dword v76, off, s[0:3], 0 offset:8
	global_load_dwordx2 v[76:77], v[30:31], off
	s_cmpk_eq_i32 s13, 0x84
	s_waitcnt vmcnt(28)
	buffer_store_dword v79, off, s[0:3], 0 offset:20
	buffer_store_dword v78, off, s[0:3], 0 offset:16
	global_load_dwordx2 v[78:79], v[34:35], off
	s_waitcnt vmcnt(30)
	buffer_store_dword v81, off, s[0:3], 0 offset:28
	buffer_store_dword v80, off, s[0:3], 0 offset:24
	global_load_dwordx2 v[80:81], v[38:39], off
	;; [unrolled: 4-line block ×7, first 2 shown]
	s_nop 0
	buffer_store_dword v92, off, s[0:3], 0 offset:72
	buffer_store_dword v93, off, s[0:3], 0 offset:76
	global_load_dwordx2 v[92:93], v[64:65], off
	s_nop 0
	buffer_store_dword v94, off, s[0:3], 0 offset:80
	buffer_store_dword v95, off, s[0:3], 0 offset:84
	global_load_dwordx2 v[94:95], v[68:69], off
	s_waitcnt vmcnt(46)
	buffer_store_dword v96, off, s[0:3], 0 offset:88
	buffer_store_dword v97, off, s[0:3], 0 offset:92
	s_waitcnt vmcnt(46)
	buffer_store_dword v100, off, s[0:3], 0 offset:96
	buffer_store_dword v101, off, s[0:3], 0 offset:100
	;; [unrolled: 3-line block ×4, first 2 shown]
	buffer_store_dword v104, off, s[0:3], 0 offset:120
	buffer_store_dword v105, off, s[0:3], 0 offset:124
	s_waitcnt vmcnt(37)
	buffer_store_dword v76, off, s[0:3], 0 offset:128
	buffer_store_dword v77, off, s[0:3], 0 offset:132
	buffer_store_dword v106, off, s[0:3], 0 offset:136
	buffer_store_dword v107, off, s[0:3], 0 offset:140
	s_waitcnt vmcnt(38)
	buffer_store_dword v78, off, s[0:3], 0 offset:144
	buffer_store_dword v79, off, s[0:3], 0 offset:148
	;; [unrolled: 5-line block ×10, first 2 shown]
	buffer_store_dword v98, off, s[0:3], 0 offset:280
	buffer_store_dword v99, off, s[0:3], 0 offset:284
	v_mov_b32_e32 v74, 0
	v_mov_b32_e32 v110, 0
	;; [unrolled: 1-line block ×3, first 2 shown]
	s_cbranch_scc1 .LBB99_3
; %bb.2:
	v_lshl_add_u32 v84, v0, 3, v110
	buffer_load_dword v74, v84, s[0:3], 0 offen
	buffer_load_dword v75, v84, s[0:3], 0 offen offset:4
	s_waitcnt vmcnt(0)
	v_div_scale_f64 v[76:77], s[4:5], v[74:75], v[74:75], 1.0
	v_rcp_f64_e32 v[78:79], v[76:77]
	v_div_scale_f64 v[80:81], vcc, 1.0, v[74:75], 1.0
	v_fma_f64 v[82:83], -v[76:77], v[78:79], 1.0
	v_fmac_f64_e32 v[78:79], v[78:79], v[82:83]
	v_fma_f64 v[82:83], -v[76:77], v[78:79], 1.0
	v_fmac_f64_e32 v[78:79], v[78:79], v[82:83]
	v_mul_f64 v[82:83], v[80:81], v[78:79]
	v_fma_f64 v[76:77], -v[76:77], v[82:83], v[80:81]
	v_div_fmas_f64 v[76:77], v[76:77], v[78:79], v[82:83]
	v_div_fixup_f64 v[74:75], v[76:77], v[74:75], 1.0
	buffer_store_dword v74, v84, s[0:3], 0 offen
	buffer_store_dword v75, v84, s[0:3], 0 offen offset:4
	v_xor_b32_e32 v75, 0x80000000, v75
.LBB99_3:
	s_cmpk_eq_i32 s12, 0x79
	v_add_u32_e32 v76, 0x120, v1
	v_add_u32_e32 v77, 0, v1
	s_mov_b64 s[4:5], -1
	ds_write_b64 v1, v[74:75]
	s_cbranch_scc1 .LBB99_347
; %bb.4:
	buffer_load_dword v74, off, s[0:3], 0 offset:272
	buffer_load_dword v75, off, s[0:3], 0 offset:276
	v_cmp_eq_u32_e64 s[4:5], 35, v0
	s_waitcnt vmcnt(0)
	ds_write_b64 v76, v[74:75]
	s_waitcnt lgkmcnt(0)
	; wave barrier
	s_waitcnt lgkmcnt(0)
	s_and_saveexec_b64 s[6:7], s[4:5]
	s_cbranch_execz .LBB99_10
; %bb.5:
	s_and_b64 vcc, exec, s[8:9]
	s_cbranch_vccz .LBB99_7
; %bb.6:
	buffer_load_dword v74, v77, s[0:3], 0 offen
	buffer_load_dword v75, v77, s[0:3], 0 offen offset:4
	ds_read_b64 v[78:79], v76
	s_waitcnt vmcnt(0) lgkmcnt(0)
	v_mul_f64 v[74:75], v[74:75], v[78:79]
	s_cbranch_execz .LBB99_8
	s_branch .LBB99_9
.LBB99_7:
                                        ; implicit-def: $vgpr74_vgpr75
.LBB99_8:
	ds_read_b64 v[74:75], v76
.LBB99_9:
	v_mov_b32_e32 v78, 0
	ds_read_b64 v[78:79], v78 offset:272
	s_waitcnt lgkmcnt(0)
	v_mul_f64 v[74:75], v[74:75], v[78:79]
	buffer_store_dword v75, off, s[0:3], 0 offset:276
	buffer_store_dword v74, off, s[0:3], 0 offset:272
.LBB99_10:
	s_or_b64 exec, exec, s[6:7]
	buffer_load_dword v74, off, s[0:3], 0 offset:264
	buffer_load_dword v75, off, s[0:3], 0 offset:268
	v_or_b32_e32 v78, 8, v110
	v_add_u32_e32 v79, 16, v110
	v_add_u32_e32 v80, 24, v110
	;; [unrolled: 1-line block ×32, first 2 shown]
	v_cmp_lt_u32_e64 s[6:7], 33, v0
	s_waitcnt vmcnt(0)
	ds_write_b64 v76, v[74:75]
	s_waitcnt lgkmcnt(0)
	; wave barrier
	s_waitcnt lgkmcnt(0)
	s_and_saveexec_b64 s[10:11], s[6:7]
	s_cbranch_execz .LBB99_16
; %bb.11:
	s_andn2_b64 vcc, exec, s[8:9]
	s_cbranch_vccnz .LBB99_13
; %bb.12:
	buffer_load_dword v74, v77, s[0:3], 0 offen
	buffer_load_dword v75, v77, s[0:3], 0 offen offset:4
	ds_read_b64 v[112:113], v76
	s_waitcnt vmcnt(0) lgkmcnt(0)
	v_mul_f64 v[74:75], v[74:75], v[112:113]
	s_cbranch_execz .LBB99_14
	s_branch .LBB99_15
.LBB99_13:
                                        ; implicit-def: $vgpr74_vgpr75
.LBB99_14:
	ds_read_b64 v[74:75], v76
.LBB99_15:
	buffer_load_dword v116, off, s[0:3], 0 offset:272
	buffer_load_dword v117, off, s[0:3], 0 offset:276
	v_mov_b32_e32 v111, 0
	ds_read2_b64 v[112:115], v111 offset0:33 offset1:70
	s_waitcnt vmcnt(0) lgkmcnt(0)
	v_fma_f64 v[114:115], v[116:117], v[114:115], v[74:75]
	v_cndmask_b32_e64 v75, v75, v115, s[4:5]
	v_cndmask_b32_e64 v74, v74, v114, s[4:5]
	v_mul_f64 v[74:75], v[74:75], v[112:113]
	buffer_store_dword v75, off, s[0:3], 0 offset:268
	buffer_store_dword v74, off, s[0:3], 0 offset:264
.LBB99_16:
	s_or_b64 exec, exec, s[10:11]
	buffer_load_dword v74, off, s[0:3], 0 offset:256
	buffer_load_dword v75, off, s[0:3], 0 offset:260
	v_cmp_lt_u32_e64 s[4:5], 32, v0
	s_waitcnt vmcnt(0)
	ds_write_b64 v76, v[74:75]
	s_waitcnt lgkmcnt(0)
	; wave barrier
	s_waitcnt lgkmcnt(0)
	s_and_saveexec_b64 s[10:11], s[4:5]
	s_cbranch_execz .LBB99_26
; %bb.17:
	s_andn2_b64 vcc, exec, s[8:9]
	s_cbranch_vccnz .LBB99_19
; %bb.18:
	buffer_load_dword v74, v77, s[0:3], 0 offen
	buffer_load_dword v75, v77, s[0:3], 0 offen offset:4
	ds_read_b64 v[112:113], v76
	s_waitcnt vmcnt(0) lgkmcnt(0)
	v_mul_f64 v[74:75], v[74:75], v[112:113]
	s_cbranch_execz .LBB99_20
	s_branch .LBB99_21
.LBB99_19:
                                        ; implicit-def: $vgpr74_vgpr75
.LBB99_20:
	ds_read_b64 v[74:75], v76
.LBB99_21:
	s_and_saveexec_b64 s[12:13], s[6:7]
	s_cbranch_execz .LBB99_25
; %bb.22:
	v_subrev_u32_e32 v111, 33, v0
	s_movk_i32 s14, 0x228
	s_mov_b64 s[6:7], 0
.LBB99_23:                              ; =>This Inner Loop Header: Depth=1
	buffer_load_dword v112, v110, s[0:3], 0 offen
	buffer_load_dword v113, v110, s[0:3], 0 offen offset:4
	v_mov_b32_e32 v114, s14
	ds_read_b64 v[114:115], v114
	v_add_u32_e32 v111, -1, v111
	s_add_i32 s14, s14, 8
	v_cmp_eq_u32_e32 vcc, 0, v111
	v_add_u32_e32 v110, 8, v110
	s_or_b64 s[6:7], vcc, s[6:7]
	s_waitcnt vmcnt(0) lgkmcnt(0)
	v_fmac_f64_e32 v[74:75], v[112:113], v[114:115]
	s_andn2_b64 exec, exec, s[6:7]
	s_cbranch_execnz .LBB99_23
; %bb.24:
	s_or_b64 exec, exec, s[6:7]
.LBB99_25:
	s_or_b64 exec, exec, s[12:13]
	v_mov_b32_e32 v110, 0
	ds_read_b64 v[110:111], v110 offset:256
	s_waitcnt lgkmcnt(0)
	v_mul_f64 v[74:75], v[74:75], v[110:111]
	buffer_store_dword v75, off, s[0:3], 0 offset:260
	buffer_store_dword v74, off, s[0:3], 0 offset:256
.LBB99_26:
	s_or_b64 exec, exec, s[10:11]
	buffer_load_dword v74, off, s[0:3], 0 offset:248
	buffer_load_dword v75, off, s[0:3], 0 offset:252
	v_cmp_lt_u32_e64 s[6:7], 31, v0
	s_waitcnt vmcnt(0)
	ds_write_b64 v76, v[74:75]
	s_waitcnt lgkmcnt(0)
	; wave barrier
	s_waitcnt lgkmcnt(0)
	s_and_saveexec_b64 s[10:11], s[6:7]
	s_cbranch_execz .LBB99_36
; %bb.27:
	s_andn2_b64 vcc, exec, s[8:9]
	s_cbranch_vccnz .LBB99_29
; %bb.28:
	buffer_load_dword v74, v77, s[0:3], 0 offen
	buffer_load_dword v75, v77, s[0:3], 0 offen offset:4
	ds_read_b64 v[110:111], v76
	s_waitcnt vmcnt(0) lgkmcnt(0)
	v_mul_f64 v[74:75], v[74:75], v[110:111]
	s_cbranch_execz .LBB99_30
	s_branch .LBB99_31
.LBB99_29:
                                        ; implicit-def: $vgpr74_vgpr75
.LBB99_30:
	ds_read_b64 v[74:75], v76
.LBB99_31:
	s_and_saveexec_b64 s[12:13], s[4:5]
	s_cbranch_execz .LBB99_35
; %bb.32:
	v_subrev_u32_e32 v110, 32, v0
	s_movk_i32 s14, 0x220
	s_mov_b64 s[4:5], 0
.LBB99_33:                              ; =>This Inner Loop Header: Depth=1
	buffer_load_dword v112, v109, s[0:3], 0 offen
	buffer_load_dword v113, v109, s[0:3], 0 offen offset:4
	v_mov_b32_e32 v111, s14
	ds_read_b64 v[114:115], v111
	v_add_u32_e32 v110, -1, v110
	s_add_i32 s14, s14, 8
	v_cmp_eq_u32_e32 vcc, 0, v110
	v_add_u32_e32 v109, 8, v109
	s_or_b64 s[4:5], vcc, s[4:5]
	s_waitcnt vmcnt(0) lgkmcnt(0)
	v_fmac_f64_e32 v[74:75], v[112:113], v[114:115]
	s_andn2_b64 exec, exec, s[4:5]
	s_cbranch_execnz .LBB99_33
; %bb.34:
	s_or_b64 exec, exec, s[4:5]
.LBB99_35:
	s_or_b64 exec, exec, s[12:13]
	v_mov_b32_e32 v109, 0
	ds_read_b64 v[110:111], v109 offset:248
	s_waitcnt lgkmcnt(0)
	v_mul_f64 v[74:75], v[74:75], v[110:111]
	buffer_store_dword v75, off, s[0:3], 0 offset:252
	buffer_store_dword v74, off, s[0:3], 0 offset:248
.LBB99_36:
	;; [unrolled: 58-line block ×8, first 2 shown]
	s_or_b64 exec, exec, s[10:11]
	buffer_load_dword v74, off, s[0:3], 0 offset:192
	buffer_load_dword v75, off, s[0:3], 0 offset:196
	v_cmp_lt_u32_e64 s[4:5], 24, v0
	s_waitcnt vmcnt(0)
	ds_write_b64 v76, v[74:75]
	s_waitcnt lgkmcnt(0)
	; wave barrier
	s_waitcnt lgkmcnt(0)
	s_and_saveexec_b64 s[10:11], s[4:5]
	s_cbranch_execz .LBB99_106
; %bb.97:
	s_andn2_b64 vcc, exec, s[8:9]
	s_cbranch_vccnz .LBB99_99
; %bb.98:
	buffer_load_dword v74, v77, s[0:3], 0 offen
	buffer_load_dword v75, v77, s[0:3], 0 offen offset:4
	ds_read_b64 v[104:105], v76
	s_waitcnt vmcnt(0) lgkmcnt(0)
	v_mul_f64 v[74:75], v[74:75], v[104:105]
	s_cbranch_execz .LBB99_100
	s_branch .LBB99_101
.LBB99_99:
                                        ; implicit-def: $vgpr74_vgpr75
.LBB99_100:
	ds_read_b64 v[74:75], v76
.LBB99_101:
	s_and_saveexec_b64 s[12:13], s[6:7]
	s_cbranch_execz .LBB99_105
; %bb.102:
	v_subrev_u32_e32 v103, 25, v0
	s_movk_i32 s14, 0x1e8
	s_mov_b64 s[6:7], 0
.LBB99_103:                             ; =>This Inner Loop Header: Depth=1
	buffer_load_dword v104, v102, s[0:3], 0 offen
	buffer_load_dword v105, v102, s[0:3], 0 offen offset:4
	v_mov_b32_e32 v106, s14
	ds_read_b64 v[106:107], v106
	v_add_u32_e32 v103, -1, v103
	s_add_i32 s14, s14, 8
	v_cmp_eq_u32_e32 vcc, 0, v103
	v_add_u32_e32 v102, 8, v102
	s_or_b64 s[6:7], vcc, s[6:7]
	s_waitcnt vmcnt(0) lgkmcnt(0)
	v_fmac_f64_e32 v[74:75], v[104:105], v[106:107]
	s_andn2_b64 exec, exec, s[6:7]
	s_cbranch_execnz .LBB99_103
; %bb.104:
	s_or_b64 exec, exec, s[6:7]
.LBB99_105:
	s_or_b64 exec, exec, s[12:13]
	v_mov_b32_e32 v102, 0
	ds_read_b64 v[102:103], v102 offset:192
	s_waitcnt lgkmcnt(0)
	v_mul_f64 v[74:75], v[74:75], v[102:103]
	buffer_store_dword v75, off, s[0:3], 0 offset:196
	buffer_store_dword v74, off, s[0:3], 0 offset:192
.LBB99_106:
	s_or_b64 exec, exec, s[10:11]
	buffer_load_dword v74, off, s[0:3], 0 offset:184
	buffer_load_dword v75, off, s[0:3], 0 offset:188
	v_cmp_lt_u32_e64 s[6:7], 23, v0
	s_waitcnt vmcnt(0)
	ds_write_b64 v76, v[74:75]
	s_waitcnt lgkmcnt(0)
	; wave barrier
	s_waitcnt lgkmcnt(0)
	s_and_saveexec_b64 s[10:11], s[6:7]
	s_cbranch_execz .LBB99_116
; %bb.107:
	s_andn2_b64 vcc, exec, s[8:9]
	s_cbranch_vccnz .LBB99_109
; %bb.108:
	buffer_load_dword v74, v77, s[0:3], 0 offen
	buffer_load_dword v75, v77, s[0:3], 0 offen offset:4
	ds_read_b64 v[102:103], v76
	s_waitcnt vmcnt(0) lgkmcnt(0)
	v_mul_f64 v[74:75], v[74:75], v[102:103]
	s_cbranch_execz .LBB99_110
	s_branch .LBB99_111
.LBB99_109:
                                        ; implicit-def: $vgpr74_vgpr75
.LBB99_110:
	ds_read_b64 v[74:75], v76
.LBB99_111:
	s_and_saveexec_b64 s[12:13], s[4:5]
	s_cbranch_execz .LBB99_115
; %bb.112:
	v_subrev_u32_e32 v102, 24, v0
	s_movk_i32 s14, 0x1e0
	s_mov_b64 s[4:5], 0
.LBB99_113:                             ; =>This Inner Loop Header: Depth=1
	buffer_load_dword v104, v101, s[0:3], 0 offen
	buffer_load_dword v105, v101, s[0:3], 0 offen offset:4
	v_mov_b32_e32 v103, s14
	ds_read_b64 v[106:107], v103
	v_add_u32_e32 v102, -1, v102
	s_add_i32 s14, s14, 8
	v_cmp_eq_u32_e32 vcc, 0, v102
	v_add_u32_e32 v101, 8, v101
	s_or_b64 s[4:5], vcc, s[4:5]
	s_waitcnt vmcnt(0) lgkmcnt(0)
	v_fmac_f64_e32 v[74:75], v[104:105], v[106:107]
	s_andn2_b64 exec, exec, s[4:5]
	s_cbranch_execnz .LBB99_113
; %bb.114:
	s_or_b64 exec, exec, s[4:5]
.LBB99_115:
	s_or_b64 exec, exec, s[12:13]
	v_mov_b32_e32 v101, 0
	ds_read_b64 v[102:103], v101 offset:184
	s_waitcnt lgkmcnt(0)
	v_mul_f64 v[74:75], v[74:75], v[102:103]
	buffer_store_dword v75, off, s[0:3], 0 offset:188
	buffer_store_dword v74, off, s[0:3], 0 offset:184
.LBB99_116:
	;; [unrolled: 58-line block ×9, first 2 shown]
	s_or_b64 exec, exec, s[10:11]
	buffer_load_dword v74, off, s[0:3], 0 offset:120
	buffer_load_dword v75, off, s[0:3], 0 offset:124
	v_cmp_lt_u32_e64 s[6:7], 15, v0
	s_waitcnt vmcnt(0)
	ds_write_b64 v76, v[74:75]
	s_waitcnt lgkmcnt(0)
	; wave barrier
	s_waitcnt lgkmcnt(0)
	s_and_saveexec_b64 s[10:11], s[6:7]
	s_cbranch_execz .LBB99_196
; %bb.187:
	s_andn2_b64 vcc, exec, s[8:9]
	s_cbranch_vccnz .LBB99_189
; %bb.188:
	buffer_load_dword v74, v77, s[0:3], 0 offen
	buffer_load_dword v75, v77, s[0:3], 0 offen offset:4
	ds_read_b64 v[94:95], v76
	s_waitcnt vmcnt(0) lgkmcnt(0)
	v_mul_f64 v[74:75], v[74:75], v[94:95]
	s_cbranch_execz .LBB99_190
	s_branch .LBB99_191
.LBB99_189:
                                        ; implicit-def: $vgpr74_vgpr75
.LBB99_190:
	ds_read_b64 v[74:75], v76
.LBB99_191:
	s_and_saveexec_b64 s[12:13], s[4:5]
	s_cbranch_execz .LBB99_195
; %bb.192:
	v_add_u32_e32 v94, -16, v0
	s_movk_i32 s14, 0x1a0
	s_mov_b64 s[4:5], 0
.LBB99_193:                             ; =>This Inner Loop Header: Depth=1
	buffer_load_dword v96, v93, s[0:3], 0 offen
	buffer_load_dword v97, v93, s[0:3], 0 offen offset:4
	v_mov_b32_e32 v95, s14
	ds_read_b64 v[98:99], v95
	v_add_u32_e32 v94, -1, v94
	s_add_i32 s14, s14, 8
	v_cmp_eq_u32_e32 vcc, 0, v94
	v_add_u32_e32 v93, 8, v93
	s_or_b64 s[4:5], vcc, s[4:5]
	s_waitcnt vmcnt(0) lgkmcnt(0)
	v_fmac_f64_e32 v[74:75], v[96:97], v[98:99]
	s_andn2_b64 exec, exec, s[4:5]
	s_cbranch_execnz .LBB99_193
; %bb.194:
	s_or_b64 exec, exec, s[4:5]
.LBB99_195:
	s_or_b64 exec, exec, s[12:13]
	v_mov_b32_e32 v93, 0
	ds_read_b64 v[94:95], v93 offset:120
	s_waitcnt lgkmcnt(0)
	v_mul_f64 v[74:75], v[74:75], v[94:95]
	buffer_store_dword v75, off, s[0:3], 0 offset:124
	buffer_store_dword v74, off, s[0:3], 0 offset:120
.LBB99_196:
	s_or_b64 exec, exec, s[10:11]
	buffer_load_dword v74, off, s[0:3], 0 offset:112
	buffer_load_dword v75, off, s[0:3], 0 offset:116
	v_cmp_lt_u32_e64 s[4:5], 14, v0
	s_waitcnt vmcnt(0)
	ds_write_b64 v76, v[74:75]
	s_waitcnt lgkmcnt(0)
	; wave barrier
	s_waitcnt lgkmcnt(0)
	s_and_saveexec_b64 s[10:11], s[4:5]
	s_cbranch_execz .LBB99_206
; %bb.197:
	s_andn2_b64 vcc, exec, s[8:9]
	s_cbranch_vccnz .LBB99_199
; %bb.198:
	buffer_load_dword v74, v77, s[0:3], 0 offen
	buffer_load_dword v75, v77, s[0:3], 0 offen offset:4
	ds_read_b64 v[94:95], v76
	s_waitcnt vmcnt(0) lgkmcnt(0)
	v_mul_f64 v[74:75], v[74:75], v[94:95]
	s_cbranch_execz .LBB99_200
	s_branch .LBB99_201
.LBB99_199:
                                        ; implicit-def: $vgpr74_vgpr75
.LBB99_200:
	ds_read_b64 v[74:75], v76
.LBB99_201:
	s_and_saveexec_b64 s[12:13], s[6:7]
	s_cbranch_execz .LBB99_205
; %bb.202:
	v_add_u32_e32 v93, -15, v0
	s_movk_i32 s14, 0x198
	s_mov_b64 s[6:7], 0
.LBB99_203:                             ; =>This Inner Loop Header: Depth=1
	buffer_load_dword v94, v92, s[0:3], 0 offen
	buffer_load_dword v95, v92, s[0:3], 0 offen offset:4
	v_mov_b32_e32 v96, s14
	ds_read_b64 v[96:97], v96
	v_add_u32_e32 v93, -1, v93
	s_add_i32 s14, s14, 8
	v_cmp_eq_u32_e32 vcc, 0, v93
	v_add_u32_e32 v92, 8, v92
	s_or_b64 s[6:7], vcc, s[6:7]
	s_waitcnt vmcnt(0) lgkmcnt(0)
	v_fmac_f64_e32 v[74:75], v[94:95], v[96:97]
	s_andn2_b64 exec, exec, s[6:7]
	s_cbranch_execnz .LBB99_203
; %bb.204:
	s_or_b64 exec, exec, s[6:7]
.LBB99_205:
	s_or_b64 exec, exec, s[12:13]
	v_mov_b32_e32 v92, 0
	ds_read_b64 v[92:93], v92 offset:112
	s_waitcnt lgkmcnt(0)
	v_mul_f64 v[74:75], v[74:75], v[92:93]
	buffer_store_dword v75, off, s[0:3], 0 offset:116
	buffer_store_dword v74, off, s[0:3], 0 offset:112
.LBB99_206:
	s_or_b64 exec, exec, s[10:11]
	buffer_load_dword v74, off, s[0:3], 0 offset:104
	buffer_load_dword v75, off, s[0:3], 0 offset:108
	v_cmp_lt_u32_e64 s[6:7], 13, v0
	s_waitcnt vmcnt(0)
	ds_write_b64 v76, v[74:75]
	s_waitcnt lgkmcnt(0)
	; wave barrier
	s_waitcnt lgkmcnt(0)
	s_and_saveexec_b64 s[10:11], s[6:7]
	s_cbranch_execz .LBB99_216
; %bb.207:
	s_andn2_b64 vcc, exec, s[8:9]
	s_cbranch_vccnz .LBB99_209
; %bb.208:
	buffer_load_dword v74, v77, s[0:3], 0 offen
	buffer_load_dword v75, v77, s[0:3], 0 offen offset:4
	ds_read_b64 v[92:93], v76
	s_waitcnt vmcnt(0) lgkmcnt(0)
	v_mul_f64 v[74:75], v[74:75], v[92:93]
	s_cbranch_execz .LBB99_210
	s_branch .LBB99_211
.LBB99_209:
                                        ; implicit-def: $vgpr74_vgpr75
.LBB99_210:
	ds_read_b64 v[74:75], v76
.LBB99_211:
	s_and_saveexec_b64 s[12:13], s[4:5]
	s_cbranch_execz .LBB99_215
; %bb.212:
	v_add_u32_e32 v92, -14, v0
	s_movk_i32 s14, 0x190
	s_mov_b64 s[4:5], 0
.LBB99_213:                             ; =>This Inner Loop Header: Depth=1
	buffer_load_dword v94, v91, s[0:3], 0 offen
	buffer_load_dword v95, v91, s[0:3], 0 offen offset:4
	v_mov_b32_e32 v93, s14
	ds_read_b64 v[96:97], v93
	v_add_u32_e32 v92, -1, v92
	s_add_i32 s14, s14, 8
	v_cmp_eq_u32_e32 vcc, 0, v92
	v_add_u32_e32 v91, 8, v91
	s_or_b64 s[4:5], vcc, s[4:5]
	s_waitcnt vmcnt(0) lgkmcnt(0)
	v_fmac_f64_e32 v[74:75], v[94:95], v[96:97]
	s_andn2_b64 exec, exec, s[4:5]
	s_cbranch_execnz .LBB99_213
; %bb.214:
	s_or_b64 exec, exec, s[4:5]
.LBB99_215:
	s_or_b64 exec, exec, s[12:13]
	v_mov_b32_e32 v91, 0
	ds_read_b64 v[92:93], v91 offset:104
	s_waitcnt lgkmcnt(0)
	v_mul_f64 v[74:75], v[74:75], v[92:93]
	buffer_store_dword v75, off, s[0:3], 0 offset:108
	buffer_store_dword v74, off, s[0:3], 0 offset:104
.LBB99_216:
	s_or_b64 exec, exec, s[10:11]
	buffer_load_dword v74, off, s[0:3], 0 offset:96
	buffer_load_dword v75, off, s[0:3], 0 offset:100
	v_cmp_lt_u32_e64 s[4:5], 12, v0
	s_waitcnt vmcnt(0)
	ds_write_b64 v76, v[74:75]
	s_waitcnt lgkmcnt(0)
	; wave barrier
	s_waitcnt lgkmcnt(0)
	s_and_saveexec_b64 s[10:11], s[4:5]
	s_cbranch_execz .LBB99_226
; %bb.217:
	s_andn2_b64 vcc, exec, s[8:9]
	s_cbranch_vccnz .LBB99_219
; %bb.218:
	buffer_load_dword v74, v77, s[0:3], 0 offen
	buffer_load_dword v75, v77, s[0:3], 0 offen offset:4
	ds_read_b64 v[92:93], v76
	s_waitcnt vmcnt(0) lgkmcnt(0)
	v_mul_f64 v[74:75], v[74:75], v[92:93]
	s_cbranch_execz .LBB99_220
	s_branch .LBB99_221
.LBB99_219:
                                        ; implicit-def: $vgpr74_vgpr75
.LBB99_220:
	ds_read_b64 v[74:75], v76
.LBB99_221:
	s_and_saveexec_b64 s[12:13], s[6:7]
	s_cbranch_execz .LBB99_225
; %bb.222:
	v_add_u32_e32 v91, -13, v0
	s_movk_i32 s14, 0x188
	s_mov_b64 s[6:7], 0
.LBB99_223:                             ; =>This Inner Loop Header: Depth=1
	buffer_load_dword v92, v90, s[0:3], 0 offen
	buffer_load_dword v93, v90, s[0:3], 0 offen offset:4
	v_mov_b32_e32 v94, s14
	ds_read_b64 v[94:95], v94
	v_add_u32_e32 v91, -1, v91
	s_add_i32 s14, s14, 8
	v_cmp_eq_u32_e32 vcc, 0, v91
	v_add_u32_e32 v90, 8, v90
	s_or_b64 s[6:7], vcc, s[6:7]
	s_waitcnt vmcnt(0) lgkmcnt(0)
	v_fmac_f64_e32 v[74:75], v[92:93], v[94:95]
	s_andn2_b64 exec, exec, s[6:7]
	s_cbranch_execnz .LBB99_223
; %bb.224:
	s_or_b64 exec, exec, s[6:7]
.LBB99_225:
	s_or_b64 exec, exec, s[12:13]
	v_mov_b32_e32 v90, 0
	ds_read_b64 v[90:91], v90 offset:96
	s_waitcnt lgkmcnt(0)
	v_mul_f64 v[74:75], v[74:75], v[90:91]
	buffer_store_dword v75, off, s[0:3], 0 offset:100
	buffer_store_dword v74, off, s[0:3], 0 offset:96
.LBB99_226:
	s_or_b64 exec, exec, s[10:11]
	buffer_load_dword v74, off, s[0:3], 0 offset:88
	buffer_load_dword v75, off, s[0:3], 0 offset:92
	v_cmp_lt_u32_e64 s[6:7], 11, v0
	s_waitcnt vmcnt(0)
	ds_write_b64 v76, v[74:75]
	s_waitcnt lgkmcnt(0)
	; wave barrier
	s_waitcnt lgkmcnt(0)
	s_and_saveexec_b64 s[10:11], s[6:7]
	s_cbranch_execz .LBB99_236
; %bb.227:
	s_andn2_b64 vcc, exec, s[8:9]
	s_cbranch_vccnz .LBB99_229
; %bb.228:
	buffer_load_dword v74, v77, s[0:3], 0 offen
	buffer_load_dword v75, v77, s[0:3], 0 offen offset:4
	ds_read_b64 v[90:91], v76
	s_waitcnt vmcnt(0) lgkmcnt(0)
	v_mul_f64 v[74:75], v[74:75], v[90:91]
	s_cbranch_execz .LBB99_230
	s_branch .LBB99_231
.LBB99_229:
                                        ; implicit-def: $vgpr74_vgpr75
.LBB99_230:
	ds_read_b64 v[74:75], v76
.LBB99_231:
	s_and_saveexec_b64 s[12:13], s[4:5]
	s_cbranch_execz .LBB99_235
; %bb.232:
	v_add_u32_e32 v90, -12, v0
	s_movk_i32 s14, 0x180
	s_mov_b64 s[4:5], 0
.LBB99_233:                             ; =>This Inner Loop Header: Depth=1
	buffer_load_dword v92, v89, s[0:3], 0 offen
	buffer_load_dword v93, v89, s[0:3], 0 offen offset:4
	v_mov_b32_e32 v91, s14
	ds_read_b64 v[94:95], v91
	v_add_u32_e32 v90, -1, v90
	s_add_i32 s14, s14, 8
	v_cmp_eq_u32_e32 vcc, 0, v90
	v_add_u32_e32 v89, 8, v89
	s_or_b64 s[4:5], vcc, s[4:5]
	s_waitcnt vmcnt(0) lgkmcnt(0)
	v_fmac_f64_e32 v[74:75], v[92:93], v[94:95]
	s_andn2_b64 exec, exec, s[4:5]
	s_cbranch_execnz .LBB99_233
; %bb.234:
	s_or_b64 exec, exec, s[4:5]
.LBB99_235:
	s_or_b64 exec, exec, s[12:13]
	v_mov_b32_e32 v89, 0
	ds_read_b64 v[90:91], v89 offset:88
	s_waitcnt lgkmcnt(0)
	v_mul_f64 v[74:75], v[74:75], v[90:91]
	buffer_store_dword v75, off, s[0:3], 0 offset:92
	buffer_store_dword v74, off, s[0:3], 0 offset:88
.LBB99_236:
	s_or_b64 exec, exec, s[10:11]
	buffer_load_dword v74, off, s[0:3], 0 offset:80
	buffer_load_dword v75, off, s[0:3], 0 offset:84
	v_cmp_lt_u32_e64 s[4:5], 10, v0
	s_waitcnt vmcnt(0)
	ds_write_b64 v76, v[74:75]
	s_waitcnt lgkmcnt(0)
	; wave barrier
	s_waitcnt lgkmcnt(0)
	s_and_saveexec_b64 s[10:11], s[4:5]
	s_cbranch_execz .LBB99_246
; %bb.237:
	s_andn2_b64 vcc, exec, s[8:9]
	s_cbranch_vccnz .LBB99_239
; %bb.238:
	buffer_load_dword v74, v77, s[0:3], 0 offen
	buffer_load_dword v75, v77, s[0:3], 0 offen offset:4
	ds_read_b64 v[90:91], v76
	s_waitcnt vmcnt(0) lgkmcnt(0)
	v_mul_f64 v[74:75], v[74:75], v[90:91]
	s_cbranch_execz .LBB99_240
	s_branch .LBB99_241
.LBB99_239:
                                        ; implicit-def: $vgpr74_vgpr75
.LBB99_240:
	ds_read_b64 v[74:75], v76
.LBB99_241:
	s_and_saveexec_b64 s[12:13], s[6:7]
	s_cbranch_execz .LBB99_245
; %bb.242:
	v_add_u32_e32 v89, -11, v0
	s_movk_i32 s14, 0x178
	s_mov_b64 s[6:7], 0
.LBB99_243:                             ; =>This Inner Loop Header: Depth=1
	buffer_load_dword v90, v88, s[0:3], 0 offen
	buffer_load_dword v91, v88, s[0:3], 0 offen offset:4
	v_mov_b32_e32 v92, s14
	ds_read_b64 v[92:93], v92
	v_add_u32_e32 v89, -1, v89
	s_add_i32 s14, s14, 8
	v_cmp_eq_u32_e32 vcc, 0, v89
	v_add_u32_e32 v88, 8, v88
	s_or_b64 s[6:7], vcc, s[6:7]
	s_waitcnt vmcnt(0) lgkmcnt(0)
	v_fmac_f64_e32 v[74:75], v[90:91], v[92:93]
	s_andn2_b64 exec, exec, s[6:7]
	s_cbranch_execnz .LBB99_243
; %bb.244:
	s_or_b64 exec, exec, s[6:7]
.LBB99_245:
	s_or_b64 exec, exec, s[12:13]
	v_mov_b32_e32 v88, 0
	ds_read_b64 v[88:89], v88 offset:80
	s_waitcnt lgkmcnt(0)
	v_mul_f64 v[74:75], v[74:75], v[88:89]
	buffer_store_dword v75, off, s[0:3], 0 offset:84
	buffer_store_dword v74, off, s[0:3], 0 offset:80
.LBB99_246:
	s_or_b64 exec, exec, s[10:11]
	buffer_load_dword v74, off, s[0:3], 0 offset:72
	buffer_load_dword v75, off, s[0:3], 0 offset:76
	v_cmp_lt_u32_e64 s[6:7], 9, v0
	s_waitcnt vmcnt(0)
	ds_write_b64 v76, v[74:75]
	s_waitcnt lgkmcnt(0)
	; wave barrier
	s_waitcnt lgkmcnt(0)
	s_and_saveexec_b64 s[10:11], s[6:7]
	s_cbranch_execz .LBB99_256
; %bb.247:
	s_andn2_b64 vcc, exec, s[8:9]
	s_cbranch_vccnz .LBB99_249
; %bb.248:
	buffer_load_dword v74, v77, s[0:3], 0 offen
	buffer_load_dword v75, v77, s[0:3], 0 offen offset:4
	ds_read_b64 v[88:89], v76
	s_waitcnt vmcnt(0) lgkmcnt(0)
	v_mul_f64 v[74:75], v[74:75], v[88:89]
	s_cbranch_execz .LBB99_250
	s_branch .LBB99_251
.LBB99_249:
                                        ; implicit-def: $vgpr74_vgpr75
.LBB99_250:
	ds_read_b64 v[74:75], v76
.LBB99_251:
	s_and_saveexec_b64 s[12:13], s[4:5]
	s_cbranch_execz .LBB99_255
; %bb.252:
	v_add_u32_e32 v88, -10, v0
	s_movk_i32 s14, 0x170
	s_mov_b64 s[4:5], 0
.LBB99_253:                             ; =>This Inner Loop Header: Depth=1
	buffer_load_dword v90, v87, s[0:3], 0 offen
	buffer_load_dword v91, v87, s[0:3], 0 offen offset:4
	v_mov_b32_e32 v89, s14
	ds_read_b64 v[92:93], v89
	v_add_u32_e32 v88, -1, v88
	s_add_i32 s14, s14, 8
	v_cmp_eq_u32_e32 vcc, 0, v88
	v_add_u32_e32 v87, 8, v87
	s_or_b64 s[4:5], vcc, s[4:5]
	s_waitcnt vmcnt(0) lgkmcnt(0)
	v_fmac_f64_e32 v[74:75], v[90:91], v[92:93]
	s_andn2_b64 exec, exec, s[4:5]
	s_cbranch_execnz .LBB99_253
; %bb.254:
	s_or_b64 exec, exec, s[4:5]
.LBB99_255:
	s_or_b64 exec, exec, s[12:13]
	v_mov_b32_e32 v87, 0
	ds_read_b64 v[88:89], v87 offset:72
	s_waitcnt lgkmcnt(0)
	v_mul_f64 v[74:75], v[74:75], v[88:89]
	buffer_store_dword v75, off, s[0:3], 0 offset:76
	buffer_store_dword v74, off, s[0:3], 0 offset:72
.LBB99_256:
	s_or_b64 exec, exec, s[10:11]
	buffer_load_dword v74, off, s[0:3], 0 offset:64
	buffer_load_dword v75, off, s[0:3], 0 offset:68
	v_cmp_lt_u32_e64 s[4:5], 8, v0
	s_waitcnt vmcnt(0)
	ds_write_b64 v76, v[74:75]
	s_waitcnt lgkmcnt(0)
	; wave barrier
	s_waitcnt lgkmcnt(0)
	s_and_saveexec_b64 s[10:11], s[4:5]
	s_cbranch_execz .LBB99_266
; %bb.257:
	s_andn2_b64 vcc, exec, s[8:9]
	s_cbranch_vccnz .LBB99_259
; %bb.258:
	buffer_load_dword v74, v77, s[0:3], 0 offen
	buffer_load_dword v75, v77, s[0:3], 0 offen offset:4
	ds_read_b64 v[88:89], v76
	s_waitcnt vmcnt(0) lgkmcnt(0)
	v_mul_f64 v[74:75], v[74:75], v[88:89]
	s_cbranch_execz .LBB99_260
	s_branch .LBB99_261
.LBB99_259:
                                        ; implicit-def: $vgpr74_vgpr75
.LBB99_260:
	ds_read_b64 v[74:75], v76
.LBB99_261:
	s_and_saveexec_b64 s[12:13], s[6:7]
	s_cbranch_execz .LBB99_265
; %bb.262:
	v_add_u32_e32 v87, -9, v0
	s_movk_i32 s14, 0x168
	s_mov_b64 s[6:7], 0
.LBB99_263:                             ; =>This Inner Loop Header: Depth=1
	buffer_load_dword v88, v86, s[0:3], 0 offen
	buffer_load_dword v89, v86, s[0:3], 0 offen offset:4
	v_mov_b32_e32 v90, s14
	ds_read_b64 v[90:91], v90
	v_add_u32_e32 v87, -1, v87
	s_add_i32 s14, s14, 8
	v_cmp_eq_u32_e32 vcc, 0, v87
	v_add_u32_e32 v86, 8, v86
	s_or_b64 s[6:7], vcc, s[6:7]
	s_waitcnt vmcnt(0) lgkmcnt(0)
	v_fmac_f64_e32 v[74:75], v[88:89], v[90:91]
	s_andn2_b64 exec, exec, s[6:7]
	s_cbranch_execnz .LBB99_263
; %bb.264:
	s_or_b64 exec, exec, s[6:7]
.LBB99_265:
	s_or_b64 exec, exec, s[12:13]
	v_mov_b32_e32 v86, 0
	ds_read_b64 v[86:87], v86 offset:64
	s_waitcnt lgkmcnt(0)
	v_mul_f64 v[74:75], v[74:75], v[86:87]
	buffer_store_dword v75, off, s[0:3], 0 offset:68
	buffer_store_dword v74, off, s[0:3], 0 offset:64
.LBB99_266:
	s_or_b64 exec, exec, s[10:11]
	buffer_load_dword v74, off, s[0:3], 0 offset:56
	buffer_load_dword v75, off, s[0:3], 0 offset:60
	v_cmp_lt_u32_e64 s[6:7], 7, v0
	s_waitcnt vmcnt(0)
	ds_write_b64 v76, v[74:75]
	s_waitcnt lgkmcnt(0)
	; wave barrier
	s_waitcnt lgkmcnt(0)
	s_and_saveexec_b64 s[10:11], s[6:7]
	s_cbranch_execz .LBB99_276
; %bb.267:
	s_andn2_b64 vcc, exec, s[8:9]
	s_cbranch_vccnz .LBB99_269
; %bb.268:
	buffer_load_dword v74, v77, s[0:3], 0 offen
	buffer_load_dword v75, v77, s[0:3], 0 offen offset:4
	ds_read_b64 v[86:87], v76
	s_waitcnt vmcnt(0) lgkmcnt(0)
	v_mul_f64 v[74:75], v[74:75], v[86:87]
	s_cbranch_execz .LBB99_270
	s_branch .LBB99_271
.LBB99_269:
                                        ; implicit-def: $vgpr74_vgpr75
.LBB99_270:
	ds_read_b64 v[74:75], v76
.LBB99_271:
	s_and_saveexec_b64 s[12:13], s[4:5]
	s_cbranch_execz .LBB99_275
; %bb.272:
	v_add_u32_e32 v86, -8, v0
	s_movk_i32 s14, 0x160
	s_mov_b64 s[4:5], 0
.LBB99_273:                             ; =>This Inner Loop Header: Depth=1
	buffer_load_dword v88, v85, s[0:3], 0 offen
	buffer_load_dword v89, v85, s[0:3], 0 offen offset:4
	v_mov_b32_e32 v87, s14
	ds_read_b64 v[90:91], v87
	v_add_u32_e32 v86, -1, v86
	s_add_i32 s14, s14, 8
	v_cmp_eq_u32_e32 vcc, 0, v86
	v_add_u32_e32 v85, 8, v85
	s_or_b64 s[4:5], vcc, s[4:5]
	s_waitcnt vmcnt(0) lgkmcnt(0)
	v_fmac_f64_e32 v[74:75], v[88:89], v[90:91]
	s_andn2_b64 exec, exec, s[4:5]
	s_cbranch_execnz .LBB99_273
; %bb.274:
	s_or_b64 exec, exec, s[4:5]
.LBB99_275:
	s_or_b64 exec, exec, s[12:13]
	v_mov_b32_e32 v85, 0
	ds_read_b64 v[86:87], v85 offset:56
	s_waitcnt lgkmcnt(0)
	v_mul_f64 v[74:75], v[74:75], v[86:87]
	buffer_store_dword v75, off, s[0:3], 0 offset:60
	buffer_store_dword v74, off, s[0:3], 0 offset:56
.LBB99_276:
	s_or_b64 exec, exec, s[10:11]
	buffer_load_dword v74, off, s[0:3], 0 offset:48
	buffer_load_dword v75, off, s[0:3], 0 offset:52
	v_cmp_lt_u32_e64 s[4:5], 6, v0
	s_waitcnt vmcnt(0)
	ds_write_b64 v76, v[74:75]
	s_waitcnt lgkmcnt(0)
	; wave barrier
	s_waitcnt lgkmcnt(0)
	s_and_saveexec_b64 s[10:11], s[4:5]
	s_cbranch_execz .LBB99_286
; %bb.277:
	s_andn2_b64 vcc, exec, s[8:9]
	s_cbranch_vccnz .LBB99_279
; %bb.278:
	buffer_load_dword v74, v77, s[0:3], 0 offen
	buffer_load_dword v75, v77, s[0:3], 0 offen offset:4
	ds_read_b64 v[86:87], v76
	s_waitcnt vmcnt(0) lgkmcnt(0)
	v_mul_f64 v[74:75], v[74:75], v[86:87]
	s_cbranch_execz .LBB99_280
	s_branch .LBB99_281
.LBB99_279:
                                        ; implicit-def: $vgpr74_vgpr75
.LBB99_280:
	ds_read_b64 v[74:75], v76
.LBB99_281:
	s_and_saveexec_b64 s[12:13], s[6:7]
	s_cbranch_execz .LBB99_285
; %bb.282:
	v_add_u32_e32 v85, -7, v0
	s_movk_i32 s14, 0x158
	s_mov_b64 s[6:7], 0
.LBB99_283:                             ; =>This Inner Loop Header: Depth=1
	buffer_load_dword v86, v84, s[0:3], 0 offen
	buffer_load_dword v87, v84, s[0:3], 0 offen offset:4
	v_mov_b32_e32 v88, s14
	ds_read_b64 v[88:89], v88
	v_add_u32_e32 v85, -1, v85
	s_add_i32 s14, s14, 8
	v_cmp_eq_u32_e32 vcc, 0, v85
	v_add_u32_e32 v84, 8, v84
	s_or_b64 s[6:7], vcc, s[6:7]
	s_waitcnt vmcnt(0) lgkmcnt(0)
	v_fmac_f64_e32 v[74:75], v[86:87], v[88:89]
	s_andn2_b64 exec, exec, s[6:7]
	s_cbranch_execnz .LBB99_283
; %bb.284:
	s_or_b64 exec, exec, s[6:7]
.LBB99_285:
	s_or_b64 exec, exec, s[12:13]
	v_mov_b32_e32 v84, 0
	ds_read_b64 v[84:85], v84 offset:48
	s_waitcnt lgkmcnt(0)
	v_mul_f64 v[74:75], v[74:75], v[84:85]
	buffer_store_dword v75, off, s[0:3], 0 offset:52
	buffer_store_dword v74, off, s[0:3], 0 offset:48
.LBB99_286:
	s_or_b64 exec, exec, s[10:11]
	buffer_load_dword v74, off, s[0:3], 0 offset:40
	buffer_load_dword v75, off, s[0:3], 0 offset:44
	v_cmp_lt_u32_e64 s[6:7], 5, v0
	s_waitcnt vmcnt(0)
	ds_write_b64 v76, v[74:75]
	s_waitcnt lgkmcnt(0)
	; wave barrier
	s_waitcnt lgkmcnt(0)
	s_and_saveexec_b64 s[10:11], s[6:7]
	s_cbranch_execz .LBB99_296
; %bb.287:
	s_andn2_b64 vcc, exec, s[8:9]
	s_cbranch_vccnz .LBB99_289
; %bb.288:
	buffer_load_dword v74, v77, s[0:3], 0 offen
	buffer_load_dword v75, v77, s[0:3], 0 offen offset:4
	ds_read_b64 v[84:85], v76
	s_waitcnt vmcnt(0) lgkmcnt(0)
	v_mul_f64 v[74:75], v[74:75], v[84:85]
	s_cbranch_execz .LBB99_290
	s_branch .LBB99_291
.LBB99_289:
                                        ; implicit-def: $vgpr74_vgpr75
.LBB99_290:
	ds_read_b64 v[74:75], v76
.LBB99_291:
	s_and_saveexec_b64 s[12:13], s[4:5]
	s_cbranch_execz .LBB99_295
; %bb.292:
	v_add_u32_e32 v84, -6, v0
	s_movk_i32 s14, 0x150
	s_mov_b64 s[4:5], 0
.LBB99_293:                             ; =>This Inner Loop Header: Depth=1
	buffer_load_dword v86, v83, s[0:3], 0 offen
	buffer_load_dword v87, v83, s[0:3], 0 offen offset:4
	v_mov_b32_e32 v85, s14
	ds_read_b64 v[88:89], v85
	v_add_u32_e32 v84, -1, v84
	s_add_i32 s14, s14, 8
	v_cmp_eq_u32_e32 vcc, 0, v84
	v_add_u32_e32 v83, 8, v83
	s_or_b64 s[4:5], vcc, s[4:5]
	s_waitcnt vmcnt(0) lgkmcnt(0)
	v_fmac_f64_e32 v[74:75], v[86:87], v[88:89]
	s_andn2_b64 exec, exec, s[4:5]
	s_cbranch_execnz .LBB99_293
; %bb.294:
	s_or_b64 exec, exec, s[4:5]
.LBB99_295:
	s_or_b64 exec, exec, s[12:13]
	v_mov_b32_e32 v83, 0
	ds_read_b64 v[84:85], v83 offset:40
	s_waitcnt lgkmcnt(0)
	v_mul_f64 v[74:75], v[74:75], v[84:85]
	buffer_store_dword v75, off, s[0:3], 0 offset:44
	buffer_store_dword v74, off, s[0:3], 0 offset:40
.LBB99_296:
	s_or_b64 exec, exec, s[10:11]
	buffer_load_dword v74, off, s[0:3], 0 offset:32
	buffer_load_dword v75, off, s[0:3], 0 offset:36
	v_cmp_lt_u32_e64 s[4:5], 4, v0
	s_waitcnt vmcnt(0)
	ds_write_b64 v76, v[74:75]
	s_waitcnt lgkmcnt(0)
	; wave barrier
	s_waitcnt lgkmcnt(0)
	s_and_saveexec_b64 s[10:11], s[4:5]
	s_cbranch_execz .LBB99_306
; %bb.297:
	s_andn2_b64 vcc, exec, s[8:9]
	s_cbranch_vccnz .LBB99_299
; %bb.298:
	buffer_load_dword v74, v77, s[0:3], 0 offen
	buffer_load_dword v75, v77, s[0:3], 0 offen offset:4
	ds_read_b64 v[84:85], v76
	s_waitcnt vmcnt(0) lgkmcnt(0)
	v_mul_f64 v[74:75], v[74:75], v[84:85]
	s_cbranch_execz .LBB99_300
	s_branch .LBB99_301
.LBB99_299:
                                        ; implicit-def: $vgpr74_vgpr75
.LBB99_300:
	ds_read_b64 v[74:75], v76
.LBB99_301:
	s_and_saveexec_b64 s[12:13], s[6:7]
	s_cbranch_execz .LBB99_305
; %bb.302:
	v_add_u32_e32 v83, -5, v0
	s_movk_i32 s14, 0x148
	s_mov_b64 s[6:7], 0
.LBB99_303:                             ; =>This Inner Loop Header: Depth=1
	buffer_load_dword v84, v82, s[0:3], 0 offen
	buffer_load_dword v85, v82, s[0:3], 0 offen offset:4
	v_mov_b32_e32 v86, s14
	ds_read_b64 v[86:87], v86
	v_add_u32_e32 v83, -1, v83
	s_add_i32 s14, s14, 8
	v_cmp_eq_u32_e32 vcc, 0, v83
	v_add_u32_e32 v82, 8, v82
	s_or_b64 s[6:7], vcc, s[6:7]
	s_waitcnt vmcnt(0) lgkmcnt(0)
	v_fmac_f64_e32 v[74:75], v[84:85], v[86:87]
	s_andn2_b64 exec, exec, s[6:7]
	s_cbranch_execnz .LBB99_303
; %bb.304:
	s_or_b64 exec, exec, s[6:7]
.LBB99_305:
	s_or_b64 exec, exec, s[12:13]
	v_mov_b32_e32 v82, 0
	ds_read_b64 v[82:83], v82 offset:32
	s_waitcnt lgkmcnt(0)
	v_mul_f64 v[74:75], v[74:75], v[82:83]
	buffer_store_dword v75, off, s[0:3], 0 offset:36
	buffer_store_dword v74, off, s[0:3], 0 offset:32
.LBB99_306:
	s_or_b64 exec, exec, s[10:11]
	buffer_load_dword v74, off, s[0:3], 0 offset:24
	buffer_load_dword v75, off, s[0:3], 0 offset:28
	v_cmp_lt_u32_e64 s[6:7], 3, v0
	s_waitcnt vmcnt(0)
	ds_write_b64 v76, v[74:75]
	s_waitcnt lgkmcnt(0)
	; wave barrier
	s_waitcnt lgkmcnt(0)
	s_and_saveexec_b64 s[10:11], s[6:7]
	s_cbranch_execz .LBB99_316
; %bb.307:
	s_andn2_b64 vcc, exec, s[8:9]
	s_cbranch_vccnz .LBB99_309
; %bb.308:
	buffer_load_dword v74, v77, s[0:3], 0 offen
	buffer_load_dword v75, v77, s[0:3], 0 offen offset:4
	ds_read_b64 v[82:83], v76
	s_waitcnt vmcnt(0) lgkmcnt(0)
	v_mul_f64 v[74:75], v[74:75], v[82:83]
	s_cbranch_execz .LBB99_310
	s_branch .LBB99_311
.LBB99_309:
                                        ; implicit-def: $vgpr74_vgpr75
.LBB99_310:
	ds_read_b64 v[74:75], v76
.LBB99_311:
	s_and_saveexec_b64 s[12:13], s[4:5]
	s_cbranch_execz .LBB99_315
; %bb.312:
	v_add_u32_e32 v82, -4, v0
	s_movk_i32 s14, 0x140
	s_mov_b64 s[4:5], 0
.LBB99_313:                             ; =>This Inner Loop Header: Depth=1
	buffer_load_dword v84, v81, s[0:3], 0 offen
	buffer_load_dword v85, v81, s[0:3], 0 offen offset:4
	v_mov_b32_e32 v83, s14
	ds_read_b64 v[86:87], v83
	v_add_u32_e32 v82, -1, v82
	s_add_i32 s14, s14, 8
	v_cmp_eq_u32_e32 vcc, 0, v82
	v_add_u32_e32 v81, 8, v81
	s_or_b64 s[4:5], vcc, s[4:5]
	s_waitcnt vmcnt(0) lgkmcnt(0)
	v_fmac_f64_e32 v[74:75], v[84:85], v[86:87]
	s_andn2_b64 exec, exec, s[4:5]
	s_cbranch_execnz .LBB99_313
; %bb.314:
	s_or_b64 exec, exec, s[4:5]
.LBB99_315:
	s_or_b64 exec, exec, s[12:13]
	v_mov_b32_e32 v81, 0
	ds_read_b64 v[82:83], v81 offset:24
	s_waitcnt lgkmcnt(0)
	v_mul_f64 v[74:75], v[74:75], v[82:83]
	buffer_store_dword v75, off, s[0:3], 0 offset:28
	buffer_store_dword v74, off, s[0:3], 0 offset:24
.LBB99_316:
	s_or_b64 exec, exec, s[10:11]
	buffer_load_dword v74, off, s[0:3], 0 offset:16
	buffer_load_dword v75, off, s[0:3], 0 offset:20
	v_cmp_lt_u32_e64 s[4:5], 2, v0
	s_waitcnt vmcnt(0)
	ds_write_b64 v76, v[74:75]
	s_waitcnt lgkmcnt(0)
	; wave barrier
	s_waitcnt lgkmcnt(0)
	s_and_saveexec_b64 s[10:11], s[4:5]
	s_cbranch_execz .LBB99_326
; %bb.317:
	s_andn2_b64 vcc, exec, s[8:9]
	s_cbranch_vccnz .LBB99_319
; %bb.318:
	buffer_load_dword v74, v77, s[0:3], 0 offen
	buffer_load_dword v75, v77, s[0:3], 0 offen offset:4
	ds_read_b64 v[82:83], v76
	s_waitcnt vmcnt(0) lgkmcnt(0)
	v_mul_f64 v[74:75], v[74:75], v[82:83]
	s_cbranch_execz .LBB99_320
	s_branch .LBB99_321
.LBB99_319:
                                        ; implicit-def: $vgpr74_vgpr75
.LBB99_320:
	ds_read_b64 v[74:75], v76
.LBB99_321:
	s_and_saveexec_b64 s[12:13], s[6:7]
	s_cbranch_execz .LBB99_325
; %bb.322:
	v_add_u32_e32 v81, -3, v0
	s_movk_i32 s14, 0x138
	s_mov_b64 s[6:7], 0
.LBB99_323:                             ; =>This Inner Loop Header: Depth=1
	buffer_load_dword v82, v80, s[0:3], 0 offen
	buffer_load_dword v83, v80, s[0:3], 0 offen offset:4
	v_mov_b32_e32 v84, s14
	ds_read_b64 v[84:85], v84
	v_add_u32_e32 v81, -1, v81
	s_add_i32 s14, s14, 8
	v_cmp_eq_u32_e32 vcc, 0, v81
	v_add_u32_e32 v80, 8, v80
	s_or_b64 s[6:7], vcc, s[6:7]
	s_waitcnt vmcnt(0) lgkmcnt(0)
	v_fmac_f64_e32 v[74:75], v[82:83], v[84:85]
	s_andn2_b64 exec, exec, s[6:7]
	s_cbranch_execnz .LBB99_323
; %bb.324:
	s_or_b64 exec, exec, s[6:7]
.LBB99_325:
	s_or_b64 exec, exec, s[12:13]
	v_mov_b32_e32 v80, 0
	ds_read_b64 v[80:81], v80 offset:16
	s_waitcnt lgkmcnt(0)
	v_mul_f64 v[74:75], v[74:75], v[80:81]
	buffer_store_dword v75, off, s[0:3], 0 offset:20
	buffer_store_dword v74, off, s[0:3], 0 offset:16
.LBB99_326:
	s_or_b64 exec, exec, s[10:11]
	buffer_load_dword v74, off, s[0:3], 0 offset:8
	buffer_load_dword v75, off, s[0:3], 0 offset:12
	v_cmp_lt_u32_e64 s[6:7], 1, v0
	s_waitcnt vmcnt(0)
	ds_write_b64 v76, v[74:75]
	s_waitcnt lgkmcnt(0)
	; wave barrier
	s_waitcnt lgkmcnt(0)
	s_and_saveexec_b64 s[10:11], s[6:7]
	s_cbranch_execz .LBB99_336
; %bb.327:
	s_andn2_b64 vcc, exec, s[8:9]
	s_cbranch_vccnz .LBB99_329
; %bb.328:
	buffer_load_dword v74, v77, s[0:3], 0 offen
	buffer_load_dword v75, v77, s[0:3], 0 offen offset:4
	ds_read_b64 v[80:81], v76
	s_waitcnt vmcnt(0) lgkmcnt(0)
	v_mul_f64 v[74:75], v[74:75], v[80:81]
	s_cbranch_execz .LBB99_330
	s_branch .LBB99_331
.LBB99_329:
                                        ; implicit-def: $vgpr74_vgpr75
.LBB99_330:
	ds_read_b64 v[74:75], v76
.LBB99_331:
	s_and_saveexec_b64 s[12:13], s[4:5]
	s_cbranch_execz .LBB99_335
; %bb.332:
	v_add_u32_e32 v80, -2, v0
	s_movk_i32 s14, 0x130
	s_mov_b64 s[4:5], 0
.LBB99_333:                             ; =>This Inner Loop Header: Depth=1
	buffer_load_dword v82, v79, s[0:3], 0 offen
	buffer_load_dword v83, v79, s[0:3], 0 offen offset:4
	v_mov_b32_e32 v81, s14
	ds_read_b64 v[84:85], v81
	v_add_u32_e32 v80, -1, v80
	s_add_i32 s14, s14, 8
	v_cmp_eq_u32_e32 vcc, 0, v80
	v_add_u32_e32 v79, 8, v79
	s_or_b64 s[4:5], vcc, s[4:5]
	s_waitcnt vmcnt(0) lgkmcnt(0)
	v_fmac_f64_e32 v[74:75], v[82:83], v[84:85]
	s_andn2_b64 exec, exec, s[4:5]
	s_cbranch_execnz .LBB99_333
; %bb.334:
	s_or_b64 exec, exec, s[4:5]
.LBB99_335:
	s_or_b64 exec, exec, s[12:13]
	v_mov_b32_e32 v79, 0
	ds_read_b64 v[80:81], v79 offset:8
	s_waitcnt lgkmcnt(0)
	v_mul_f64 v[74:75], v[74:75], v[80:81]
	buffer_store_dword v75, off, s[0:3], 0 offset:12
	buffer_store_dword v74, off, s[0:3], 0 offset:8
.LBB99_336:
	s_or_b64 exec, exec, s[10:11]
	buffer_load_dword v74, off, s[0:3], 0
	buffer_load_dword v75, off, s[0:3], 0 offset:4
	v_cmp_ne_u32_e32 vcc, 0, v0
	s_waitcnt vmcnt(0)
	ds_write_b64 v76, v[74:75]
	s_waitcnt lgkmcnt(0)
	; wave barrier
	s_waitcnt lgkmcnt(0)
	s_and_saveexec_b64 s[4:5], vcc
	s_cbranch_execz .LBB99_346
; %bb.337:
	s_andn2_b64 vcc, exec, s[8:9]
	s_cbranch_vccnz .LBB99_339
; %bb.338:
	buffer_load_dword v74, v77, s[0:3], 0 offen
	buffer_load_dword v75, v77, s[0:3], 0 offen offset:4
	ds_read_b64 v[80:81], v76
	s_waitcnt vmcnt(0) lgkmcnt(0)
	v_mul_f64 v[74:75], v[74:75], v[80:81]
	s_cbranch_execz .LBB99_340
	s_branch .LBB99_341
.LBB99_339:
                                        ; implicit-def: $vgpr74_vgpr75
.LBB99_340:
	ds_read_b64 v[74:75], v76
.LBB99_341:
	s_and_saveexec_b64 s[10:11], s[6:7]
	s_cbranch_execz .LBB99_345
; %bb.342:
	v_add_u32_e32 v79, -1, v0
	s_movk_i32 s12, 0x128
	s_mov_b64 s[6:7], 0
.LBB99_343:                             ; =>This Inner Loop Header: Depth=1
	buffer_load_dword v80, v78, s[0:3], 0 offen
	buffer_load_dword v81, v78, s[0:3], 0 offen offset:4
	v_mov_b32_e32 v82, s12
	ds_read_b64 v[82:83], v82
	v_add_u32_e32 v79, -1, v79
	s_add_i32 s12, s12, 8
	v_cmp_eq_u32_e32 vcc, 0, v79
	v_add_u32_e32 v78, 8, v78
	s_or_b64 s[6:7], vcc, s[6:7]
	s_waitcnt vmcnt(0) lgkmcnt(0)
	v_fmac_f64_e32 v[74:75], v[80:81], v[82:83]
	s_andn2_b64 exec, exec, s[6:7]
	s_cbranch_execnz .LBB99_343
; %bb.344:
	s_or_b64 exec, exec, s[6:7]
.LBB99_345:
	s_or_b64 exec, exec, s[10:11]
	v_mov_b32_e32 v78, 0
	ds_read_b64 v[78:79], v78
	s_waitcnt lgkmcnt(0)
	v_mul_f64 v[74:75], v[74:75], v[78:79]
	buffer_store_dword v75, off, s[0:3], 0 offset:4
	buffer_store_dword v74, off, s[0:3], 0
.LBB99_346:
	s_or_b64 exec, exec, s[4:5]
	s_mov_b64 s[4:5], 0
.LBB99_347:
	s_and_b64 vcc, exec, s[4:5]
	s_cbranch_vccz .LBB99_691
; %bb.348:
	buffer_load_dword v74, off, s[0:3], 0 offset:8
	buffer_load_dword v75, off, s[0:3], 0 offset:12
	v_cmp_eq_u32_e64 s[6:7], 0, v0
	s_waitcnt vmcnt(0)
	ds_write_b64 v76, v[74:75]
	s_waitcnt lgkmcnt(0)
	; wave barrier
	s_waitcnt lgkmcnt(0)
	s_and_saveexec_b64 s[4:5], s[6:7]
	s_cbranch_execz .LBB99_354
; %bb.349:
	s_and_b64 vcc, exec, s[8:9]
	s_cbranch_vccz .LBB99_351
; %bb.350:
	buffer_load_dword v74, v77, s[0:3], 0 offen
	buffer_load_dword v75, v77, s[0:3], 0 offen offset:4
	ds_read_b64 v[78:79], v76
	s_waitcnt vmcnt(0) lgkmcnt(0)
	v_mul_f64 v[74:75], v[74:75], v[78:79]
	s_cbranch_execz .LBB99_352
	s_branch .LBB99_353
.LBB99_351:
                                        ; implicit-def: $vgpr74_vgpr75
.LBB99_352:
	ds_read_b64 v[74:75], v76
.LBB99_353:
	v_mov_b32_e32 v78, 0
	ds_read_b64 v[78:79], v78 offset:8
	s_waitcnt lgkmcnt(0)
	v_mul_f64 v[74:75], v[74:75], v[78:79]
	buffer_store_dword v75, off, s[0:3], 0 offset:12
	buffer_store_dword v74, off, s[0:3], 0 offset:8
.LBB99_354:
	s_or_b64 exec, exec, s[4:5]
	buffer_load_dword v74, off, s[0:3], 0 offset:16
	buffer_load_dword v75, off, s[0:3], 0 offset:20
	v_cndmask_b32_e64 v78, 0, 1, s[8:9]
	v_cmp_gt_u32_e32 vcc, 2, v0
	v_cmp_ne_u32_e64 s[4:5], 1, v78
	s_waitcnt vmcnt(0)
	ds_write_b64 v76, v[74:75]
	s_waitcnt lgkmcnt(0)
	; wave barrier
	s_waitcnt lgkmcnt(0)
	s_and_saveexec_b64 s[8:9], vcc
	s_cbranch_execz .LBB99_362
; %bb.355:
	s_and_b64 vcc, exec, s[4:5]
	s_cbranch_vccnz .LBB99_357
; %bb.356:
	buffer_load_dword v74, v77, s[0:3], 0 offen
	buffer_load_dword v75, v77, s[0:3], 0 offen offset:4
	ds_read_b64 v[78:79], v76
	s_waitcnt vmcnt(0) lgkmcnt(0)
	v_mul_f64 v[74:75], v[74:75], v[78:79]
	s_cbranch_execz .LBB99_358
	s_branch .LBB99_359
.LBB99_357:
                                        ; implicit-def: $vgpr74_vgpr75
.LBB99_358:
	ds_read_b64 v[74:75], v76
.LBB99_359:
	s_and_saveexec_b64 s[10:11], s[6:7]
	s_cbranch_execz .LBB99_361
; %bb.360:
	buffer_load_dword v78, v77, s[0:3], 0 offen offset:8
	buffer_load_dword v79, v77, s[0:3], 0 offen offset:12
	ds_read_b64 v[80:81], v76 offset:8
	s_waitcnt vmcnt(0) lgkmcnt(0)
	v_fmac_f64_e32 v[74:75], v[78:79], v[80:81]
.LBB99_361:
	s_or_b64 exec, exec, s[10:11]
	v_mov_b32_e32 v78, 0
	ds_read_b64 v[78:79], v78 offset:16
	s_waitcnt lgkmcnt(0)
	v_mul_f64 v[74:75], v[74:75], v[78:79]
	buffer_store_dword v75, off, s[0:3], 0 offset:20
	buffer_store_dword v74, off, s[0:3], 0 offset:16
.LBB99_362:
	s_or_b64 exec, exec, s[8:9]
	buffer_load_dword v74, off, s[0:3], 0 offset:24
	buffer_load_dword v75, off, s[0:3], 0 offset:28
	v_cmp_gt_u32_e32 vcc, 3, v0
	s_waitcnt vmcnt(0)
	ds_write_b64 v76, v[74:75]
	s_waitcnt lgkmcnt(0)
	; wave barrier
	s_waitcnt lgkmcnt(0)
	s_and_saveexec_b64 s[8:9], vcc
	s_cbranch_execz .LBB99_370
; %bb.363:
	s_and_b64 vcc, exec, s[4:5]
	s_cbranch_vccnz .LBB99_365
; %bb.364:
	buffer_load_dword v74, v77, s[0:3], 0 offen
	buffer_load_dword v75, v77, s[0:3], 0 offen offset:4
	ds_read_b64 v[78:79], v76
	s_waitcnt vmcnt(0) lgkmcnt(0)
	v_mul_f64 v[74:75], v[74:75], v[78:79]
	s_cbranch_execz .LBB99_366
	s_branch .LBB99_367
.LBB99_365:
                                        ; implicit-def: $vgpr74_vgpr75
.LBB99_366:
	ds_read_b64 v[74:75], v76
.LBB99_367:
	v_cmp_ne_u32_e32 vcc, 2, v0
	s_and_saveexec_b64 s[10:11], vcc
	s_cbranch_execz .LBB99_369
; %bb.368:
	buffer_load_dword v79, v77, s[0:3], 0 offen offset:12
	buffer_load_dword v80, off, s[0:3], 0 offset:16
	buffer_load_dword v78, v77, s[0:3], 0 offen offset:8
	buffer_load_dword v81, off, s[0:3], 0 offset:20
	v_mov_b32_e32 v84, 0
	ds_read_b64 v[82:83], v76 offset:8
	ds_read_b64 v[84:85], v84 offset:304
	s_waitcnt vmcnt(1) lgkmcnt(1)
	v_fmac_f64_e32 v[74:75], v[78:79], v[82:83]
	s_waitcnt vmcnt(0) lgkmcnt(0)
	v_fma_f64 v[78:79], v[80:81], v[84:85], v[74:75]
	v_cndmask_b32_e64 v75, v75, v79, s[6:7]
	v_cndmask_b32_e64 v74, v74, v78, s[6:7]
.LBB99_369:
	s_or_b64 exec, exec, s[10:11]
	v_mov_b32_e32 v78, 0
	ds_read_b64 v[78:79], v78 offset:24
	s_waitcnt lgkmcnt(0)
	v_mul_f64 v[74:75], v[74:75], v[78:79]
	buffer_store_dword v75, off, s[0:3], 0 offset:28
	buffer_store_dword v74, off, s[0:3], 0 offset:24
.LBB99_370:
	s_or_b64 exec, exec, s[8:9]
	buffer_load_dword v74, off, s[0:3], 0 offset:32
	buffer_load_dword v75, off, s[0:3], 0 offset:36
	v_cmp_gt_u32_e32 vcc, 4, v0
	s_waitcnt vmcnt(0)
	ds_write_b64 v76, v[74:75]
	s_waitcnt lgkmcnt(0)
	; wave barrier
	s_waitcnt lgkmcnt(0)
	s_and_saveexec_b64 s[6:7], vcc
	s_cbranch_execz .LBB99_380
; %bb.371:
	s_and_b64 vcc, exec, s[4:5]
	s_cbranch_vccnz .LBB99_373
; %bb.372:
	buffer_load_dword v74, v77, s[0:3], 0 offen
	buffer_load_dword v75, v77, s[0:3], 0 offen offset:4
	ds_read_b64 v[78:79], v76
	s_waitcnt vmcnt(0) lgkmcnt(0)
	v_mul_f64 v[74:75], v[74:75], v[78:79]
	s_cbranch_execz .LBB99_374
	s_branch .LBB99_375
.LBB99_373:
                                        ; implicit-def: $vgpr74_vgpr75
.LBB99_374:
	ds_read_b64 v[74:75], v76
.LBB99_375:
	v_cmp_ne_u32_e32 vcc, 3, v0
	s_and_saveexec_b64 s[8:9], vcc
	s_cbranch_execz .LBB99_379
; %bb.376:
	v_mov_b32_e32 v79, 0
	v_add_u32_e32 v78, 0x128, v1
	v_add3_u32 v79, v1, v79, 8
	s_mov_b64 s[10:11], 0
	v_mov_b32_e32 v80, v0
.LBB99_377:                             ; =>This Inner Loop Header: Depth=1
	buffer_load_dword v82, v79, s[0:3], 0 offen
	buffer_load_dword v83, v79, s[0:3], 0 offen offset:4
	ds_read_b64 v[84:85], v78
	v_add_u32_e32 v80, 1, v80
	v_cmp_lt_u32_e32 vcc, 2, v80
	v_add_u32_e32 v78, 8, v78
	v_add_u32_e32 v79, 8, v79
	s_or_b64 s[10:11], vcc, s[10:11]
	s_waitcnt vmcnt(0) lgkmcnt(0)
	v_fmac_f64_e32 v[74:75], v[82:83], v[84:85]
	s_andn2_b64 exec, exec, s[10:11]
	s_cbranch_execnz .LBB99_377
; %bb.378:
	s_or_b64 exec, exec, s[10:11]
.LBB99_379:
	s_or_b64 exec, exec, s[8:9]
	v_mov_b32_e32 v78, 0
	ds_read_b64 v[78:79], v78 offset:32
	s_waitcnt lgkmcnt(0)
	v_mul_f64 v[74:75], v[74:75], v[78:79]
	buffer_store_dword v75, off, s[0:3], 0 offset:36
	buffer_store_dword v74, off, s[0:3], 0 offset:32
.LBB99_380:
	s_or_b64 exec, exec, s[6:7]
	buffer_load_dword v74, off, s[0:3], 0 offset:40
	buffer_load_dword v75, off, s[0:3], 0 offset:44
	v_cmp_gt_u32_e32 vcc, 5, v0
	s_waitcnt vmcnt(0)
	ds_write_b64 v76, v[74:75]
	s_waitcnt lgkmcnt(0)
	; wave barrier
	s_waitcnt lgkmcnt(0)
	s_and_saveexec_b64 s[6:7], vcc
	s_cbranch_execz .LBB99_390
; %bb.381:
	s_and_b64 vcc, exec, s[4:5]
	s_cbranch_vccnz .LBB99_383
; %bb.382:
	buffer_load_dword v74, v77, s[0:3], 0 offen
	buffer_load_dword v75, v77, s[0:3], 0 offen offset:4
	ds_read_b64 v[78:79], v76
	s_waitcnt vmcnt(0) lgkmcnt(0)
	v_mul_f64 v[74:75], v[74:75], v[78:79]
	s_cbranch_execz .LBB99_384
	s_branch .LBB99_385
.LBB99_383:
                                        ; implicit-def: $vgpr74_vgpr75
.LBB99_384:
	ds_read_b64 v[74:75], v76
.LBB99_385:
	v_cmp_ne_u32_e32 vcc, 4, v0
	s_and_saveexec_b64 s[8:9], vcc
	s_cbranch_execz .LBB99_389
; %bb.386:
	v_mov_b32_e32 v79, 0
	v_add_u32_e32 v78, 0x128, v1
	v_add3_u32 v79, v1, v79, 8
	s_mov_b64 s[10:11], 0
	v_mov_b32_e32 v80, v0
.LBB99_387:                             ; =>This Inner Loop Header: Depth=1
	buffer_load_dword v82, v79, s[0:3], 0 offen
	buffer_load_dword v83, v79, s[0:3], 0 offen offset:4
	ds_read_b64 v[84:85], v78
	v_add_u32_e32 v80, 1, v80
	v_cmp_lt_u32_e32 vcc, 3, v80
	v_add_u32_e32 v78, 8, v78
	v_add_u32_e32 v79, 8, v79
	s_or_b64 s[10:11], vcc, s[10:11]
	s_waitcnt vmcnt(0) lgkmcnt(0)
	v_fmac_f64_e32 v[74:75], v[82:83], v[84:85]
	s_andn2_b64 exec, exec, s[10:11]
	s_cbranch_execnz .LBB99_387
; %bb.388:
	s_or_b64 exec, exec, s[10:11]
.LBB99_389:
	s_or_b64 exec, exec, s[8:9]
	v_mov_b32_e32 v78, 0
	ds_read_b64 v[78:79], v78 offset:40
	s_waitcnt lgkmcnt(0)
	v_mul_f64 v[74:75], v[74:75], v[78:79]
	buffer_store_dword v75, off, s[0:3], 0 offset:44
	buffer_store_dword v74, off, s[0:3], 0 offset:40
.LBB99_390:
	s_or_b64 exec, exec, s[6:7]
	buffer_load_dword v74, off, s[0:3], 0 offset:48
	buffer_load_dword v75, off, s[0:3], 0 offset:52
	v_cmp_gt_u32_e32 vcc, 6, v0
	s_waitcnt vmcnt(0)
	ds_write_b64 v76, v[74:75]
	s_waitcnt lgkmcnt(0)
	; wave barrier
	s_waitcnt lgkmcnt(0)
	s_and_saveexec_b64 s[6:7], vcc
	s_cbranch_execz .LBB99_400
; %bb.391:
	s_and_b64 vcc, exec, s[4:5]
	s_cbranch_vccnz .LBB99_393
; %bb.392:
	buffer_load_dword v74, v77, s[0:3], 0 offen
	buffer_load_dword v75, v77, s[0:3], 0 offen offset:4
	ds_read_b64 v[78:79], v76
	s_waitcnt vmcnt(0) lgkmcnt(0)
	v_mul_f64 v[74:75], v[74:75], v[78:79]
	s_cbranch_execz .LBB99_394
	s_branch .LBB99_395
.LBB99_393:
                                        ; implicit-def: $vgpr74_vgpr75
.LBB99_394:
	ds_read_b64 v[74:75], v76
.LBB99_395:
	v_cmp_ne_u32_e32 vcc, 5, v0
	s_and_saveexec_b64 s[8:9], vcc
	s_cbranch_execz .LBB99_399
; %bb.396:
	v_mov_b32_e32 v79, 0
	v_add_u32_e32 v78, 0x128, v1
	v_add3_u32 v79, v1, v79, 8
	s_mov_b64 s[10:11], 0
	v_mov_b32_e32 v80, v0
.LBB99_397:                             ; =>This Inner Loop Header: Depth=1
	buffer_load_dword v82, v79, s[0:3], 0 offen
	buffer_load_dword v83, v79, s[0:3], 0 offen offset:4
	ds_read_b64 v[84:85], v78
	v_add_u32_e32 v80, 1, v80
	v_cmp_lt_u32_e32 vcc, 4, v80
	v_add_u32_e32 v78, 8, v78
	v_add_u32_e32 v79, 8, v79
	s_or_b64 s[10:11], vcc, s[10:11]
	s_waitcnt vmcnt(0) lgkmcnt(0)
	v_fmac_f64_e32 v[74:75], v[82:83], v[84:85]
	s_andn2_b64 exec, exec, s[10:11]
	s_cbranch_execnz .LBB99_397
; %bb.398:
	s_or_b64 exec, exec, s[10:11]
.LBB99_399:
	s_or_b64 exec, exec, s[8:9]
	v_mov_b32_e32 v78, 0
	ds_read_b64 v[78:79], v78 offset:48
	s_waitcnt lgkmcnt(0)
	v_mul_f64 v[74:75], v[74:75], v[78:79]
	buffer_store_dword v75, off, s[0:3], 0 offset:52
	buffer_store_dword v74, off, s[0:3], 0 offset:48
.LBB99_400:
	s_or_b64 exec, exec, s[6:7]
	buffer_load_dword v74, off, s[0:3], 0 offset:56
	buffer_load_dword v75, off, s[0:3], 0 offset:60
	v_cmp_gt_u32_e32 vcc, 7, v0
	s_waitcnt vmcnt(0)
	ds_write_b64 v76, v[74:75]
	s_waitcnt lgkmcnt(0)
	; wave barrier
	s_waitcnt lgkmcnt(0)
	s_and_saveexec_b64 s[6:7], vcc
	s_cbranch_execz .LBB99_410
; %bb.401:
	s_and_b64 vcc, exec, s[4:5]
	s_cbranch_vccnz .LBB99_403
; %bb.402:
	buffer_load_dword v74, v77, s[0:3], 0 offen
	buffer_load_dword v75, v77, s[0:3], 0 offen offset:4
	ds_read_b64 v[78:79], v76
	s_waitcnt vmcnt(0) lgkmcnt(0)
	v_mul_f64 v[74:75], v[74:75], v[78:79]
	s_cbranch_execz .LBB99_404
	s_branch .LBB99_405
.LBB99_403:
                                        ; implicit-def: $vgpr74_vgpr75
.LBB99_404:
	ds_read_b64 v[74:75], v76
.LBB99_405:
	v_cmp_ne_u32_e32 vcc, 6, v0
	s_and_saveexec_b64 s[8:9], vcc
	s_cbranch_execz .LBB99_409
; %bb.406:
	v_mov_b32_e32 v79, 0
	v_add_u32_e32 v78, 0x128, v1
	v_add3_u32 v79, v1, v79, 8
	s_mov_b64 s[10:11], 0
	v_mov_b32_e32 v80, v0
.LBB99_407:                             ; =>This Inner Loop Header: Depth=1
	buffer_load_dword v82, v79, s[0:3], 0 offen
	buffer_load_dword v83, v79, s[0:3], 0 offen offset:4
	ds_read_b64 v[84:85], v78
	v_add_u32_e32 v80, 1, v80
	v_cmp_lt_u32_e32 vcc, 5, v80
	v_add_u32_e32 v78, 8, v78
	v_add_u32_e32 v79, 8, v79
	s_or_b64 s[10:11], vcc, s[10:11]
	s_waitcnt vmcnt(0) lgkmcnt(0)
	v_fmac_f64_e32 v[74:75], v[82:83], v[84:85]
	s_andn2_b64 exec, exec, s[10:11]
	s_cbranch_execnz .LBB99_407
; %bb.408:
	s_or_b64 exec, exec, s[10:11]
.LBB99_409:
	s_or_b64 exec, exec, s[8:9]
	v_mov_b32_e32 v78, 0
	ds_read_b64 v[78:79], v78 offset:56
	s_waitcnt lgkmcnt(0)
	v_mul_f64 v[74:75], v[74:75], v[78:79]
	buffer_store_dword v75, off, s[0:3], 0 offset:60
	buffer_store_dword v74, off, s[0:3], 0 offset:56
.LBB99_410:
	s_or_b64 exec, exec, s[6:7]
	buffer_load_dword v74, off, s[0:3], 0 offset:64
	buffer_load_dword v75, off, s[0:3], 0 offset:68
	v_cmp_gt_u32_e32 vcc, 8, v0
	s_waitcnt vmcnt(0)
	ds_write_b64 v76, v[74:75]
	s_waitcnt lgkmcnt(0)
	; wave barrier
	s_waitcnt lgkmcnt(0)
	s_and_saveexec_b64 s[6:7], vcc
	s_cbranch_execz .LBB99_420
; %bb.411:
	s_and_b64 vcc, exec, s[4:5]
	s_cbranch_vccnz .LBB99_413
; %bb.412:
	buffer_load_dword v74, v77, s[0:3], 0 offen
	buffer_load_dword v75, v77, s[0:3], 0 offen offset:4
	ds_read_b64 v[78:79], v76
	s_waitcnt vmcnt(0) lgkmcnt(0)
	v_mul_f64 v[74:75], v[74:75], v[78:79]
	s_cbranch_execz .LBB99_414
	s_branch .LBB99_415
.LBB99_413:
                                        ; implicit-def: $vgpr74_vgpr75
.LBB99_414:
	ds_read_b64 v[74:75], v76
.LBB99_415:
	v_cmp_ne_u32_e32 vcc, 7, v0
	s_and_saveexec_b64 s[8:9], vcc
	s_cbranch_execz .LBB99_419
; %bb.416:
	v_mov_b32_e32 v79, 0
	v_add_u32_e32 v78, 0x128, v1
	v_add3_u32 v79, v1, v79, 8
	s_mov_b64 s[10:11], 0
	v_mov_b32_e32 v80, v0
.LBB99_417:                             ; =>This Inner Loop Header: Depth=1
	buffer_load_dword v82, v79, s[0:3], 0 offen
	buffer_load_dword v83, v79, s[0:3], 0 offen offset:4
	ds_read_b64 v[84:85], v78
	v_add_u32_e32 v80, 1, v80
	v_cmp_lt_u32_e32 vcc, 6, v80
	v_add_u32_e32 v78, 8, v78
	v_add_u32_e32 v79, 8, v79
	s_or_b64 s[10:11], vcc, s[10:11]
	s_waitcnt vmcnt(0) lgkmcnt(0)
	v_fmac_f64_e32 v[74:75], v[82:83], v[84:85]
	s_andn2_b64 exec, exec, s[10:11]
	s_cbranch_execnz .LBB99_417
; %bb.418:
	s_or_b64 exec, exec, s[10:11]
.LBB99_419:
	s_or_b64 exec, exec, s[8:9]
	v_mov_b32_e32 v78, 0
	ds_read_b64 v[78:79], v78 offset:64
	s_waitcnt lgkmcnt(0)
	v_mul_f64 v[74:75], v[74:75], v[78:79]
	buffer_store_dword v75, off, s[0:3], 0 offset:68
	buffer_store_dword v74, off, s[0:3], 0 offset:64
.LBB99_420:
	s_or_b64 exec, exec, s[6:7]
	buffer_load_dword v74, off, s[0:3], 0 offset:72
	buffer_load_dword v75, off, s[0:3], 0 offset:76
	v_cmp_gt_u32_e32 vcc, 9, v0
	s_waitcnt vmcnt(0)
	ds_write_b64 v76, v[74:75]
	s_waitcnt lgkmcnt(0)
	; wave barrier
	s_waitcnt lgkmcnt(0)
	s_and_saveexec_b64 s[6:7], vcc
	s_cbranch_execz .LBB99_430
; %bb.421:
	s_and_b64 vcc, exec, s[4:5]
	s_cbranch_vccnz .LBB99_423
; %bb.422:
	buffer_load_dword v74, v77, s[0:3], 0 offen
	buffer_load_dword v75, v77, s[0:3], 0 offen offset:4
	ds_read_b64 v[78:79], v76
	s_waitcnt vmcnt(0) lgkmcnt(0)
	v_mul_f64 v[74:75], v[74:75], v[78:79]
	s_cbranch_execz .LBB99_424
	s_branch .LBB99_425
.LBB99_423:
                                        ; implicit-def: $vgpr74_vgpr75
.LBB99_424:
	ds_read_b64 v[74:75], v76
.LBB99_425:
	v_cmp_ne_u32_e32 vcc, 8, v0
	s_and_saveexec_b64 s[8:9], vcc
	s_cbranch_execz .LBB99_429
; %bb.426:
	v_mov_b32_e32 v79, 0
	v_add_u32_e32 v78, 0x128, v1
	v_add3_u32 v79, v1, v79, 8
	s_mov_b64 s[10:11], 0
	v_mov_b32_e32 v80, v0
.LBB99_427:                             ; =>This Inner Loop Header: Depth=1
	buffer_load_dword v82, v79, s[0:3], 0 offen
	buffer_load_dword v83, v79, s[0:3], 0 offen offset:4
	ds_read_b64 v[84:85], v78
	v_add_u32_e32 v80, 1, v80
	v_cmp_lt_u32_e32 vcc, 7, v80
	v_add_u32_e32 v78, 8, v78
	v_add_u32_e32 v79, 8, v79
	s_or_b64 s[10:11], vcc, s[10:11]
	s_waitcnt vmcnt(0) lgkmcnt(0)
	v_fmac_f64_e32 v[74:75], v[82:83], v[84:85]
	s_andn2_b64 exec, exec, s[10:11]
	s_cbranch_execnz .LBB99_427
; %bb.428:
	s_or_b64 exec, exec, s[10:11]
.LBB99_429:
	s_or_b64 exec, exec, s[8:9]
	v_mov_b32_e32 v78, 0
	ds_read_b64 v[78:79], v78 offset:72
	s_waitcnt lgkmcnt(0)
	v_mul_f64 v[74:75], v[74:75], v[78:79]
	buffer_store_dword v75, off, s[0:3], 0 offset:76
	buffer_store_dword v74, off, s[0:3], 0 offset:72
.LBB99_430:
	s_or_b64 exec, exec, s[6:7]
	buffer_load_dword v74, off, s[0:3], 0 offset:80
	buffer_load_dword v75, off, s[0:3], 0 offset:84
	v_cmp_gt_u32_e32 vcc, 10, v0
	s_waitcnt vmcnt(0)
	ds_write_b64 v76, v[74:75]
	s_waitcnt lgkmcnt(0)
	; wave barrier
	s_waitcnt lgkmcnt(0)
	s_and_saveexec_b64 s[6:7], vcc
	s_cbranch_execz .LBB99_440
; %bb.431:
	s_and_b64 vcc, exec, s[4:5]
	s_cbranch_vccnz .LBB99_433
; %bb.432:
	buffer_load_dword v74, v77, s[0:3], 0 offen
	buffer_load_dword v75, v77, s[0:3], 0 offen offset:4
	ds_read_b64 v[78:79], v76
	s_waitcnt vmcnt(0) lgkmcnt(0)
	v_mul_f64 v[74:75], v[74:75], v[78:79]
	s_cbranch_execz .LBB99_434
	s_branch .LBB99_435
.LBB99_433:
                                        ; implicit-def: $vgpr74_vgpr75
.LBB99_434:
	ds_read_b64 v[74:75], v76
.LBB99_435:
	v_cmp_ne_u32_e32 vcc, 9, v0
	s_and_saveexec_b64 s[8:9], vcc
	s_cbranch_execz .LBB99_439
; %bb.436:
	v_mov_b32_e32 v79, 0
	v_add_u32_e32 v78, 0x128, v1
	v_add3_u32 v79, v1, v79, 8
	s_mov_b64 s[10:11], 0
	v_mov_b32_e32 v80, v0
.LBB99_437:                             ; =>This Inner Loop Header: Depth=1
	buffer_load_dword v82, v79, s[0:3], 0 offen
	buffer_load_dword v83, v79, s[0:3], 0 offen offset:4
	ds_read_b64 v[84:85], v78
	v_add_u32_e32 v80, 1, v80
	v_cmp_lt_u32_e32 vcc, 8, v80
	v_add_u32_e32 v78, 8, v78
	v_add_u32_e32 v79, 8, v79
	s_or_b64 s[10:11], vcc, s[10:11]
	s_waitcnt vmcnt(0) lgkmcnt(0)
	v_fmac_f64_e32 v[74:75], v[82:83], v[84:85]
	s_andn2_b64 exec, exec, s[10:11]
	s_cbranch_execnz .LBB99_437
; %bb.438:
	s_or_b64 exec, exec, s[10:11]
.LBB99_439:
	s_or_b64 exec, exec, s[8:9]
	v_mov_b32_e32 v78, 0
	ds_read_b64 v[78:79], v78 offset:80
	s_waitcnt lgkmcnt(0)
	v_mul_f64 v[74:75], v[74:75], v[78:79]
	buffer_store_dword v75, off, s[0:3], 0 offset:84
	buffer_store_dword v74, off, s[0:3], 0 offset:80
.LBB99_440:
	s_or_b64 exec, exec, s[6:7]
	buffer_load_dword v74, off, s[0:3], 0 offset:88
	buffer_load_dword v75, off, s[0:3], 0 offset:92
	v_cmp_gt_u32_e32 vcc, 11, v0
	s_waitcnt vmcnt(0)
	ds_write_b64 v76, v[74:75]
	s_waitcnt lgkmcnt(0)
	; wave barrier
	s_waitcnt lgkmcnt(0)
	s_and_saveexec_b64 s[6:7], vcc
	s_cbranch_execz .LBB99_450
; %bb.441:
	s_and_b64 vcc, exec, s[4:5]
	s_cbranch_vccnz .LBB99_443
; %bb.442:
	buffer_load_dword v74, v77, s[0:3], 0 offen
	buffer_load_dword v75, v77, s[0:3], 0 offen offset:4
	ds_read_b64 v[78:79], v76
	s_waitcnt vmcnt(0) lgkmcnt(0)
	v_mul_f64 v[74:75], v[74:75], v[78:79]
	s_cbranch_execz .LBB99_444
	s_branch .LBB99_445
.LBB99_443:
                                        ; implicit-def: $vgpr74_vgpr75
.LBB99_444:
	ds_read_b64 v[74:75], v76
.LBB99_445:
	v_cmp_ne_u32_e32 vcc, 10, v0
	s_and_saveexec_b64 s[8:9], vcc
	s_cbranch_execz .LBB99_449
; %bb.446:
	v_mov_b32_e32 v79, 0
	v_add_u32_e32 v78, 0x128, v1
	v_add3_u32 v79, v1, v79, 8
	s_mov_b64 s[10:11], 0
	v_mov_b32_e32 v80, v0
.LBB99_447:                             ; =>This Inner Loop Header: Depth=1
	buffer_load_dword v82, v79, s[0:3], 0 offen
	buffer_load_dword v83, v79, s[0:3], 0 offen offset:4
	ds_read_b64 v[84:85], v78
	v_add_u32_e32 v80, 1, v80
	v_cmp_lt_u32_e32 vcc, 9, v80
	v_add_u32_e32 v78, 8, v78
	v_add_u32_e32 v79, 8, v79
	s_or_b64 s[10:11], vcc, s[10:11]
	s_waitcnt vmcnt(0) lgkmcnt(0)
	v_fmac_f64_e32 v[74:75], v[82:83], v[84:85]
	s_andn2_b64 exec, exec, s[10:11]
	s_cbranch_execnz .LBB99_447
; %bb.448:
	s_or_b64 exec, exec, s[10:11]
.LBB99_449:
	s_or_b64 exec, exec, s[8:9]
	v_mov_b32_e32 v78, 0
	ds_read_b64 v[78:79], v78 offset:88
	s_waitcnt lgkmcnt(0)
	v_mul_f64 v[74:75], v[74:75], v[78:79]
	buffer_store_dword v75, off, s[0:3], 0 offset:92
	buffer_store_dword v74, off, s[0:3], 0 offset:88
.LBB99_450:
	s_or_b64 exec, exec, s[6:7]
	buffer_load_dword v74, off, s[0:3], 0 offset:96
	buffer_load_dword v75, off, s[0:3], 0 offset:100
	v_cmp_gt_u32_e32 vcc, 12, v0
	s_waitcnt vmcnt(0)
	ds_write_b64 v76, v[74:75]
	s_waitcnt lgkmcnt(0)
	; wave barrier
	s_waitcnt lgkmcnt(0)
	s_and_saveexec_b64 s[6:7], vcc
	s_cbranch_execz .LBB99_460
; %bb.451:
	s_and_b64 vcc, exec, s[4:5]
	s_cbranch_vccnz .LBB99_453
; %bb.452:
	buffer_load_dword v74, v77, s[0:3], 0 offen
	buffer_load_dword v75, v77, s[0:3], 0 offen offset:4
	ds_read_b64 v[78:79], v76
	s_waitcnt vmcnt(0) lgkmcnt(0)
	v_mul_f64 v[74:75], v[74:75], v[78:79]
	s_cbranch_execz .LBB99_454
	s_branch .LBB99_455
.LBB99_453:
                                        ; implicit-def: $vgpr74_vgpr75
.LBB99_454:
	ds_read_b64 v[74:75], v76
.LBB99_455:
	v_cmp_ne_u32_e32 vcc, 11, v0
	s_and_saveexec_b64 s[8:9], vcc
	s_cbranch_execz .LBB99_459
; %bb.456:
	v_mov_b32_e32 v79, 0
	v_add_u32_e32 v78, 0x128, v1
	v_add3_u32 v79, v1, v79, 8
	s_mov_b64 s[10:11], 0
	v_mov_b32_e32 v80, v0
.LBB99_457:                             ; =>This Inner Loop Header: Depth=1
	buffer_load_dword v82, v79, s[0:3], 0 offen
	buffer_load_dword v83, v79, s[0:3], 0 offen offset:4
	ds_read_b64 v[84:85], v78
	v_add_u32_e32 v80, 1, v80
	v_cmp_lt_u32_e32 vcc, 10, v80
	v_add_u32_e32 v78, 8, v78
	v_add_u32_e32 v79, 8, v79
	s_or_b64 s[10:11], vcc, s[10:11]
	s_waitcnt vmcnt(0) lgkmcnt(0)
	v_fmac_f64_e32 v[74:75], v[82:83], v[84:85]
	s_andn2_b64 exec, exec, s[10:11]
	s_cbranch_execnz .LBB99_457
; %bb.458:
	s_or_b64 exec, exec, s[10:11]
.LBB99_459:
	s_or_b64 exec, exec, s[8:9]
	v_mov_b32_e32 v78, 0
	ds_read_b64 v[78:79], v78 offset:96
	s_waitcnt lgkmcnt(0)
	v_mul_f64 v[74:75], v[74:75], v[78:79]
	buffer_store_dword v75, off, s[0:3], 0 offset:100
	buffer_store_dword v74, off, s[0:3], 0 offset:96
.LBB99_460:
	s_or_b64 exec, exec, s[6:7]
	buffer_load_dword v74, off, s[0:3], 0 offset:104
	buffer_load_dword v75, off, s[0:3], 0 offset:108
	v_cmp_gt_u32_e32 vcc, 13, v0
	s_waitcnt vmcnt(0)
	ds_write_b64 v76, v[74:75]
	s_waitcnt lgkmcnt(0)
	; wave barrier
	s_waitcnt lgkmcnt(0)
	s_and_saveexec_b64 s[6:7], vcc
	s_cbranch_execz .LBB99_470
; %bb.461:
	s_and_b64 vcc, exec, s[4:5]
	s_cbranch_vccnz .LBB99_463
; %bb.462:
	buffer_load_dword v74, v77, s[0:3], 0 offen
	buffer_load_dword v75, v77, s[0:3], 0 offen offset:4
	ds_read_b64 v[78:79], v76
	s_waitcnt vmcnt(0) lgkmcnt(0)
	v_mul_f64 v[74:75], v[74:75], v[78:79]
	s_cbranch_execz .LBB99_464
	s_branch .LBB99_465
.LBB99_463:
                                        ; implicit-def: $vgpr74_vgpr75
.LBB99_464:
	ds_read_b64 v[74:75], v76
.LBB99_465:
	v_cmp_ne_u32_e32 vcc, 12, v0
	s_and_saveexec_b64 s[8:9], vcc
	s_cbranch_execz .LBB99_469
; %bb.466:
	v_mov_b32_e32 v79, 0
	v_add_u32_e32 v78, 0x128, v1
	v_add3_u32 v79, v1, v79, 8
	s_mov_b64 s[10:11], 0
	v_mov_b32_e32 v80, v0
.LBB99_467:                             ; =>This Inner Loop Header: Depth=1
	buffer_load_dword v82, v79, s[0:3], 0 offen
	buffer_load_dword v83, v79, s[0:3], 0 offen offset:4
	ds_read_b64 v[84:85], v78
	v_add_u32_e32 v80, 1, v80
	v_cmp_lt_u32_e32 vcc, 11, v80
	v_add_u32_e32 v78, 8, v78
	v_add_u32_e32 v79, 8, v79
	s_or_b64 s[10:11], vcc, s[10:11]
	s_waitcnt vmcnt(0) lgkmcnt(0)
	v_fmac_f64_e32 v[74:75], v[82:83], v[84:85]
	s_andn2_b64 exec, exec, s[10:11]
	s_cbranch_execnz .LBB99_467
; %bb.468:
	s_or_b64 exec, exec, s[10:11]
.LBB99_469:
	s_or_b64 exec, exec, s[8:9]
	v_mov_b32_e32 v78, 0
	ds_read_b64 v[78:79], v78 offset:104
	s_waitcnt lgkmcnt(0)
	v_mul_f64 v[74:75], v[74:75], v[78:79]
	buffer_store_dword v75, off, s[0:3], 0 offset:108
	buffer_store_dword v74, off, s[0:3], 0 offset:104
.LBB99_470:
	s_or_b64 exec, exec, s[6:7]
	buffer_load_dword v74, off, s[0:3], 0 offset:112
	buffer_load_dword v75, off, s[0:3], 0 offset:116
	v_cmp_gt_u32_e32 vcc, 14, v0
	s_waitcnt vmcnt(0)
	ds_write_b64 v76, v[74:75]
	s_waitcnt lgkmcnt(0)
	; wave barrier
	s_waitcnt lgkmcnt(0)
	s_and_saveexec_b64 s[6:7], vcc
	s_cbranch_execz .LBB99_480
; %bb.471:
	s_and_b64 vcc, exec, s[4:5]
	s_cbranch_vccnz .LBB99_473
; %bb.472:
	buffer_load_dword v74, v77, s[0:3], 0 offen
	buffer_load_dword v75, v77, s[0:3], 0 offen offset:4
	ds_read_b64 v[78:79], v76
	s_waitcnt vmcnt(0) lgkmcnt(0)
	v_mul_f64 v[74:75], v[74:75], v[78:79]
	s_cbranch_execz .LBB99_474
	s_branch .LBB99_475
.LBB99_473:
                                        ; implicit-def: $vgpr74_vgpr75
.LBB99_474:
	ds_read_b64 v[74:75], v76
.LBB99_475:
	v_cmp_ne_u32_e32 vcc, 13, v0
	s_and_saveexec_b64 s[8:9], vcc
	s_cbranch_execz .LBB99_479
; %bb.476:
	v_mov_b32_e32 v79, 0
	v_add_u32_e32 v78, 0x128, v1
	v_add3_u32 v79, v1, v79, 8
	s_mov_b64 s[10:11], 0
	v_mov_b32_e32 v80, v0
.LBB99_477:                             ; =>This Inner Loop Header: Depth=1
	buffer_load_dword v82, v79, s[0:3], 0 offen
	buffer_load_dword v83, v79, s[0:3], 0 offen offset:4
	ds_read_b64 v[84:85], v78
	v_add_u32_e32 v80, 1, v80
	v_cmp_lt_u32_e32 vcc, 12, v80
	v_add_u32_e32 v78, 8, v78
	v_add_u32_e32 v79, 8, v79
	s_or_b64 s[10:11], vcc, s[10:11]
	s_waitcnt vmcnt(0) lgkmcnt(0)
	v_fmac_f64_e32 v[74:75], v[82:83], v[84:85]
	s_andn2_b64 exec, exec, s[10:11]
	s_cbranch_execnz .LBB99_477
; %bb.478:
	s_or_b64 exec, exec, s[10:11]
.LBB99_479:
	s_or_b64 exec, exec, s[8:9]
	v_mov_b32_e32 v78, 0
	ds_read_b64 v[78:79], v78 offset:112
	s_waitcnt lgkmcnt(0)
	v_mul_f64 v[74:75], v[74:75], v[78:79]
	buffer_store_dword v75, off, s[0:3], 0 offset:116
	buffer_store_dword v74, off, s[0:3], 0 offset:112
.LBB99_480:
	s_or_b64 exec, exec, s[6:7]
	buffer_load_dword v74, off, s[0:3], 0 offset:120
	buffer_load_dword v75, off, s[0:3], 0 offset:124
	v_cmp_gt_u32_e32 vcc, 15, v0
	s_waitcnt vmcnt(0)
	ds_write_b64 v76, v[74:75]
	s_waitcnt lgkmcnt(0)
	; wave barrier
	s_waitcnt lgkmcnt(0)
	s_and_saveexec_b64 s[6:7], vcc
	s_cbranch_execz .LBB99_490
; %bb.481:
	s_and_b64 vcc, exec, s[4:5]
	s_cbranch_vccnz .LBB99_483
; %bb.482:
	buffer_load_dword v74, v77, s[0:3], 0 offen
	buffer_load_dword v75, v77, s[0:3], 0 offen offset:4
	ds_read_b64 v[78:79], v76
	s_waitcnt vmcnt(0) lgkmcnt(0)
	v_mul_f64 v[74:75], v[74:75], v[78:79]
	s_cbranch_execz .LBB99_484
	s_branch .LBB99_485
.LBB99_483:
                                        ; implicit-def: $vgpr74_vgpr75
.LBB99_484:
	ds_read_b64 v[74:75], v76
.LBB99_485:
	v_cmp_ne_u32_e32 vcc, 14, v0
	s_and_saveexec_b64 s[8:9], vcc
	s_cbranch_execz .LBB99_489
; %bb.486:
	v_mov_b32_e32 v79, 0
	v_add_u32_e32 v78, 0x128, v1
	v_add3_u32 v79, v1, v79, 8
	s_mov_b64 s[10:11], 0
	v_mov_b32_e32 v80, v0
.LBB99_487:                             ; =>This Inner Loop Header: Depth=1
	buffer_load_dword v82, v79, s[0:3], 0 offen
	buffer_load_dword v83, v79, s[0:3], 0 offen offset:4
	ds_read_b64 v[84:85], v78
	v_add_u32_e32 v80, 1, v80
	v_cmp_lt_u32_e32 vcc, 13, v80
	v_add_u32_e32 v78, 8, v78
	v_add_u32_e32 v79, 8, v79
	s_or_b64 s[10:11], vcc, s[10:11]
	s_waitcnt vmcnt(0) lgkmcnt(0)
	v_fmac_f64_e32 v[74:75], v[82:83], v[84:85]
	s_andn2_b64 exec, exec, s[10:11]
	s_cbranch_execnz .LBB99_487
; %bb.488:
	s_or_b64 exec, exec, s[10:11]
.LBB99_489:
	s_or_b64 exec, exec, s[8:9]
	v_mov_b32_e32 v78, 0
	ds_read_b64 v[78:79], v78 offset:120
	s_waitcnt lgkmcnt(0)
	v_mul_f64 v[74:75], v[74:75], v[78:79]
	buffer_store_dword v75, off, s[0:3], 0 offset:124
	buffer_store_dword v74, off, s[0:3], 0 offset:120
.LBB99_490:
	s_or_b64 exec, exec, s[6:7]
	buffer_load_dword v74, off, s[0:3], 0 offset:128
	buffer_load_dword v75, off, s[0:3], 0 offset:132
	v_cmp_gt_u32_e32 vcc, 16, v0
	s_waitcnt vmcnt(0)
	ds_write_b64 v76, v[74:75]
	s_waitcnt lgkmcnt(0)
	; wave barrier
	s_waitcnt lgkmcnt(0)
	s_and_saveexec_b64 s[6:7], vcc
	s_cbranch_execz .LBB99_500
; %bb.491:
	s_and_b64 vcc, exec, s[4:5]
	s_cbranch_vccnz .LBB99_493
; %bb.492:
	buffer_load_dword v74, v77, s[0:3], 0 offen
	buffer_load_dword v75, v77, s[0:3], 0 offen offset:4
	ds_read_b64 v[78:79], v76
	s_waitcnt vmcnt(0) lgkmcnt(0)
	v_mul_f64 v[74:75], v[74:75], v[78:79]
	s_cbranch_execz .LBB99_494
	s_branch .LBB99_495
.LBB99_493:
                                        ; implicit-def: $vgpr74_vgpr75
.LBB99_494:
	ds_read_b64 v[74:75], v76
.LBB99_495:
	v_cmp_ne_u32_e32 vcc, 15, v0
	s_and_saveexec_b64 s[8:9], vcc
	s_cbranch_execz .LBB99_499
; %bb.496:
	v_mov_b32_e32 v79, 0
	v_add_u32_e32 v78, 0x128, v1
	v_add3_u32 v79, v1, v79, 8
	s_mov_b64 s[10:11], 0
	v_mov_b32_e32 v80, v0
.LBB99_497:                             ; =>This Inner Loop Header: Depth=1
	buffer_load_dword v82, v79, s[0:3], 0 offen
	buffer_load_dword v83, v79, s[0:3], 0 offen offset:4
	ds_read_b64 v[84:85], v78
	v_add_u32_e32 v80, 1, v80
	v_cmp_lt_u32_e32 vcc, 14, v80
	v_add_u32_e32 v78, 8, v78
	v_add_u32_e32 v79, 8, v79
	s_or_b64 s[10:11], vcc, s[10:11]
	s_waitcnt vmcnt(0) lgkmcnt(0)
	v_fmac_f64_e32 v[74:75], v[82:83], v[84:85]
	s_andn2_b64 exec, exec, s[10:11]
	s_cbranch_execnz .LBB99_497
; %bb.498:
	s_or_b64 exec, exec, s[10:11]
.LBB99_499:
	s_or_b64 exec, exec, s[8:9]
	v_mov_b32_e32 v78, 0
	ds_read_b64 v[78:79], v78 offset:128
	s_waitcnt lgkmcnt(0)
	v_mul_f64 v[74:75], v[74:75], v[78:79]
	buffer_store_dword v75, off, s[0:3], 0 offset:132
	buffer_store_dword v74, off, s[0:3], 0 offset:128
.LBB99_500:
	s_or_b64 exec, exec, s[6:7]
	buffer_load_dword v74, off, s[0:3], 0 offset:136
	buffer_load_dword v75, off, s[0:3], 0 offset:140
	v_cmp_gt_u32_e32 vcc, 17, v0
	s_waitcnt vmcnt(0)
	ds_write_b64 v76, v[74:75]
	s_waitcnt lgkmcnt(0)
	; wave barrier
	s_waitcnt lgkmcnt(0)
	s_and_saveexec_b64 s[6:7], vcc
	s_cbranch_execz .LBB99_510
; %bb.501:
	s_and_b64 vcc, exec, s[4:5]
	s_cbranch_vccnz .LBB99_503
; %bb.502:
	buffer_load_dword v74, v77, s[0:3], 0 offen
	buffer_load_dword v75, v77, s[0:3], 0 offen offset:4
	ds_read_b64 v[78:79], v76
	s_waitcnt vmcnt(0) lgkmcnt(0)
	v_mul_f64 v[74:75], v[74:75], v[78:79]
	s_cbranch_execz .LBB99_504
	s_branch .LBB99_505
.LBB99_503:
                                        ; implicit-def: $vgpr74_vgpr75
.LBB99_504:
	ds_read_b64 v[74:75], v76
.LBB99_505:
	v_cmp_ne_u32_e32 vcc, 16, v0
	s_and_saveexec_b64 s[8:9], vcc
	s_cbranch_execz .LBB99_509
; %bb.506:
	v_mov_b32_e32 v79, 0
	v_add_u32_e32 v78, 0x128, v1
	v_add3_u32 v79, v1, v79, 8
	s_mov_b64 s[10:11], 0
	v_mov_b32_e32 v80, v0
.LBB99_507:                             ; =>This Inner Loop Header: Depth=1
	buffer_load_dword v82, v79, s[0:3], 0 offen
	buffer_load_dword v83, v79, s[0:3], 0 offen offset:4
	ds_read_b64 v[84:85], v78
	v_add_u32_e32 v80, 1, v80
	v_cmp_lt_u32_e32 vcc, 15, v80
	v_add_u32_e32 v78, 8, v78
	v_add_u32_e32 v79, 8, v79
	s_or_b64 s[10:11], vcc, s[10:11]
	s_waitcnt vmcnt(0) lgkmcnt(0)
	v_fmac_f64_e32 v[74:75], v[82:83], v[84:85]
	s_andn2_b64 exec, exec, s[10:11]
	s_cbranch_execnz .LBB99_507
; %bb.508:
	s_or_b64 exec, exec, s[10:11]
.LBB99_509:
	s_or_b64 exec, exec, s[8:9]
	v_mov_b32_e32 v78, 0
	ds_read_b64 v[78:79], v78 offset:136
	s_waitcnt lgkmcnt(0)
	v_mul_f64 v[74:75], v[74:75], v[78:79]
	buffer_store_dword v75, off, s[0:3], 0 offset:140
	buffer_store_dword v74, off, s[0:3], 0 offset:136
.LBB99_510:
	s_or_b64 exec, exec, s[6:7]
	buffer_load_dword v74, off, s[0:3], 0 offset:144
	buffer_load_dword v75, off, s[0:3], 0 offset:148
	v_cmp_gt_u32_e32 vcc, 18, v0
	s_waitcnt vmcnt(0)
	ds_write_b64 v76, v[74:75]
	s_waitcnt lgkmcnt(0)
	; wave barrier
	s_waitcnt lgkmcnt(0)
	s_and_saveexec_b64 s[6:7], vcc
	s_cbranch_execz .LBB99_520
; %bb.511:
	s_and_b64 vcc, exec, s[4:5]
	s_cbranch_vccnz .LBB99_513
; %bb.512:
	buffer_load_dword v74, v77, s[0:3], 0 offen
	buffer_load_dword v75, v77, s[0:3], 0 offen offset:4
	ds_read_b64 v[78:79], v76
	s_waitcnt vmcnt(0) lgkmcnt(0)
	v_mul_f64 v[74:75], v[74:75], v[78:79]
	s_cbranch_execz .LBB99_514
	s_branch .LBB99_515
.LBB99_513:
                                        ; implicit-def: $vgpr74_vgpr75
.LBB99_514:
	ds_read_b64 v[74:75], v76
.LBB99_515:
	v_cmp_ne_u32_e32 vcc, 17, v0
	s_and_saveexec_b64 s[8:9], vcc
	s_cbranch_execz .LBB99_519
; %bb.516:
	v_mov_b32_e32 v79, 0
	v_add_u32_e32 v78, 0x128, v1
	v_add3_u32 v79, v1, v79, 8
	s_mov_b64 s[10:11], 0
	v_mov_b32_e32 v80, v0
.LBB99_517:                             ; =>This Inner Loop Header: Depth=1
	buffer_load_dword v82, v79, s[0:3], 0 offen
	buffer_load_dword v83, v79, s[0:3], 0 offen offset:4
	ds_read_b64 v[84:85], v78
	v_add_u32_e32 v80, 1, v80
	v_cmp_lt_u32_e32 vcc, 16, v80
	v_add_u32_e32 v78, 8, v78
	v_add_u32_e32 v79, 8, v79
	s_or_b64 s[10:11], vcc, s[10:11]
	s_waitcnt vmcnt(0) lgkmcnt(0)
	v_fmac_f64_e32 v[74:75], v[82:83], v[84:85]
	s_andn2_b64 exec, exec, s[10:11]
	s_cbranch_execnz .LBB99_517
; %bb.518:
	s_or_b64 exec, exec, s[10:11]
.LBB99_519:
	s_or_b64 exec, exec, s[8:9]
	v_mov_b32_e32 v78, 0
	ds_read_b64 v[78:79], v78 offset:144
	s_waitcnt lgkmcnt(0)
	v_mul_f64 v[74:75], v[74:75], v[78:79]
	buffer_store_dword v75, off, s[0:3], 0 offset:148
	buffer_store_dword v74, off, s[0:3], 0 offset:144
.LBB99_520:
	s_or_b64 exec, exec, s[6:7]
	buffer_load_dword v74, off, s[0:3], 0 offset:152
	buffer_load_dword v75, off, s[0:3], 0 offset:156
	v_cmp_gt_u32_e32 vcc, 19, v0
	s_waitcnt vmcnt(0)
	ds_write_b64 v76, v[74:75]
	s_waitcnt lgkmcnt(0)
	; wave barrier
	s_waitcnt lgkmcnt(0)
	s_and_saveexec_b64 s[6:7], vcc
	s_cbranch_execz .LBB99_530
; %bb.521:
	s_and_b64 vcc, exec, s[4:5]
	s_cbranch_vccnz .LBB99_523
; %bb.522:
	buffer_load_dword v74, v77, s[0:3], 0 offen
	buffer_load_dword v75, v77, s[0:3], 0 offen offset:4
	ds_read_b64 v[78:79], v76
	s_waitcnt vmcnt(0) lgkmcnt(0)
	v_mul_f64 v[74:75], v[74:75], v[78:79]
	s_cbranch_execz .LBB99_524
	s_branch .LBB99_525
.LBB99_523:
                                        ; implicit-def: $vgpr74_vgpr75
.LBB99_524:
	ds_read_b64 v[74:75], v76
.LBB99_525:
	v_cmp_ne_u32_e32 vcc, 18, v0
	s_and_saveexec_b64 s[8:9], vcc
	s_cbranch_execz .LBB99_529
; %bb.526:
	v_mov_b32_e32 v79, 0
	v_add_u32_e32 v78, 0x128, v1
	v_add3_u32 v79, v1, v79, 8
	s_mov_b64 s[10:11], 0
	v_mov_b32_e32 v80, v0
.LBB99_527:                             ; =>This Inner Loop Header: Depth=1
	buffer_load_dword v82, v79, s[0:3], 0 offen
	buffer_load_dword v83, v79, s[0:3], 0 offen offset:4
	ds_read_b64 v[84:85], v78
	v_add_u32_e32 v80, 1, v80
	v_cmp_lt_u32_e32 vcc, 17, v80
	v_add_u32_e32 v78, 8, v78
	v_add_u32_e32 v79, 8, v79
	s_or_b64 s[10:11], vcc, s[10:11]
	s_waitcnt vmcnt(0) lgkmcnt(0)
	v_fmac_f64_e32 v[74:75], v[82:83], v[84:85]
	s_andn2_b64 exec, exec, s[10:11]
	s_cbranch_execnz .LBB99_527
; %bb.528:
	s_or_b64 exec, exec, s[10:11]
.LBB99_529:
	s_or_b64 exec, exec, s[8:9]
	v_mov_b32_e32 v78, 0
	ds_read_b64 v[78:79], v78 offset:152
	s_waitcnt lgkmcnt(0)
	v_mul_f64 v[74:75], v[74:75], v[78:79]
	buffer_store_dword v75, off, s[0:3], 0 offset:156
	buffer_store_dword v74, off, s[0:3], 0 offset:152
.LBB99_530:
	s_or_b64 exec, exec, s[6:7]
	buffer_load_dword v74, off, s[0:3], 0 offset:160
	buffer_load_dword v75, off, s[0:3], 0 offset:164
	v_cmp_gt_u32_e32 vcc, 20, v0
	s_waitcnt vmcnt(0)
	ds_write_b64 v76, v[74:75]
	s_waitcnt lgkmcnt(0)
	; wave barrier
	s_waitcnt lgkmcnt(0)
	s_and_saveexec_b64 s[6:7], vcc
	s_cbranch_execz .LBB99_540
; %bb.531:
	s_and_b64 vcc, exec, s[4:5]
	s_cbranch_vccnz .LBB99_533
; %bb.532:
	buffer_load_dword v74, v77, s[0:3], 0 offen
	buffer_load_dword v75, v77, s[0:3], 0 offen offset:4
	ds_read_b64 v[78:79], v76
	s_waitcnt vmcnt(0) lgkmcnt(0)
	v_mul_f64 v[74:75], v[74:75], v[78:79]
	s_cbranch_execz .LBB99_534
	s_branch .LBB99_535
.LBB99_533:
                                        ; implicit-def: $vgpr74_vgpr75
.LBB99_534:
	ds_read_b64 v[74:75], v76
.LBB99_535:
	v_cmp_ne_u32_e32 vcc, 19, v0
	s_and_saveexec_b64 s[8:9], vcc
	s_cbranch_execz .LBB99_539
; %bb.536:
	v_mov_b32_e32 v79, 0
	v_add_u32_e32 v78, 0x128, v1
	v_add3_u32 v79, v1, v79, 8
	s_mov_b64 s[10:11], 0
	v_mov_b32_e32 v80, v0
.LBB99_537:                             ; =>This Inner Loop Header: Depth=1
	buffer_load_dword v82, v79, s[0:3], 0 offen
	buffer_load_dword v83, v79, s[0:3], 0 offen offset:4
	ds_read_b64 v[84:85], v78
	v_add_u32_e32 v80, 1, v80
	v_cmp_lt_u32_e32 vcc, 18, v80
	v_add_u32_e32 v78, 8, v78
	v_add_u32_e32 v79, 8, v79
	s_or_b64 s[10:11], vcc, s[10:11]
	s_waitcnt vmcnt(0) lgkmcnt(0)
	v_fmac_f64_e32 v[74:75], v[82:83], v[84:85]
	s_andn2_b64 exec, exec, s[10:11]
	s_cbranch_execnz .LBB99_537
; %bb.538:
	s_or_b64 exec, exec, s[10:11]
.LBB99_539:
	s_or_b64 exec, exec, s[8:9]
	v_mov_b32_e32 v78, 0
	ds_read_b64 v[78:79], v78 offset:160
	s_waitcnt lgkmcnt(0)
	v_mul_f64 v[74:75], v[74:75], v[78:79]
	buffer_store_dword v75, off, s[0:3], 0 offset:164
	buffer_store_dword v74, off, s[0:3], 0 offset:160
.LBB99_540:
	s_or_b64 exec, exec, s[6:7]
	buffer_load_dword v74, off, s[0:3], 0 offset:168
	buffer_load_dword v75, off, s[0:3], 0 offset:172
	v_cmp_gt_u32_e32 vcc, 21, v0
	s_waitcnt vmcnt(0)
	ds_write_b64 v76, v[74:75]
	s_waitcnt lgkmcnt(0)
	; wave barrier
	s_waitcnt lgkmcnt(0)
	s_and_saveexec_b64 s[6:7], vcc
	s_cbranch_execz .LBB99_550
; %bb.541:
	s_and_b64 vcc, exec, s[4:5]
	s_cbranch_vccnz .LBB99_543
; %bb.542:
	buffer_load_dword v74, v77, s[0:3], 0 offen
	buffer_load_dword v75, v77, s[0:3], 0 offen offset:4
	ds_read_b64 v[78:79], v76
	s_waitcnt vmcnt(0) lgkmcnt(0)
	v_mul_f64 v[74:75], v[74:75], v[78:79]
	s_cbranch_execz .LBB99_544
	s_branch .LBB99_545
.LBB99_543:
                                        ; implicit-def: $vgpr74_vgpr75
.LBB99_544:
	ds_read_b64 v[74:75], v76
.LBB99_545:
	v_cmp_ne_u32_e32 vcc, 20, v0
	s_and_saveexec_b64 s[8:9], vcc
	s_cbranch_execz .LBB99_549
; %bb.546:
	v_mov_b32_e32 v79, 0
	v_add_u32_e32 v78, 0x128, v1
	v_add3_u32 v79, v1, v79, 8
	s_mov_b64 s[10:11], 0
	v_mov_b32_e32 v80, v0
.LBB99_547:                             ; =>This Inner Loop Header: Depth=1
	buffer_load_dword v82, v79, s[0:3], 0 offen
	buffer_load_dword v83, v79, s[0:3], 0 offen offset:4
	ds_read_b64 v[84:85], v78
	v_add_u32_e32 v80, 1, v80
	v_cmp_lt_u32_e32 vcc, 19, v80
	v_add_u32_e32 v78, 8, v78
	v_add_u32_e32 v79, 8, v79
	s_or_b64 s[10:11], vcc, s[10:11]
	s_waitcnt vmcnt(0) lgkmcnt(0)
	v_fmac_f64_e32 v[74:75], v[82:83], v[84:85]
	s_andn2_b64 exec, exec, s[10:11]
	s_cbranch_execnz .LBB99_547
; %bb.548:
	s_or_b64 exec, exec, s[10:11]
.LBB99_549:
	s_or_b64 exec, exec, s[8:9]
	v_mov_b32_e32 v78, 0
	ds_read_b64 v[78:79], v78 offset:168
	s_waitcnt lgkmcnt(0)
	v_mul_f64 v[74:75], v[74:75], v[78:79]
	buffer_store_dword v75, off, s[0:3], 0 offset:172
	buffer_store_dword v74, off, s[0:3], 0 offset:168
.LBB99_550:
	s_or_b64 exec, exec, s[6:7]
	buffer_load_dword v74, off, s[0:3], 0 offset:176
	buffer_load_dword v75, off, s[0:3], 0 offset:180
	v_cmp_gt_u32_e32 vcc, 22, v0
	s_waitcnt vmcnt(0)
	ds_write_b64 v76, v[74:75]
	s_waitcnt lgkmcnt(0)
	; wave barrier
	s_waitcnt lgkmcnt(0)
	s_and_saveexec_b64 s[6:7], vcc
	s_cbranch_execz .LBB99_560
; %bb.551:
	s_and_b64 vcc, exec, s[4:5]
	s_cbranch_vccnz .LBB99_553
; %bb.552:
	buffer_load_dword v74, v77, s[0:3], 0 offen
	buffer_load_dword v75, v77, s[0:3], 0 offen offset:4
	ds_read_b64 v[78:79], v76
	s_waitcnt vmcnt(0) lgkmcnt(0)
	v_mul_f64 v[74:75], v[74:75], v[78:79]
	s_cbranch_execz .LBB99_554
	s_branch .LBB99_555
.LBB99_553:
                                        ; implicit-def: $vgpr74_vgpr75
.LBB99_554:
	ds_read_b64 v[74:75], v76
.LBB99_555:
	v_cmp_ne_u32_e32 vcc, 21, v0
	s_and_saveexec_b64 s[8:9], vcc
	s_cbranch_execz .LBB99_559
; %bb.556:
	v_mov_b32_e32 v79, 0
	v_add_u32_e32 v78, 0x128, v1
	v_add3_u32 v79, v1, v79, 8
	s_mov_b64 s[10:11], 0
	v_mov_b32_e32 v80, v0
.LBB99_557:                             ; =>This Inner Loop Header: Depth=1
	buffer_load_dword v82, v79, s[0:3], 0 offen
	buffer_load_dword v83, v79, s[0:3], 0 offen offset:4
	ds_read_b64 v[84:85], v78
	v_add_u32_e32 v80, 1, v80
	v_cmp_lt_u32_e32 vcc, 20, v80
	v_add_u32_e32 v78, 8, v78
	v_add_u32_e32 v79, 8, v79
	s_or_b64 s[10:11], vcc, s[10:11]
	s_waitcnt vmcnt(0) lgkmcnt(0)
	v_fmac_f64_e32 v[74:75], v[82:83], v[84:85]
	s_andn2_b64 exec, exec, s[10:11]
	s_cbranch_execnz .LBB99_557
; %bb.558:
	s_or_b64 exec, exec, s[10:11]
.LBB99_559:
	s_or_b64 exec, exec, s[8:9]
	v_mov_b32_e32 v78, 0
	ds_read_b64 v[78:79], v78 offset:176
	s_waitcnt lgkmcnt(0)
	v_mul_f64 v[74:75], v[74:75], v[78:79]
	buffer_store_dword v75, off, s[0:3], 0 offset:180
	buffer_store_dword v74, off, s[0:3], 0 offset:176
.LBB99_560:
	s_or_b64 exec, exec, s[6:7]
	buffer_load_dword v74, off, s[0:3], 0 offset:184
	buffer_load_dword v75, off, s[0:3], 0 offset:188
	v_cmp_gt_u32_e32 vcc, 23, v0
	s_waitcnt vmcnt(0)
	ds_write_b64 v76, v[74:75]
	s_waitcnt lgkmcnt(0)
	; wave barrier
	s_waitcnt lgkmcnt(0)
	s_and_saveexec_b64 s[6:7], vcc
	s_cbranch_execz .LBB99_570
; %bb.561:
	s_and_b64 vcc, exec, s[4:5]
	s_cbranch_vccnz .LBB99_563
; %bb.562:
	buffer_load_dword v74, v77, s[0:3], 0 offen
	buffer_load_dword v75, v77, s[0:3], 0 offen offset:4
	ds_read_b64 v[78:79], v76
	s_waitcnt vmcnt(0) lgkmcnt(0)
	v_mul_f64 v[74:75], v[74:75], v[78:79]
	s_cbranch_execz .LBB99_564
	s_branch .LBB99_565
.LBB99_563:
                                        ; implicit-def: $vgpr74_vgpr75
.LBB99_564:
	ds_read_b64 v[74:75], v76
.LBB99_565:
	v_cmp_ne_u32_e32 vcc, 22, v0
	s_and_saveexec_b64 s[8:9], vcc
	s_cbranch_execz .LBB99_569
; %bb.566:
	v_mov_b32_e32 v79, 0
	v_add_u32_e32 v78, 0x128, v1
	v_add3_u32 v79, v1, v79, 8
	s_mov_b64 s[10:11], 0
	v_mov_b32_e32 v80, v0
.LBB99_567:                             ; =>This Inner Loop Header: Depth=1
	buffer_load_dword v82, v79, s[0:3], 0 offen
	buffer_load_dword v83, v79, s[0:3], 0 offen offset:4
	ds_read_b64 v[84:85], v78
	v_add_u32_e32 v80, 1, v80
	v_cmp_lt_u32_e32 vcc, 21, v80
	v_add_u32_e32 v78, 8, v78
	v_add_u32_e32 v79, 8, v79
	s_or_b64 s[10:11], vcc, s[10:11]
	s_waitcnt vmcnt(0) lgkmcnt(0)
	v_fmac_f64_e32 v[74:75], v[82:83], v[84:85]
	s_andn2_b64 exec, exec, s[10:11]
	s_cbranch_execnz .LBB99_567
; %bb.568:
	s_or_b64 exec, exec, s[10:11]
.LBB99_569:
	s_or_b64 exec, exec, s[8:9]
	v_mov_b32_e32 v78, 0
	ds_read_b64 v[78:79], v78 offset:184
	s_waitcnt lgkmcnt(0)
	v_mul_f64 v[74:75], v[74:75], v[78:79]
	buffer_store_dword v75, off, s[0:3], 0 offset:188
	buffer_store_dword v74, off, s[0:3], 0 offset:184
.LBB99_570:
	s_or_b64 exec, exec, s[6:7]
	buffer_load_dword v74, off, s[0:3], 0 offset:192
	buffer_load_dword v75, off, s[0:3], 0 offset:196
	v_cmp_gt_u32_e32 vcc, 24, v0
	s_waitcnt vmcnt(0)
	ds_write_b64 v76, v[74:75]
	s_waitcnt lgkmcnt(0)
	; wave barrier
	s_waitcnt lgkmcnt(0)
	s_and_saveexec_b64 s[6:7], vcc
	s_cbranch_execz .LBB99_580
; %bb.571:
	s_and_b64 vcc, exec, s[4:5]
	s_cbranch_vccnz .LBB99_573
; %bb.572:
	buffer_load_dword v74, v77, s[0:3], 0 offen
	buffer_load_dword v75, v77, s[0:3], 0 offen offset:4
	ds_read_b64 v[78:79], v76
	s_waitcnt vmcnt(0) lgkmcnt(0)
	v_mul_f64 v[74:75], v[74:75], v[78:79]
	s_cbranch_execz .LBB99_574
	s_branch .LBB99_575
.LBB99_573:
                                        ; implicit-def: $vgpr74_vgpr75
.LBB99_574:
	ds_read_b64 v[74:75], v76
.LBB99_575:
	v_cmp_ne_u32_e32 vcc, 23, v0
	s_and_saveexec_b64 s[8:9], vcc
	s_cbranch_execz .LBB99_579
; %bb.576:
	v_mov_b32_e32 v79, 0
	v_add_u32_e32 v78, 0x128, v1
	v_add3_u32 v79, v1, v79, 8
	s_mov_b64 s[10:11], 0
	v_mov_b32_e32 v80, v0
.LBB99_577:                             ; =>This Inner Loop Header: Depth=1
	buffer_load_dword v82, v79, s[0:3], 0 offen
	buffer_load_dword v83, v79, s[0:3], 0 offen offset:4
	ds_read_b64 v[84:85], v78
	v_add_u32_e32 v80, 1, v80
	v_cmp_lt_u32_e32 vcc, 22, v80
	v_add_u32_e32 v78, 8, v78
	v_add_u32_e32 v79, 8, v79
	s_or_b64 s[10:11], vcc, s[10:11]
	s_waitcnt vmcnt(0) lgkmcnt(0)
	v_fmac_f64_e32 v[74:75], v[82:83], v[84:85]
	s_andn2_b64 exec, exec, s[10:11]
	s_cbranch_execnz .LBB99_577
; %bb.578:
	s_or_b64 exec, exec, s[10:11]
.LBB99_579:
	s_or_b64 exec, exec, s[8:9]
	v_mov_b32_e32 v78, 0
	ds_read_b64 v[78:79], v78 offset:192
	s_waitcnt lgkmcnt(0)
	v_mul_f64 v[74:75], v[74:75], v[78:79]
	buffer_store_dword v75, off, s[0:3], 0 offset:196
	buffer_store_dword v74, off, s[0:3], 0 offset:192
.LBB99_580:
	s_or_b64 exec, exec, s[6:7]
	buffer_load_dword v74, off, s[0:3], 0 offset:200
	buffer_load_dword v75, off, s[0:3], 0 offset:204
	v_cmp_gt_u32_e32 vcc, 25, v0
	s_waitcnt vmcnt(0)
	ds_write_b64 v76, v[74:75]
	s_waitcnt lgkmcnt(0)
	; wave barrier
	s_waitcnt lgkmcnt(0)
	s_and_saveexec_b64 s[6:7], vcc
	s_cbranch_execz .LBB99_590
; %bb.581:
	s_and_b64 vcc, exec, s[4:5]
	s_cbranch_vccnz .LBB99_583
; %bb.582:
	buffer_load_dword v74, v77, s[0:3], 0 offen
	buffer_load_dword v75, v77, s[0:3], 0 offen offset:4
	ds_read_b64 v[78:79], v76
	s_waitcnt vmcnt(0) lgkmcnt(0)
	v_mul_f64 v[74:75], v[74:75], v[78:79]
	s_cbranch_execz .LBB99_584
	s_branch .LBB99_585
.LBB99_583:
                                        ; implicit-def: $vgpr74_vgpr75
.LBB99_584:
	ds_read_b64 v[74:75], v76
.LBB99_585:
	v_cmp_ne_u32_e32 vcc, 24, v0
	s_and_saveexec_b64 s[8:9], vcc
	s_cbranch_execz .LBB99_589
; %bb.586:
	v_mov_b32_e32 v79, 0
	v_add_u32_e32 v78, 0x128, v1
	v_add3_u32 v79, v1, v79, 8
	s_mov_b64 s[10:11], 0
	v_mov_b32_e32 v80, v0
.LBB99_587:                             ; =>This Inner Loop Header: Depth=1
	buffer_load_dword v82, v79, s[0:3], 0 offen
	buffer_load_dword v83, v79, s[0:3], 0 offen offset:4
	ds_read_b64 v[84:85], v78
	v_add_u32_e32 v80, 1, v80
	v_cmp_lt_u32_e32 vcc, 23, v80
	v_add_u32_e32 v78, 8, v78
	v_add_u32_e32 v79, 8, v79
	s_or_b64 s[10:11], vcc, s[10:11]
	s_waitcnt vmcnt(0) lgkmcnt(0)
	v_fmac_f64_e32 v[74:75], v[82:83], v[84:85]
	s_andn2_b64 exec, exec, s[10:11]
	s_cbranch_execnz .LBB99_587
; %bb.588:
	s_or_b64 exec, exec, s[10:11]
.LBB99_589:
	s_or_b64 exec, exec, s[8:9]
	v_mov_b32_e32 v78, 0
	ds_read_b64 v[78:79], v78 offset:200
	s_waitcnt lgkmcnt(0)
	v_mul_f64 v[74:75], v[74:75], v[78:79]
	buffer_store_dword v75, off, s[0:3], 0 offset:204
	buffer_store_dword v74, off, s[0:3], 0 offset:200
.LBB99_590:
	s_or_b64 exec, exec, s[6:7]
	buffer_load_dword v74, off, s[0:3], 0 offset:208
	buffer_load_dword v75, off, s[0:3], 0 offset:212
	v_cmp_gt_u32_e32 vcc, 26, v0
	s_waitcnt vmcnt(0)
	ds_write_b64 v76, v[74:75]
	s_waitcnt lgkmcnt(0)
	; wave barrier
	s_waitcnt lgkmcnt(0)
	s_and_saveexec_b64 s[6:7], vcc
	s_cbranch_execz .LBB99_600
; %bb.591:
	s_and_b64 vcc, exec, s[4:5]
	s_cbranch_vccnz .LBB99_593
; %bb.592:
	buffer_load_dword v74, v77, s[0:3], 0 offen
	buffer_load_dword v75, v77, s[0:3], 0 offen offset:4
	ds_read_b64 v[78:79], v76
	s_waitcnt vmcnt(0) lgkmcnt(0)
	v_mul_f64 v[74:75], v[74:75], v[78:79]
	s_cbranch_execz .LBB99_594
	s_branch .LBB99_595
.LBB99_593:
                                        ; implicit-def: $vgpr74_vgpr75
.LBB99_594:
	ds_read_b64 v[74:75], v76
.LBB99_595:
	v_cmp_ne_u32_e32 vcc, 25, v0
	s_and_saveexec_b64 s[8:9], vcc
	s_cbranch_execz .LBB99_599
; %bb.596:
	v_mov_b32_e32 v79, 0
	v_add_u32_e32 v78, 0x128, v1
	v_add3_u32 v79, v1, v79, 8
	s_mov_b64 s[10:11], 0
	v_mov_b32_e32 v80, v0
.LBB99_597:                             ; =>This Inner Loop Header: Depth=1
	buffer_load_dword v82, v79, s[0:3], 0 offen
	buffer_load_dword v83, v79, s[0:3], 0 offen offset:4
	ds_read_b64 v[84:85], v78
	v_add_u32_e32 v80, 1, v80
	v_cmp_lt_u32_e32 vcc, 24, v80
	v_add_u32_e32 v78, 8, v78
	v_add_u32_e32 v79, 8, v79
	s_or_b64 s[10:11], vcc, s[10:11]
	s_waitcnt vmcnt(0) lgkmcnt(0)
	v_fmac_f64_e32 v[74:75], v[82:83], v[84:85]
	s_andn2_b64 exec, exec, s[10:11]
	s_cbranch_execnz .LBB99_597
; %bb.598:
	s_or_b64 exec, exec, s[10:11]
.LBB99_599:
	s_or_b64 exec, exec, s[8:9]
	v_mov_b32_e32 v78, 0
	ds_read_b64 v[78:79], v78 offset:208
	s_waitcnt lgkmcnt(0)
	v_mul_f64 v[74:75], v[74:75], v[78:79]
	buffer_store_dword v75, off, s[0:3], 0 offset:212
	buffer_store_dword v74, off, s[0:3], 0 offset:208
.LBB99_600:
	s_or_b64 exec, exec, s[6:7]
	buffer_load_dword v74, off, s[0:3], 0 offset:216
	buffer_load_dword v75, off, s[0:3], 0 offset:220
	v_cmp_gt_u32_e32 vcc, 27, v0
	s_waitcnt vmcnt(0)
	ds_write_b64 v76, v[74:75]
	s_waitcnt lgkmcnt(0)
	; wave barrier
	s_waitcnt lgkmcnt(0)
	s_and_saveexec_b64 s[6:7], vcc
	s_cbranch_execz .LBB99_610
; %bb.601:
	s_and_b64 vcc, exec, s[4:5]
	s_cbranch_vccnz .LBB99_603
; %bb.602:
	buffer_load_dword v74, v77, s[0:3], 0 offen
	buffer_load_dword v75, v77, s[0:3], 0 offen offset:4
	ds_read_b64 v[78:79], v76
	s_waitcnt vmcnt(0) lgkmcnt(0)
	v_mul_f64 v[74:75], v[74:75], v[78:79]
	s_cbranch_execz .LBB99_604
	s_branch .LBB99_605
.LBB99_603:
                                        ; implicit-def: $vgpr74_vgpr75
.LBB99_604:
	ds_read_b64 v[74:75], v76
.LBB99_605:
	v_cmp_ne_u32_e32 vcc, 26, v0
	s_and_saveexec_b64 s[8:9], vcc
	s_cbranch_execz .LBB99_609
; %bb.606:
	v_mov_b32_e32 v79, 0
	v_add_u32_e32 v78, 0x128, v1
	v_add3_u32 v79, v1, v79, 8
	s_mov_b64 s[10:11], 0
	v_mov_b32_e32 v80, v0
.LBB99_607:                             ; =>This Inner Loop Header: Depth=1
	buffer_load_dword v82, v79, s[0:3], 0 offen
	buffer_load_dword v83, v79, s[0:3], 0 offen offset:4
	ds_read_b64 v[84:85], v78
	v_add_u32_e32 v80, 1, v80
	v_cmp_lt_u32_e32 vcc, 25, v80
	v_add_u32_e32 v78, 8, v78
	v_add_u32_e32 v79, 8, v79
	s_or_b64 s[10:11], vcc, s[10:11]
	s_waitcnt vmcnt(0) lgkmcnt(0)
	v_fmac_f64_e32 v[74:75], v[82:83], v[84:85]
	s_andn2_b64 exec, exec, s[10:11]
	s_cbranch_execnz .LBB99_607
; %bb.608:
	s_or_b64 exec, exec, s[10:11]
.LBB99_609:
	s_or_b64 exec, exec, s[8:9]
	v_mov_b32_e32 v78, 0
	ds_read_b64 v[78:79], v78 offset:216
	s_waitcnt lgkmcnt(0)
	v_mul_f64 v[74:75], v[74:75], v[78:79]
	buffer_store_dword v75, off, s[0:3], 0 offset:220
	buffer_store_dword v74, off, s[0:3], 0 offset:216
.LBB99_610:
	s_or_b64 exec, exec, s[6:7]
	buffer_load_dword v74, off, s[0:3], 0 offset:224
	buffer_load_dword v75, off, s[0:3], 0 offset:228
	v_cmp_gt_u32_e32 vcc, 28, v0
	s_waitcnt vmcnt(0)
	ds_write_b64 v76, v[74:75]
	s_waitcnt lgkmcnt(0)
	; wave barrier
	s_waitcnt lgkmcnt(0)
	s_and_saveexec_b64 s[6:7], vcc
	s_cbranch_execz .LBB99_620
; %bb.611:
	s_and_b64 vcc, exec, s[4:5]
	s_cbranch_vccnz .LBB99_613
; %bb.612:
	buffer_load_dword v74, v77, s[0:3], 0 offen
	buffer_load_dword v75, v77, s[0:3], 0 offen offset:4
	ds_read_b64 v[78:79], v76
	s_waitcnt vmcnt(0) lgkmcnt(0)
	v_mul_f64 v[74:75], v[74:75], v[78:79]
	s_cbranch_execz .LBB99_614
	s_branch .LBB99_615
.LBB99_613:
                                        ; implicit-def: $vgpr74_vgpr75
.LBB99_614:
	ds_read_b64 v[74:75], v76
.LBB99_615:
	v_cmp_ne_u32_e32 vcc, 27, v0
	s_and_saveexec_b64 s[8:9], vcc
	s_cbranch_execz .LBB99_619
; %bb.616:
	v_mov_b32_e32 v79, 0
	v_add_u32_e32 v78, 0x128, v1
	v_add3_u32 v79, v1, v79, 8
	s_mov_b64 s[10:11], 0
	v_mov_b32_e32 v80, v0
.LBB99_617:                             ; =>This Inner Loop Header: Depth=1
	buffer_load_dword v82, v79, s[0:3], 0 offen
	buffer_load_dword v83, v79, s[0:3], 0 offen offset:4
	ds_read_b64 v[84:85], v78
	v_add_u32_e32 v80, 1, v80
	v_cmp_lt_u32_e32 vcc, 26, v80
	v_add_u32_e32 v78, 8, v78
	v_add_u32_e32 v79, 8, v79
	s_or_b64 s[10:11], vcc, s[10:11]
	s_waitcnt vmcnt(0) lgkmcnt(0)
	v_fmac_f64_e32 v[74:75], v[82:83], v[84:85]
	s_andn2_b64 exec, exec, s[10:11]
	s_cbranch_execnz .LBB99_617
; %bb.618:
	s_or_b64 exec, exec, s[10:11]
.LBB99_619:
	s_or_b64 exec, exec, s[8:9]
	v_mov_b32_e32 v78, 0
	ds_read_b64 v[78:79], v78 offset:224
	s_waitcnt lgkmcnt(0)
	v_mul_f64 v[74:75], v[74:75], v[78:79]
	buffer_store_dword v75, off, s[0:3], 0 offset:228
	buffer_store_dword v74, off, s[0:3], 0 offset:224
.LBB99_620:
	s_or_b64 exec, exec, s[6:7]
	buffer_load_dword v74, off, s[0:3], 0 offset:232
	buffer_load_dword v75, off, s[0:3], 0 offset:236
	v_cmp_gt_u32_e32 vcc, 29, v0
	s_waitcnt vmcnt(0)
	ds_write_b64 v76, v[74:75]
	s_waitcnt lgkmcnt(0)
	; wave barrier
	s_waitcnt lgkmcnt(0)
	s_and_saveexec_b64 s[6:7], vcc
	s_cbranch_execz .LBB99_630
; %bb.621:
	s_and_b64 vcc, exec, s[4:5]
	s_cbranch_vccnz .LBB99_623
; %bb.622:
	buffer_load_dword v74, v77, s[0:3], 0 offen
	buffer_load_dword v75, v77, s[0:3], 0 offen offset:4
	ds_read_b64 v[78:79], v76
	s_waitcnt vmcnt(0) lgkmcnt(0)
	v_mul_f64 v[74:75], v[74:75], v[78:79]
	s_cbranch_execz .LBB99_624
	s_branch .LBB99_625
.LBB99_623:
                                        ; implicit-def: $vgpr74_vgpr75
.LBB99_624:
	ds_read_b64 v[74:75], v76
.LBB99_625:
	v_cmp_ne_u32_e32 vcc, 28, v0
	s_and_saveexec_b64 s[8:9], vcc
	s_cbranch_execz .LBB99_629
; %bb.626:
	v_mov_b32_e32 v79, 0
	v_add_u32_e32 v78, 0x128, v1
	v_add3_u32 v79, v1, v79, 8
	s_mov_b64 s[10:11], 0
	v_mov_b32_e32 v80, v0
.LBB99_627:                             ; =>This Inner Loop Header: Depth=1
	buffer_load_dword v82, v79, s[0:3], 0 offen
	buffer_load_dword v83, v79, s[0:3], 0 offen offset:4
	ds_read_b64 v[84:85], v78
	v_add_u32_e32 v80, 1, v80
	v_cmp_lt_u32_e32 vcc, 27, v80
	v_add_u32_e32 v78, 8, v78
	v_add_u32_e32 v79, 8, v79
	s_or_b64 s[10:11], vcc, s[10:11]
	s_waitcnt vmcnt(0) lgkmcnt(0)
	v_fmac_f64_e32 v[74:75], v[82:83], v[84:85]
	s_andn2_b64 exec, exec, s[10:11]
	s_cbranch_execnz .LBB99_627
; %bb.628:
	s_or_b64 exec, exec, s[10:11]
.LBB99_629:
	s_or_b64 exec, exec, s[8:9]
	v_mov_b32_e32 v78, 0
	ds_read_b64 v[78:79], v78 offset:232
	s_waitcnt lgkmcnt(0)
	v_mul_f64 v[74:75], v[74:75], v[78:79]
	buffer_store_dword v75, off, s[0:3], 0 offset:236
	buffer_store_dword v74, off, s[0:3], 0 offset:232
.LBB99_630:
	s_or_b64 exec, exec, s[6:7]
	buffer_load_dword v74, off, s[0:3], 0 offset:240
	buffer_load_dword v75, off, s[0:3], 0 offset:244
	v_cmp_gt_u32_e32 vcc, 30, v0
	s_waitcnt vmcnt(0)
	ds_write_b64 v76, v[74:75]
	s_waitcnt lgkmcnt(0)
	; wave barrier
	s_waitcnt lgkmcnt(0)
	s_and_saveexec_b64 s[6:7], vcc
	s_cbranch_execz .LBB99_640
; %bb.631:
	s_and_b64 vcc, exec, s[4:5]
	s_cbranch_vccnz .LBB99_633
; %bb.632:
	buffer_load_dword v74, v77, s[0:3], 0 offen
	buffer_load_dword v75, v77, s[0:3], 0 offen offset:4
	ds_read_b64 v[78:79], v76
	s_waitcnt vmcnt(0) lgkmcnt(0)
	v_mul_f64 v[74:75], v[74:75], v[78:79]
	s_cbranch_execz .LBB99_634
	s_branch .LBB99_635
.LBB99_633:
                                        ; implicit-def: $vgpr74_vgpr75
.LBB99_634:
	ds_read_b64 v[74:75], v76
.LBB99_635:
	v_cmp_ne_u32_e32 vcc, 29, v0
	s_and_saveexec_b64 s[8:9], vcc
	s_cbranch_execz .LBB99_639
; %bb.636:
	v_mov_b32_e32 v79, 0
	v_add_u32_e32 v78, 0x128, v1
	v_add3_u32 v79, v1, v79, 8
	s_mov_b64 s[10:11], 0
	v_mov_b32_e32 v80, v0
.LBB99_637:                             ; =>This Inner Loop Header: Depth=1
	buffer_load_dword v82, v79, s[0:3], 0 offen
	buffer_load_dword v83, v79, s[0:3], 0 offen offset:4
	ds_read_b64 v[84:85], v78
	v_add_u32_e32 v80, 1, v80
	v_cmp_lt_u32_e32 vcc, 28, v80
	v_add_u32_e32 v78, 8, v78
	v_add_u32_e32 v79, 8, v79
	s_or_b64 s[10:11], vcc, s[10:11]
	s_waitcnt vmcnt(0) lgkmcnt(0)
	v_fmac_f64_e32 v[74:75], v[82:83], v[84:85]
	s_andn2_b64 exec, exec, s[10:11]
	s_cbranch_execnz .LBB99_637
; %bb.638:
	s_or_b64 exec, exec, s[10:11]
.LBB99_639:
	s_or_b64 exec, exec, s[8:9]
	v_mov_b32_e32 v78, 0
	ds_read_b64 v[78:79], v78 offset:240
	s_waitcnt lgkmcnt(0)
	v_mul_f64 v[74:75], v[74:75], v[78:79]
	buffer_store_dword v75, off, s[0:3], 0 offset:244
	buffer_store_dword v74, off, s[0:3], 0 offset:240
.LBB99_640:
	s_or_b64 exec, exec, s[6:7]
	buffer_load_dword v74, off, s[0:3], 0 offset:248
	buffer_load_dword v75, off, s[0:3], 0 offset:252
	v_cmp_gt_u32_e32 vcc, 31, v0
	s_waitcnt vmcnt(0)
	ds_write_b64 v76, v[74:75]
	s_waitcnt lgkmcnt(0)
	; wave barrier
	s_waitcnt lgkmcnt(0)
	s_and_saveexec_b64 s[6:7], vcc
	s_cbranch_execz .LBB99_650
; %bb.641:
	s_and_b64 vcc, exec, s[4:5]
	s_cbranch_vccnz .LBB99_643
; %bb.642:
	buffer_load_dword v74, v77, s[0:3], 0 offen
	buffer_load_dword v75, v77, s[0:3], 0 offen offset:4
	ds_read_b64 v[78:79], v76
	s_waitcnt vmcnt(0) lgkmcnt(0)
	v_mul_f64 v[74:75], v[74:75], v[78:79]
	s_cbranch_execz .LBB99_644
	s_branch .LBB99_645
.LBB99_643:
                                        ; implicit-def: $vgpr74_vgpr75
.LBB99_644:
	ds_read_b64 v[74:75], v76
.LBB99_645:
	v_cmp_ne_u32_e32 vcc, 30, v0
	s_and_saveexec_b64 s[8:9], vcc
	s_cbranch_execz .LBB99_649
; %bb.646:
	v_mov_b32_e32 v79, 0
	v_add_u32_e32 v78, 0x128, v1
	v_add3_u32 v79, v1, v79, 8
	s_mov_b64 s[10:11], 0
	v_mov_b32_e32 v80, v0
.LBB99_647:                             ; =>This Inner Loop Header: Depth=1
	buffer_load_dword v82, v79, s[0:3], 0 offen
	buffer_load_dword v83, v79, s[0:3], 0 offen offset:4
	ds_read_b64 v[84:85], v78
	v_add_u32_e32 v80, 1, v80
	v_cmp_lt_u32_e32 vcc, 29, v80
	v_add_u32_e32 v78, 8, v78
	v_add_u32_e32 v79, 8, v79
	s_or_b64 s[10:11], vcc, s[10:11]
	s_waitcnt vmcnt(0) lgkmcnt(0)
	v_fmac_f64_e32 v[74:75], v[82:83], v[84:85]
	s_andn2_b64 exec, exec, s[10:11]
	s_cbranch_execnz .LBB99_647
; %bb.648:
	s_or_b64 exec, exec, s[10:11]
.LBB99_649:
	s_or_b64 exec, exec, s[8:9]
	v_mov_b32_e32 v78, 0
	ds_read_b64 v[78:79], v78 offset:248
	s_waitcnt lgkmcnt(0)
	v_mul_f64 v[74:75], v[74:75], v[78:79]
	buffer_store_dword v75, off, s[0:3], 0 offset:252
	buffer_store_dword v74, off, s[0:3], 0 offset:248
.LBB99_650:
	s_or_b64 exec, exec, s[6:7]
	buffer_load_dword v74, off, s[0:3], 0 offset:256
	buffer_load_dword v75, off, s[0:3], 0 offset:260
	v_cmp_gt_u32_e32 vcc, 32, v0
	s_waitcnt vmcnt(0)
	ds_write_b64 v76, v[74:75]
	s_waitcnt lgkmcnt(0)
	; wave barrier
	s_waitcnt lgkmcnt(0)
	s_and_saveexec_b64 s[6:7], vcc
	s_cbranch_execz .LBB99_660
; %bb.651:
	s_and_b64 vcc, exec, s[4:5]
	s_cbranch_vccnz .LBB99_653
; %bb.652:
	buffer_load_dword v74, v77, s[0:3], 0 offen
	buffer_load_dword v75, v77, s[0:3], 0 offen offset:4
	ds_read_b64 v[78:79], v76
	s_waitcnt vmcnt(0) lgkmcnt(0)
	v_mul_f64 v[74:75], v[74:75], v[78:79]
	s_cbranch_execz .LBB99_654
	s_branch .LBB99_655
.LBB99_653:
                                        ; implicit-def: $vgpr74_vgpr75
.LBB99_654:
	ds_read_b64 v[74:75], v76
.LBB99_655:
	v_cmp_ne_u32_e32 vcc, 31, v0
	s_and_saveexec_b64 s[8:9], vcc
	s_cbranch_execz .LBB99_659
; %bb.656:
	v_mov_b32_e32 v79, 0
	v_add_u32_e32 v78, 0x128, v1
	v_add3_u32 v79, v1, v79, 8
	s_mov_b64 s[10:11], 0
	v_mov_b32_e32 v80, v0
.LBB99_657:                             ; =>This Inner Loop Header: Depth=1
	buffer_load_dword v82, v79, s[0:3], 0 offen
	buffer_load_dword v83, v79, s[0:3], 0 offen offset:4
	ds_read_b64 v[84:85], v78
	v_add_u32_e32 v80, 1, v80
	v_cmp_lt_u32_e32 vcc, 30, v80
	v_add_u32_e32 v78, 8, v78
	v_add_u32_e32 v79, 8, v79
	s_or_b64 s[10:11], vcc, s[10:11]
	s_waitcnt vmcnt(0) lgkmcnt(0)
	v_fmac_f64_e32 v[74:75], v[82:83], v[84:85]
	s_andn2_b64 exec, exec, s[10:11]
	s_cbranch_execnz .LBB99_657
; %bb.658:
	s_or_b64 exec, exec, s[10:11]
.LBB99_659:
	s_or_b64 exec, exec, s[8:9]
	v_mov_b32_e32 v78, 0
	ds_read_b64 v[78:79], v78 offset:256
	s_waitcnt lgkmcnt(0)
	v_mul_f64 v[74:75], v[74:75], v[78:79]
	buffer_store_dword v75, off, s[0:3], 0 offset:260
	buffer_store_dword v74, off, s[0:3], 0 offset:256
.LBB99_660:
	s_or_b64 exec, exec, s[6:7]
	buffer_load_dword v74, off, s[0:3], 0 offset:264
	buffer_load_dword v75, off, s[0:3], 0 offset:268
	v_cmp_gt_u32_e32 vcc, 33, v0
	s_waitcnt vmcnt(0)
	ds_write_b64 v76, v[74:75]
	s_waitcnt lgkmcnt(0)
	; wave barrier
	s_waitcnt lgkmcnt(0)
	s_and_saveexec_b64 s[6:7], vcc
	s_cbranch_execz .LBB99_670
; %bb.661:
	s_and_b64 vcc, exec, s[4:5]
	s_cbranch_vccnz .LBB99_663
; %bb.662:
	buffer_load_dword v74, v77, s[0:3], 0 offen
	buffer_load_dword v75, v77, s[0:3], 0 offen offset:4
	ds_read_b64 v[78:79], v76
	s_waitcnt vmcnt(0) lgkmcnt(0)
	v_mul_f64 v[74:75], v[74:75], v[78:79]
	s_cbranch_execz .LBB99_664
	s_branch .LBB99_665
.LBB99_663:
                                        ; implicit-def: $vgpr74_vgpr75
.LBB99_664:
	ds_read_b64 v[74:75], v76
.LBB99_665:
	v_cmp_ne_u32_e32 vcc, 32, v0
	s_and_saveexec_b64 s[8:9], vcc
	s_cbranch_execz .LBB99_669
; %bb.666:
	v_mov_b32_e32 v79, 0
	v_add_u32_e32 v78, 0x128, v1
	v_add3_u32 v79, v1, v79, 8
	s_mov_b64 s[10:11], 0
	v_mov_b32_e32 v80, v0
.LBB99_667:                             ; =>This Inner Loop Header: Depth=1
	buffer_load_dword v82, v79, s[0:3], 0 offen
	buffer_load_dword v83, v79, s[0:3], 0 offen offset:4
	ds_read_b64 v[84:85], v78
	v_add_u32_e32 v80, 1, v80
	v_cmp_lt_u32_e32 vcc, 31, v80
	v_add_u32_e32 v78, 8, v78
	v_add_u32_e32 v79, 8, v79
	s_or_b64 s[10:11], vcc, s[10:11]
	s_waitcnt vmcnt(0) lgkmcnt(0)
	v_fmac_f64_e32 v[74:75], v[82:83], v[84:85]
	s_andn2_b64 exec, exec, s[10:11]
	s_cbranch_execnz .LBB99_667
; %bb.668:
	s_or_b64 exec, exec, s[10:11]
.LBB99_669:
	s_or_b64 exec, exec, s[8:9]
	v_mov_b32_e32 v78, 0
	ds_read_b64 v[78:79], v78 offset:264
	s_waitcnt lgkmcnt(0)
	v_mul_f64 v[74:75], v[74:75], v[78:79]
	buffer_store_dword v75, off, s[0:3], 0 offset:268
	buffer_store_dword v74, off, s[0:3], 0 offset:264
.LBB99_670:
	s_or_b64 exec, exec, s[6:7]
	buffer_load_dword v74, off, s[0:3], 0 offset:272
	buffer_load_dword v75, off, s[0:3], 0 offset:276
	v_cmp_gt_u32_e64 s[6:7], 34, v0
	s_waitcnt vmcnt(0)
	ds_write_b64 v76, v[74:75]
	s_waitcnt lgkmcnt(0)
	; wave barrier
	s_waitcnt lgkmcnt(0)
	s_and_saveexec_b64 s[8:9], s[6:7]
	s_cbranch_execz .LBB99_680
; %bb.671:
	s_and_b64 vcc, exec, s[4:5]
	s_cbranch_vccnz .LBB99_673
; %bb.672:
	buffer_load_dword v74, v77, s[0:3], 0 offen
	buffer_load_dword v75, v77, s[0:3], 0 offen offset:4
	ds_read_b64 v[78:79], v76
	s_waitcnt vmcnt(0) lgkmcnt(0)
	v_mul_f64 v[74:75], v[74:75], v[78:79]
	s_cbranch_execz .LBB99_674
	s_branch .LBB99_675
.LBB99_673:
                                        ; implicit-def: $vgpr74_vgpr75
.LBB99_674:
	ds_read_b64 v[74:75], v76
.LBB99_675:
	v_cmp_ne_u32_e32 vcc, 33, v0
	s_and_saveexec_b64 s[10:11], vcc
	s_cbranch_execz .LBB99_679
; %bb.676:
	v_mov_b32_e32 v79, 0
	v_add_u32_e32 v78, 0x128, v1
	v_add3_u32 v79, v1, v79, 8
	s_mov_b64 s[12:13], 0
	v_mov_b32_e32 v80, v0
.LBB99_677:                             ; =>This Inner Loop Header: Depth=1
	buffer_load_dword v82, v79, s[0:3], 0 offen
	buffer_load_dword v83, v79, s[0:3], 0 offen offset:4
	ds_read_b64 v[84:85], v78
	v_add_u32_e32 v80, 1, v80
	v_cmp_lt_u32_e32 vcc, 32, v80
	v_add_u32_e32 v78, 8, v78
	v_add_u32_e32 v79, 8, v79
	s_or_b64 s[12:13], vcc, s[12:13]
	s_waitcnt vmcnt(0) lgkmcnt(0)
	v_fmac_f64_e32 v[74:75], v[82:83], v[84:85]
	s_andn2_b64 exec, exec, s[12:13]
	s_cbranch_execnz .LBB99_677
; %bb.678:
	s_or_b64 exec, exec, s[12:13]
.LBB99_679:
	s_or_b64 exec, exec, s[10:11]
	v_mov_b32_e32 v78, 0
	ds_read_b64 v[78:79], v78 offset:272
	s_waitcnt lgkmcnt(0)
	v_mul_f64 v[74:75], v[74:75], v[78:79]
	buffer_store_dword v75, off, s[0:3], 0 offset:276
	buffer_store_dword v74, off, s[0:3], 0 offset:272
.LBB99_680:
	s_or_b64 exec, exec, s[8:9]
	buffer_load_dword v74, off, s[0:3], 0 offset:280
	buffer_load_dword v75, off, s[0:3], 0 offset:284
	v_cmp_ne_u32_e32 vcc, 35, v0
	s_waitcnt vmcnt(0)
	ds_write_b64 v76, v[74:75]
	s_waitcnt lgkmcnt(0)
	; wave barrier
	s_waitcnt lgkmcnt(0)
	s_and_saveexec_b64 s[8:9], vcc
	s_cbranch_execz .LBB99_690
; %bb.681:
	s_and_b64 vcc, exec, s[4:5]
	s_cbranch_vccnz .LBB99_683
; %bb.682:
	buffer_load_dword v74, v77, s[0:3], 0 offen
	buffer_load_dword v75, v77, s[0:3], 0 offen offset:4
	ds_read_b64 v[78:79], v76
	s_waitcnt vmcnt(0) lgkmcnt(0)
	v_mul_f64 v[74:75], v[74:75], v[78:79]
	s_cbranch_execz .LBB99_684
	s_branch .LBB99_685
.LBB99_683:
                                        ; implicit-def: $vgpr74_vgpr75
.LBB99_684:
	ds_read_b64 v[74:75], v76
.LBB99_685:
	s_and_saveexec_b64 s[4:5], s[6:7]
	s_cbranch_execz .LBB99_689
; %bb.686:
	v_mov_b32_e32 v77, 0
	v_add_u32_e32 v76, 0x128, v1
	v_add3_u32 v1, v1, v77, 8
	s_mov_b64 s[6:7], 0
.LBB99_687:                             ; =>This Inner Loop Header: Depth=1
	buffer_load_dword v78, v1, s[0:3], 0 offen
	buffer_load_dword v79, v1, s[0:3], 0 offen offset:4
	ds_read_b64 v[80:81], v76
	v_add_u32_e32 v0, 1, v0
	v_cmp_lt_u32_e32 vcc, 33, v0
	v_add_u32_e32 v76, 8, v76
	v_add_u32_e32 v1, 8, v1
	s_or_b64 s[6:7], vcc, s[6:7]
	s_waitcnt vmcnt(0) lgkmcnt(0)
	v_fmac_f64_e32 v[74:75], v[78:79], v[80:81]
	s_andn2_b64 exec, exec, s[6:7]
	s_cbranch_execnz .LBB99_687
; %bb.688:
	s_or_b64 exec, exec, s[6:7]
.LBB99_689:
	s_or_b64 exec, exec, s[4:5]
	v_mov_b32_e32 v0, 0
	ds_read_b64 v[0:1], v0 offset:280
	s_waitcnt lgkmcnt(0)
	v_mul_f64 v[0:1], v[74:75], v[0:1]
	buffer_store_dword v1, off, s[0:3], 0 offset:284
	buffer_store_dword v0, off, s[0:3], 0 offset:280
.LBB99_690:
	s_or_b64 exec, exec, s[8:9]
.LBB99_691:
	buffer_load_dword v0, off, s[0:3], 0
	buffer_load_dword v1, off, s[0:3], 0 offset:4
	buffer_load_dword v74, off, s[0:3], 0 offset:8
	;; [unrolled: 1-line block ×15, first 2 shown]
	s_waitcnt vmcnt(14)
	global_store_dwordx2 v[70:71], v[0:1], off
	s_waitcnt vmcnt(13)
	global_store_dwordx2 v[72:73], v[74:75], off
	;; [unrolled: 2-line block ×8, first 2 shown]
	buffer_load_dword v1, off, s[0:3], 0 offset:68
	buffer_load_dword v0, off, s[0:3], 0 offset:64
	s_waitcnt vmcnt(0)
	global_store_dwordx2 v[20:21], v[0:1], off
	buffer_load_dword v0, off, s[0:3], 0 offset:72
	s_nop 0
	buffer_load_dword v1, off, s[0:3], 0 offset:76
	s_waitcnt vmcnt(0)
	global_store_dwordx2 v[12:13], v[0:1], off
	buffer_load_dword v0, off, s[0:3], 0 offset:80
	s_nop 0
	;; [unrolled: 5-line block ×27, first 2 shown]
	buffer_load_dword v1, off, s[0:3], 0 offset:284
	s_waitcnt vmcnt(0)
	global_store_dwordx2 v[54:55], v[0:1], off
.LBB99_692:
	s_endpgm
	.section	.rodata,"a",@progbits
	.p2align	6, 0x0
	.amdhsa_kernel _ZN9rocsolver6v33100L18trti2_kernel_smallILi36EdPKPdEEv13rocblas_fill_17rocblas_diagonal_T1_iil
		.amdhsa_group_segment_fixed_size 576
		.amdhsa_private_segment_fixed_size 304
		.amdhsa_kernarg_size 32
		.amdhsa_user_sgpr_count 8
		.amdhsa_user_sgpr_private_segment_buffer 1
		.amdhsa_user_sgpr_dispatch_ptr 0
		.amdhsa_user_sgpr_queue_ptr 0
		.amdhsa_user_sgpr_kernarg_segment_ptr 1
		.amdhsa_user_sgpr_dispatch_id 0
		.amdhsa_user_sgpr_flat_scratch_init 1
		.amdhsa_user_sgpr_kernarg_preload_length 0
		.amdhsa_user_sgpr_kernarg_preload_offset 0
		.amdhsa_user_sgpr_private_segment_size 0
		.amdhsa_uses_dynamic_stack 0
		.amdhsa_system_sgpr_private_segment_wavefront_offset 1
		.amdhsa_system_sgpr_workgroup_id_x 1
		.amdhsa_system_sgpr_workgroup_id_y 0
		.amdhsa_system_sgpr_workgroup_id_z 0
		.amdhsa_system_sgpr_workgroup_info 0
		.amdhsa_system_vgpr_workitem_id 0
		.amdhsa_next_free_vgpr 124
		.amdhsa_next_free_sgpr 16
		.amdhsa_accum_offset 124
		.amdhsa_reserve_vcc 1
		.amdhsa_reserve_flat_scratch 0
		.amdhsa_float_round_mode_32 0
		.amdhsa_float_round_mode_16_64 0
		.amdhsa_float_denorm_mode_32 3
		.amdhsa_float_denorm_mode_16_64 3
		.amdhsa_dx10_clamp 1
		.amdhsa_ieee_mode 1
		.amdhsa_fp16_overflow 0
		.amdhsa_tg_split 0
		.amdhsa_exception_fp_ieee_invalid_op 0
		.amdhsa_exception_fp_denorm_src 0
		.amdhsa_exception_fp_ieee_div_zero 0
		.amdhsa_exception_fp_ieee_overflow 0
		.amdhsa_exception_fp_ieee_underflow 0
		.amdhsa_exception_fp_ieee_inexact 0
		.amdhsa_exception_int_div_zero 0
	.end_amdhsa_kernel
	.section	.text._ZN9rocsolver6v33100L18trti2_kernel_smallILi36EdPKPdEEv13rocblas_fill_17rocblas_diagonal_T1_iil,"axG",@progbits,_ZN9rocsolver6v33100L18trti2_kernel_smallILi36EdPKPdEEv13rocblas_fill_17rocblas_diagonal_T1_iil,comdat
.Lfunc_end99:
	.size	_ZN9rocsolver6v33100L18trti2_kernel_smallILi36EdPKPdEEv13rocblas_fill_17rocblas_diagonal_T1_iil, .Lfunc_end99-_ZN9rocsolver6v33100L18trti2_kernel_smallILi36EdPKPdEEv13rocblas_fill_17rocblas_diagonal_T1_iil
                                        ; -- End function
	.section	.AMDGPU.csdata,"",@progbits
; Kernel info:
; codeLenInByte = 20972
; NumSgprs: 20
; NumVgprs: 124
; NumAgprs: 0
; TotalNumVgprs: 124
; ScratchSize: 304
; MemoryBound: 0
; FloatMode: 240
; IeeeMode: 1
; LDSByteSize: 576 bytes/workgroup (compile time only)
; SGPRBlocks: 2
; VGPRBlocks: 15
; NumSGPRsForWavesPerEU: 20
; NumVGPRsForWavesPerEU: 124
; AccumOffset: 124
; Occupancy: 4
; WaveLimiterHint : 1
; COMPUTE_PGM_RSRC2:SCRATCH_EN: 1
; COMPUTE_PGM_RSRC2:USER_SGPR: 8
; COMPUTE_PGM_RSRC2:TRAP_HANDLER: 0
; COMPUTE_PGM_RSRC2:TGID_X_EN: 1
; COMPUTE_PGM_RSRC2:TGID_Y_EN: 0
; COMPUTE_PGM_RSRC2:TGID_Z_EN: 0
; COMPUTE_PGM_RSRC2:TIDIG_COMP_CNT: 0
; COMPUTE_PGM_RSRC3_GFX90A:ACCUM_OFFSET: 30
; COMPUTE_PGM_RSRC3_GFX90A:TG_SPLIT: 0
	.section	.text._ZN9rocsolver6v33100L18trti2_kernel_smallILi37EdPKPdEEv13rocblas_fill_17rocblas_diagonal_T1_iil,"axG",@progbits,_ZN9rocsolver6v33100L18trti2_kernel_smallILi37EdPKPdEEv13rocblas_fill_17rocblas_diagonal_T1_iil,comdat
	.globl	_ZN9rocsolver6v33100L18trti2_kernel_smallILi37EdPKPdEEv13rocblas_fill_17rocblas_diagonal_T1_iil ; -- Begin function _ZN9rocsolver6v33100L18trti2_kernel_smallILi37EdPKPdEEv13rocblas_fill_17rocblas_diagonal_T1_iil
	.p2align	8
	.type	_ZN9rocsolver6v33100L18trti2_kernel_smallILi37EdPKPdEEv13rocblas_fill_17rocblas_diagonal_T1_iil,@function
_ZN9rocsolver6v33100L18trti2_kernel_smallILi37EdPKPdEEv13rocblas_fill_17rocblas_diagonal_T1_iil: ; @_ZN9rocsolver6v33100L18trti2_kernel_smallILi37EdPKPdEEv13rocblas_fill_17rocblas_diagonal_T1_iil
; %bb.0:
	s_add_u32 s0, s0, s9
	s_addc_u32 s1, s1, 0
	v_cmp_gt_u32_e32 vcc, 37, v0
	s_and_saveexec_b64 s[6:7], vcc
	s_cbranch_execz .LBB100_712
; %bb.1:
	s_load_dwordx2 s[6:7], s[4:5], 0x10
	s_load_dwordx4 s[12:15], s[4:5], 0x0
	s_ashr_i32 s9, s8, 31
	s_lshl_b64 s[4:5], s[8:9], 3
	s_waitcnt lgkmcnt(0)
	s_ashr_i32 s9, s6, 31
	s_add_u32 s4, s14, s4
	s_addc_u32 s5, s15, s5
	s_load_dwordx2 s[4:5], s[4:5], 0x0
	s_mov_b32 s8, s6
	s_lshl_b64 s[8:9], s[8:9], 3
	s_waitcnt lgkmcnt(0)
	s_add_u32 s4, s4, s8
	s_addc_u32 s5, s5, s9
	s_add_i32 s6, s7, s7
	v_add_u32_e32 v4, s6, v0
	v_ashrrev_i32_e32 v5, 31, v4
	v_lshlrev_b64 v[2:3], 3, v[4:5]
	v_add_u32_e32 v6, s7, v4
	v_mov_b32_e32 v1, s5
	v_add_co_u32_e32 v2, vcc, s4, v2
	v_ashrrev_i32_e32 v7, 31, v6
	v_addc_co_u32_e32 v3, vcc, v1, v3, vcc
	v_lshlrev_b64 v[4:5], 3, v[6:7]
	v_add_u32_e32 v8, s7, v6
	v_add_co_u32_e32 v4, vcc, s4, v4
	v_ashrrev_i32_e32 v9, 31, v8
	v_addc_co_u32_e32 v5, vcc, v1, v5, vcc
	v_lshlrev_b64 v[6:7], 3, v[8:9]
	v_add_u32_e32 v10, s7, v8
	;; [unrolled: 5-line block ×5, first 2 shown]
	v_add_co_u32_e32 v14, vcc, s4, v14
	v_ashrrev_i32_e32 v13, 31, v12
	v_addc_co_u32_e32 v15, vcc, v1, v15, vcc
	v_lshlrev_b64 v[16:17], 3, v[12:13]
	v_add_co_u32_e32 v20, vcc, s4, v16
	v_add_u32_e32 v16, s7, v12
	v_addc_co_u32_e32 v21, vcc, v1, v17, vcc
	v_ashrrev_i32_e32 v17, 31, v16
	v_lshlrev_b64 v[12:13], 3, v[16:17]
	v_add_u32_e32 v18, s7, v16
	v_add_co_u32_e32 v12, vcc, s4, v12
	v_ashrrev_i32_e32 v19, 31, v18
	v_addc_co_u32_e32 v13, vcc, v1, v13, vcc
	v_lshlrev_b64 v[16:17], 3, v[18:19]
	v_add_u32_e32 v22, s7, v18
	v_add_co_u32_e32 v16, vcc, s4, v16
	v_ashrrev_i32_e32 v23, 31, v22
	v_addc_co_u32_e32 v17, vcc, v1, v17, vcc
	;; [unrolled: 5-line block ×18, first 2 shown]
	v_lshlrev_b64 v[52:53], 3, v[54:55]
	v_add_co_u32_e32 v52, vcc, s4, v52
	v_addc_co_u32_e32 v53, vcc, v1, v53, vcc
	v_lshlrev_b32_e32 v1, 3, v0
	v_mov_b32_e32 v58, s5
	v_add_co_u32_e32 v72, vcc, s4, v1
	s_ashr_i32 s9, s7, 31
	s_mov_b32 s8, s7
	v_addc_co_u32_e32 v73, vcc, 0, v58, vcc
	s_lshl_b64 s[8:9], s[8:9], 3
	global_load_dwordx2 v[76:77], v1, s[4:5]
	global_load_dwordx2 v[80:81], v[2:3], off
	v_mov_b32_e32 v58, s9
	v_add_co_u32_e32 v74, vcc, s8, v72
	v_addc_co_u32_e32 v75, vcc, v73, v58, vcc
	global_load_dwordx2 v[78:79], v[74:75], off
	global_load_dwordx2 v[82:83], v[4:5], off
	;; [unrolled: 1-line block ×11, first 2 shown]
	v_add_u32_e32 v54, s7, v54
	v_ashrrev_i32_e32 v55, 31, v54
	v_lshlrev_b64 v[56:57], 3, v[54:55]
	v_mov_b32_e32 v55, s5
	v_add_co_u32_e32 v56, vcc, s4, v56
	v_add_u32_e32 v54, s7, v54
	v_addc_co_u32_e32 v57, vcc, v55, v57, vcc
	v_ashrrev_i32_e32 v55, 31, v54
	v_lshlrev_b64 v[58:59], 3, v[54:55]
	v_mov_b32_e32 v55, s5
	v_add_co_u32_e32 v58, vcc, s4, v58
	v_add_u32_e32 v54, s7, v54
	v_addc_co_u32_e32 v59, vcc, v55, v59, vcc
	v_ashrrev_i32_e32 v55, 31, v54
	v_lshlrev_b64 v[60:61], 3, v[54:55]
	v_add_u32_e32 v54, s7, v54
	v_mov_b32_e32 v62, s5
	v_add_co_u32_e32 v60, vcc, s4, v60
	v_ashrrev_i32_e32 v55, 31, v54
	v_addc_co_u32_e32 v61, vcc, v62, v61, vcc
	v_lshlrev_b64 v[62:63], 3, v[54:55]
	v_add_u32_e32 v54, s7, v54
	v_mov_b32_e32 v64, s5
	v_add_co_u32_e32 v62, vcc, s4, v62
	v_ashrrev_i32_e32 v55, 31, v54
	v_addc_co_u32_e32 v63, vcc, v64, v63, vcc
	;; [unrolled: 6-line block ×4, first 2 shown]
	v_lshlrev_b64 v[68:69], 3, v[54:55]
	v_add_u32_e32 v54, s7, v54
	v_mov_b32_e32 v70, s5
	v_add_co_u32_e32 v68, vcc, s4, v68
	v_ashrrev_i32_e32 v55, 31, v54
	s_waitcnt vmcnt(12)
	buffer_store_dword v77, off, s[0:3], 0 offset:4
	buffer_store_dword v76, off, s[0:3], 0
	s_waitcnt vmcnt(12)
	buffer_store_dword v79, off, s[0:3], 0 offset:12
	v_addc_co_u32_e32 v69, vcc, v70, v69, vcc
	v_lshlrev_b64 v[70:71], 3, v[54:55]
	v_add_u32_e32 v54, s7, v54
	global_load_dwordx2 v[76:77], v[24:25], off
	v_mov_b32_e32 v102, s5
	v_add_co_u32_e32 v70, vcc, s4, v70
	v_ashrrev_i32_e32 v55, 31, v54
	v_addc_co_u32_e32 v71, vcc, v102, v71, vcc
	v_lshlrev_b64 v[54:55], 3, v[54:55]
	buffer_store_dword v78, off, s[0:3], 0 offset:8
	global_load_dwordx2 v[78:79], v[26:27], off
	v_add_co_u32_e32 v54, vcc, s4, v54
	v_addc_co_u32_e32 v55, vcc, v102, v55, vcc
	global_load_dwordx2 v[102:103], v[28:29], off
	global_load_dwordx2 v[104:105], v[32:33], off
	;; [unrolled: 1-line block ×11, first 2 shown]
	s_cmpk_lg_i32 s13, 0x84
	buffer_store_dword v81, off, s[0:3], 0 offset:20
	buffer_store_dword v80, off, s[0:3], 0 offset:16
	global_load_dwordx2 v[80:81], v[30:31], off
	s_cselect_b64 s[8:9], -1, 0
	s_waitcnt vmcnt(29)
	buffer_store_dword v83, off, s[0:3], 0 offset:28
	buffer_store_dword v82, off, s[0:3], 0 offset:24
	global_load_dwordx2 v[82:83], v[34:35], off
	s_cmpk_eq_i32 s13, 0x84
	s_waitcnt vmcnt(31)
	buffer_store_dword v85, off, s[0:3], 0 offset:36
	buffer_store_dword v84, off, s[0:3], 0 offset:32
	global_load_dwordx2 v[84:85], v[38:39], off
	s_waitcnt vmcnt(33)
	buffer_store_dword v87, off, s[0:3], 0 offset:44
	buffer_store_dword v86, off, s[0:3], 0 offset:40
	global_load_dwordx2 v[86:87], v[42:43], off
	;; [unrolled: 4-line block ×5, first 2 shown]
	s_nop 0
	buffer_store_dword v94, off, s[0:3], 0 offset:72
	buffer_store_dword v95, off, s[0:3], 0 offset:76
	global_load_dwordx2 v[94:95], v[60:61], off
	s_waitcnt vmcnt(43)
	buffer_store_dword v96, off, s[0:3], 0 offset:80
	buffer_store_dword v97, off, s[0:3], 0 offset:84
	global_load_dwordx2 v[96:97], v[64:65], off
	s_waitcnt vmcnt(45)
	;; [unrolled: 4-line block ×4, first 2 shown]
	buffer_store_dword v76, off, s[0:3], 0 offset:104
	buffer_store_dword v77, off, s[0:3], 0 offset:108
	s_waitcnt vmcnt(46)
	buffer_store_dword v79, off, s[0:3], 0 offset:116
	buffer_store_dword v78, off, s[0:3], 0 offset:112
	s_waitcnt vmcnt(47)
	;; [unrolled: 3-line block ×3, first 2 shown]
	buffer_store_dword v80, off, s[0:3], 0 offset:128
	buffer_store_dword v81, off, s[0:3], 0 offset:132
	buffer_store_dword v104, off, s[0:3], 0 offset:136
	buffer_store_dword v105, off, s[0:3], 0 offset:140
	s_waitcnt vmcnt(37)
	buffer_store_dword v82, off, s[0:3], 0 offset:144
	buffer_store_dword v83, off, s[0:3], 0 offset:148
	buffer_store_dword v107, off, s[0:3], 0 offset:156
	buffer_store_dword v106, off, s[0:3], 0 offset:152
	s_waitcnt vmcnt(38)
	;; [unrolled: 5-line block ×10, first 2 shown]
	buffer_store_dword v100, off, s[0:3], 0 offset:288
	buffer_store_dword v101, off, s[0:3], 0 offset:292
	v_mov_b32_e32 v76, 0
	v_mov_b32_e32 v113, 0
	;; [unrolled: 1-line block ×3, first 2 shown]
	s_cbranch_scc1 .LBB100_3
; %bb.2:
	v_lshl_add_u32 v86, v0, 3, v113
	buffer_load_dword v76, v86, s[0:3], 0 offen
	buffer_load_dword v77, v86, s[0:3], 0 offen offset:4
	s_waitcnt vmcnt(0)
	v_div_scale_f64 v[78:79], s[4:5], v[76:77], v[76:77], 1.0
	v_rcp_f64_e32 v[80:81], v[78:79]
	v_div_scale_f64 v[82:83], vcc, 1.0, v[76:77], 1.0
	v_fma_f64 v[84:85], -v[78:79], v[80:81], 1.0
	v_fmac_f64_e32 v[80:81], v[80:81], v[84:85]
	v_fma_f64 v[84:85], -v[78:79], v[80:81], 1.0
	v_fmac_f64_e32 v[80:81], v[80:81], v[84:85]
	v_mul_f64 v[84:85], v[82:83], v[80:81]
	v_fma_f64 v[78:79], -v[78:79], v[84:85], v[82:83]
	v_div_fmas_f64 v[78:79], v[78:79], v[80:81], v[84:85]
	v_div_fixup_f64 v[76:77], v[78:79], v[76:77], 1.0
	buffer_store_dword v76, v86, s[0:3], 0 offen
	buffer_store_dword v77, v86, s[0:3], 0 offen offset:4
	v_xor_b32_e32 v77, 0x80000000, v77
.LBB100_3:
	s_cmpk_eq_i32 s12, 0x79
	v_add_u32_e32 v78, 0x130, v1
	v_add_u32_e32 v79, 0, v1
	s_mov_b64 s[4:5], -1
	ds_write_b64 v1, v[76:77]
	s_cbranch_scc1 .LBB100_357
; %bb.4:
	buffer_load_dword v76, off, s[0:3], 0 offset:280
	buffer_load_dword v77, off, s[0:3], 0 offset:284
	v_cmp_eq_u32_e64 s[4:5], 36, v0
	s_waitcnt vmcnt(0)
	ds_write_b64 v78, v[76:77]
	s_waitcnt lgkmcnt(0)
	; wave barrier
	s_waitcnt lgkmcnt(0)
	s_and_saveexec_b64 s[6:7], s[4:5]
	s_cbranch_execz .LBB100_10
; %bb.5:
	s_and_b64 vcc, exec, s[8:9]
	s_cbranch_vccz .LBB100_7
; %bb.6:
	buffer_load_dword v76, v79, s[0:3], 0 offen
	buffer_load_dword v77, v79, s[0:3], 0 offen offset:4
	ds_read_b64 v[80:81], v78
	s_waitcnt vmcnt(0) lgkmcnt(0)
	v_mul_f64 v[76:77], v[76:77], v[80:81]
	s_cbranch_execz .LBB100_8
	s_branch .LBB100_9
.LBB100_7:
                                        ; implicit-def: $vgpr76_vgpr77
.LBB100_8:
	ds_read_b64 v[76:77], v78
.LBB100_9:
	v_mov_b32_e32 v80, 0
	ds_read_b64 v[80:81], v80 offset:280
	s_waitcnt lgkmcnt(0)
	v_mul_f64 v[76:77], v[76:77], v[80:81]
	buffer_store_dword v77, off, s[0:3], 0 offset:284
	buffer_store_dword v76, off, s[0:3], 0 offset:280
.LBB100_10:
	s_or_b64 exec, exec, s[6:7]
	buffer_load_dword v76, off, s[0:3], 0 offset:272
	buffer_load_dword v77, off, s[0:3], 0 offset:276
	v_or_b32_e32 v80, 8, v113
	v_add_u32_e32 v81, 16, v113
	v_add_u32_e32 v82, 24, v113
	v_add_u32_e32 v83, 32, v113
	v_add_u32_e32 v84, 40, v113
	v_add_u32_e32 v85, 48, v113
	v_add_u32_e32 v86, 56, v113
	v_add_u32_e32 v87, 64, v113
	v_add_u32_e32 v88, 0x48, v113
	v_add_u32_e32 v89, 0x50, v113
	v_add_u32_e32 v90, 0x58, v113
	v_add_u32_e32 v91, 0x60, v113
	v_add_u32_e32 v92, 0x68, v113
	v_add_u32_e32 v93, 0x70, v113
	v_add_u32_e32 v94, 0x78, v113
	v_add_u32_e32 v95, 0x80, v113
	v_add_u32_e32 v96, 0x88, v113
	v_add_u32_e32 v97, 0x90, v113
	v_add_u32_e32 v98, 0x98, v113
	v_add_u32_e32 v99, 0xa0, v113
	v_add_u32_e32 v100, 0xa8, v113
	v_add_u32_e32 v101, 0xb0, v113
	v_add_u32_e32 v102, 0xb8, v113
	v_add_u32_e32 v103, 0xc0, v113
	v_add_u32_e32 v104, 0xc8, v113
	v_add_u32_e32 v105, 0xd0, v113
	v_add_u32_e32 v106, 0xd8, v113
	v_add_u32_e32 v107, 0xe0, v113
	v_add_u32_e32 v108, 0xe8, v113
	v_add_u32_e32 v109, 0xf0, v113
	v_add_u32_e32 v110, 0xf8, v113
	v_add_u32_e32 v111, 0x100, v113
	v_add_u32_e32 v112, 0x108, v113
	v_add_u32_e32 v113, 0x110, v113
	v_cmp_lt_u32_e64 s[6:7], 34, v0
	s_waitcnt vmcnt(0)
	ds_write_b64 v78, v[76:77]
	s_waitcnt lgkmcnt(0)
	; wave barrier
	s_waitcnt lgkmcnt(0)
	s_and_saveexec_b64 s[10:11], s[6:7]
	s_cbranch_execz .LBB100_16
; %bb.11:
	s_andn2_b64 vcc, exec, s[8:9]
	s_cbranch_vccnz .LBB100_13
; %bb.12:
	buffer_load_dword v76, v79, s[0:3], 0 offen
	buffer_load_dword v77, v79, s[0:3], 0 offen offset:4
	ds_read_b64 v[114:115], v78
	s_waitcnt vmcnt(0) lgkmcnt(0)
	v_mul_f64 v[76:77], v[76:77], v[114:115]
	s_cbranch_execz .LBB100_14
	s_branch .LBB100_15
.LBB100_13:
                                        ; implicit-def: $vgpr76_vgpr77
.LBB100_14:
	ds_read_b64 v[76:77], v78
.LBB100_15:
	buffer_load_dword v118, off, s[0:3], 0 offset:280
	buffer_load_dword v119, off, s[0:3], 0 offset:284
	v_mov_b32_e32 v114, 0
	ds_read2_b64 v[114:117], v114 offset0:34 offset1:73
	s_waitcnt vmcnt(0) lgkmcnt(0)
	v_fma_f64 v[116:117], v[118:119], v[116:117], v[76:77]
	v_cndmask_b32_e64 v77, v77, v117, s[4:5]
	v_cndmask_b32_e64 v76, v76, v116, s[4:5]
	v_mul_f64 v[76:77], v[76:77], v[114:115]
	buffer_store_dword v77, off, s[0:3], 0 offset:276
	buffer_store_dword v76, off, s[0:3], 0 offset:272
.LBB100_16:
	s_or_b64 exec, exec, s[10:11]
	buffer_load_dword v76, off, s[0:3], 0 offset:264
	buffer_load_dword v77, off, s[0:3], 0 offset:268
	v_cmp_lt_u32_e64 s[4:5], 33, v0
	s_waitcnt vmcnt(0)
	ds_write_b64 v78, v[76:77]
	s_waitcnt lgkmcnt(0)
	; wave barrier
	s_waitcnt lgkmcnt(0)
	s_and_saveexec_b64 s[10:11], s[4:5]
	s_cbranch_execz .LBB100_26
; %bb.17:
	s_andn2_b64 vcc, exec, s[8:9]
	s_cbranch_vccnz .LBB100_19
; %bb.18:
	buffer_load_dword v76, v79, s[0:3], 0 offen
	buffer_load_dword v77, v79, s[0:3], 0 offen offset:4
	ds_read_b64 v[114:115], v78
	s_waitcnt vmcnt(0) lgkmcnt(0)
	v_mul_f64 v[76:77], v[76:77], v[114:115]
	s_cbranch_execz .LBB100_20
	s_branch .LBB100_21
.LBB100_19:
                                        ; implicit-def: $vgpr76_vgpr77
.LBB100_20:
	ds_read_b64 v[76:77], v78
.LBB100_21:
	s_and_saveexec_b64 s[12:13], s[6:7]
	s_cbranch_execz .LBB100_25
; %bb.22:
	v_subrev_u32_e32 v114, 34, v0
	s_movk_i32 s14, 0x240
	s_mov_b64 s[6:7], 0
.LBB100_23:                             ; =>This Inner Loop Header: Depth=1
	buffer_load_dword v116, v113, s[0:3], 0 offen
	buffer_load_dword v117, v113, s[0:3], 0 offen offset:4
	v_mov_b32_e32 v115, s14
	ds_read_b64 v[118:119], v115
	v_add_u32_e32 v114, -1, v114
	s_add_i32 s14, s14, 8
	v_cmp_eq_u32_e32 vcc, 0, v114
	v_add_u32_e32 v113, 8, v113
	s_or_b64 s[6:7], vcc, s[6:7]
	s_waitcnt vmcnt(0) lgkmcnt(0)
	v_fmac_f64_e32 v[76:77], v[116:117], v[118:119]
	s_andn2_b64 exec, exec, s[6:7]
	s_cbranch_execnz .LBB100_23
; %bb.24:
	s_or_b64 exec, exec, s[6:7]
.LBB100_25:
	s_or_b64 exec, exec, s[12:13]
	v_mov_b32_e32 v113, 0
	ds_read_b64 v[114:115], v113 offset:264
	s_waitcnt lgkmcnt(0)
	v_mul_f64 v[76:77], v[76:77], v[114:115]
	buffer_store_dword v77, off, s[0:3], 0 offset:268
	buffer_store_dword v76, off, s[0:3], 0 offset:264
.LBB100_26:
	s_or_b64 exec, exec, s[10:11]
	buffer_load_dword v76, off, s[0:3], 0 offset:256
	buffer_load_dword v77, off, s[0:3], 0 offset:260
	v_cmp_lt_u32_e64 s[6:7], 32, v0
	s_waitcnt vmcnt(0)
	ds_write_b64 v78, v[76:77]
	s_waitcnt lgkmcnt(0)
	; wave barrier
	s_waitcnt lgkmcnt(0)
	s_and_saveexec_b64 s[10:11], s[6:7]
	s_cbranch_execz .LBB100_36
; %bb.27:
	s_andn2_b64 vcc, exec, s[8:9]
	s_cbranch_vccnz .LBB100_29
; %bb.28:
	buffer_load_dword v76, v79, s[0:3], 0 offen
	buffer_load_dword v77, v79, s[0:3], 0 offen offset:4
	ds_read_b64 v[114:115], v78
	s_waitcnt vmcnt(0) lgkmcnt(0)
	v_mul_f64 v[76:77], v[76:77], v[114:115]
	s_cbranch_execz .LBB100_30
	s_branch .LBB100_31
.LBB100_29:
                                        ; implicit-def: $vgpr76_vgpr77
.LBB100_30:
	ds_read_b64 v[76:77], v78
.LBB100_31:
	s_and_saveexec_b64 s[12:13], s[4:5]
	s_cbranch_execz .LBB100_35
; %bb.32:
	v_subrev_u32_e32 v113, 33, v0
	s_movk_i32 s14, 0x238
	s_mov_b64 s[4:5], 0
.LBB100_33:                             ; =>This Inner Loop Header: Depth=1
	buffer_load_dword v114, v112, s[0:3], 0 offen
	buffer_load_dword v115, v112, s[0:3], 0 offen offset:4
	v_mov_b32_e32 v116, s14
	ds_read_b64 v[116:117], v116
	v_add_u32_e32 v113, -1, v113
	s_add_i32 s14, s14, 8
	v_cmp_eq_u32_e32 vcc, 0, v113
	v_add_u32_e32 v112, 8, v112
	s_or_b64 s[4:5], vcc, s[4:5]
	s_waitcnt vmcnt(0) lgkmcnt(0)
	v_fmac_f64_e32 v[76:77], v[114:115], v[116:117]
	s_andn2_b64 exec, exec, s[4:5]
	s_cbranch_execnz .LBB100_33
; %bb.34:
	s_or_b64 exec, exec, s[4:5]
.LBB100_35:
	s_or_b64 exec, exec, s[12:13]
	v_mov_b32_e32 v112, 0
	ds_read_b64 v[112:113], v112 offset:256
	s_waitcnt lgkmcnt(0)
	v_mul_f64 v[76:77], v[76:77], v[112:113]
	buffer_store_dword v77, off, s[0:3], 0 offset:260
	buffer_store_dword v76, off, s[0:3], 0 offset:256
.LBB100_36:
	;; [unrolled: 58-line block ×8, first 2 shown]
	s_or_b64 exec, exec, s[10:11]
	buffer_load_dword v76, off, s[0:3], 0 offset:200
	buffer_load_dword v77, off, s[0:3], 0 offset:204
	v_cmp_lt_u32_e64 s[4:5], 25, v0
	s_waitcnt vmcnt(0)
	ds_write_b64 v78, v[76:77]
	s_waitcnt lgkmcnt(0)
	; wave barrier
	s_waitcnt lgkmcnt(0)
	s_and_saveexec_b64 s[10:11], s[4:5]
	s_cbranch_execz .LBB100_106
; %bb.97:
	s_andn2_b64 vcc, exec, s[8:9]
	s_cbranch_vccnz .LBB100_99
; %bb.98:
	buffer_load_dword v76, v79, s[0:3], 0 offen
	buffer_load_dword v77, v79, s[0:3], 0 offen offset:4
	ds_read_b64 v[106:107], v78
	s_waitcnt vmcnt(0) lgkmcnt(0)
	v_mul_f64 v[76:77], v[76:77], v[106:107]
	s_cbranch_execz .LBB100_100
	s_branch .LBB100_101
.LBB100_99:
                                        ; implicit-def: $vgpr76_vgpr77
.LBB100_100:
	ds_read_b64 v[76:77], v78
.LBB100_101:
	s_and_saveexec_b64 s[12:13], s[6:7]
	s_cbranch_execz .LBB100_105
; %bb.102:
	v_subrev_u32_e32 v106, 26, v0
	s_movk_i32 s14, 0x200
	s_mov_b64 s[6:7], 0
.LBB100_103:                            ; =>This Inner Loop Header: Depth=1
	buffer_load_dword v108, v105, s[0:3], 0 offen
	buffer_load_dword v109, v105, s[0:3], 0 offen offset:4
	v_mov_b32_e32 v107, s14
	ds_read_b64 v[110:111], v107
	v_add_u32_e32 v106, -1, v106
	s_add_i32 s14, s14, 8
	v_cmp_eq_u32_e32 vcc, 0, v106
	v_add_u32_e32 v105, 8, v105
	s_or_b64 s[6:7], vcc, s[6:7]
	s_waitcnt vmcnt(0) lgkmcnt(0)
	v_fmac_f64_e32 v[76:77], v[108:109], v[110:111]
	s_andn2_b64 exec, exec, s[6:7]
	s_cbranch_execnz .LBB100_103
; %bb.104:
	s_or_b64 exec, exec, s[6:7]
.LBB100_105:
	s_or_b64 exec, exec, s[12:13]
	v_mov_b32_e32 v105, 0
	ds_read_b64 v[106:107], v105 offset:200
	s_waitcnt lgkmcnt(0)
	v_mul_f64 v[76:77], v[76:77], v[106:107]
	buffer_store_dword v77, off, s[0:3], 0 offset:204
	buffer_store_dword v76, off, s[0:3], 0 offset:200
.LBB100_106:
	s_or_b64 exec, exec, s[10:11]
	buffer_load_dword v76, off, s[0:3], 0 offset:192
	buffer_load_dword v77, off, s[0:3], 0 offset:196
	v_cmp_lt_u32_e64 s[6:7], 24, v0
	s_waitcnt vmcnt(0)
	ds_write_b64 v78, v[76:77]
	s_waitcnt lgkmcnt(0)
	; wave barrier
	s_waitcnt lgkmcnt(0)
	s_and_saveexec_b64 s[10:11], s[6:7]
	s_cbranch_execz .LBB100_116
; %bb.107:
	s_andn2_b64 vcc, exec, s[8:9]
	s_cbranch_vccnz .LBB100_109
; %bb.108:
	buffer_load_dword v76, v79, s[0:3], 0 offen
	buffer_load_dword v77, v79, s[0:3], 0 offen offset:4
	ds_read_b64 v[106:107], v78
	s_waitcnt vmcnt(0) lgkmcnt(0)
	v_mul_f64 v[76:77], v[76:77], v[106:107]
	s_cbranch_execz .LBB100_110
	s_branch .LBB100_111
.LBB100_109:
                                        ; implicit-def: $vgpr76_vgpr77
.LBB100_110:
	ds_read_b64 v[76:77], v78
.LBB100_111:
	s_and_saveexec_b64 s[12:13], s[4:5]
	s_cbranch_execz .LBB100_115
; %bb.112:
	v_subrev_u32_e32 v105, 25, v0
	s_movk_i32 s14, 0x1f8
	s_mov_b64 s[4:5], 0
.LBB100_113:                            ; =>This Inner Loop Header: Depth=1
	buffer_load_dword v106, v104, s[0:3], 0 offen
	buffer_load_dword v107, v104, s[0:3], 0 offen offset:4
	v_mov_b32_e32 v108, s14
	ds_read_b64 v[108:109], v108
	v_add_u32_e32 v105, -1, v105
	s_add_i32 s14, s14, 8
	v_cmp_eq_u32_e32 vcc, 0, v105
	v_add_u32_e32 v104, 8, v104
	s_or_b64 s[4:5], vcc, s[4:5]
	s_waitcnt vmcnt(0) lgkmcnt(0)
	v_fmac_f64_e32 v[76:77], v[106:107], v[108:109]
	s_andn2_b64 exec, exec, s[4:5]
	s_cbranch_execnz .LBB100_113
; %bb.114:
	s_or_b64 exec, exec, s[4:5]
.LBB100_115:
	s_or_b64 exec, exec, s[12:13]
	v_mov_b32_e32 v104, 0
	ds_read_b64 v[104:105], v104 offset:192
	s_waitcnt lgkmcnt(0)
	v_mul_f64 v[76:77], v[76:77], v[104:105]
	buffer_store_dword v77, off, s[0:3], 0 offset:196
	buffer_store_dword v76, off, s[0:3], 0 offset:192
.LBB100_116:
	s_or_b64 exec, exec, s[10:11]
	buffer_load_dword v76, off, s[0:3], 0 offset:184
	buffer_load_dword v77, off, s[0:3], 0 offset:188
	v_cmp_lt_u32_e64 s[4:5], 23, v0
	s_waitcnt vmcnt(0)
	ds_write_b64 v78, v[76:77]
	s_waitcnt lgkmcnt(0)
	; wave barrier
	s_waitcnt lgkmcnt(0)
	s_and_saveexec_b64 s[10:11], s[4:5]
	s_cbranch_execz .LBB100_126
; %bb.117:
	s_andn2_b64 vcc, exec, s[8:9]
	s_cbranch_vccnz .LBB100_119
; %bb.118:
	buffer_load_dword v76, v79, s[0:3], 0 offen
	buffer_load_dword v77, v79, s[0:3], 0 offen offset:4
	ds_read_b64 v[104:105], v78
	s_waitcnt vmcnt(0) lgkmcnt(0)
	v_mul_f64 v[76:77], v[76:77], v[104:105]
	s_cbranch_execz .LBB100_120
	s_branch .LBB100_121
.LBB100_119:
                                        ; implicit-def: $vgpr76_vgpr77
.LBB100_120:
	ds_read_b64 v[76:77], v78
.LBB100_121:
	s_and_saveexec_b64 s[12:13], s[6:7]
	s_cbranch_execz .LBB100_125
; %bb.122:
	v_subrev_u32_e32 v104, 24, v0
	s_movk_i32 s14, 0x1f0
	s_mov_b64 s[6:7], 0
.LBB100_123:                            ; =>This Inner Loop Header: Depth=1
	buffer_load_dword v106, v103, s[0:3], 0 offen
	buffer_load_dword v107, v103, s[0:3], 0 offen offset:4
	v_mov_b32_e32 v105, s14
	ds_read_b64 v[108:109], v105
	v_add_u32_e32 v104, -1, v104
	s_add_i32 s14, s14, 8
	v_cmp_eq_u32_e32 vcc, 0, v104
	v_add_u32_e32 v103, 8, v103
	s_or_b64 s[6:7], vcc, s[6:7]
	s_waitcnt vmcnt(0) lgkmcnt(0)
	v_fmac_f64_e32 v[76:77], v[106:107], v[108:109]
	s_andn2_b64 exec, exec, s[6:7]
	s_cbranch_execnz .LBB100_123
; %bb.124:
	s_or_b64 exec, exec, s[6:7]
.LBB100_125:
	s_or_b64 exec, exec, s[12:13]
	v_mov_b32_e32 v103, 0
	ds_read_b64 v[104:105], v103 offset:184
	s_waitcnt lgkmcnt(0)
	v_mul_f64 v[76:77], v[76:77], v[104:105]
	buffer_store_dword v77, off, s[0:3], 0 offset:188
	buffer_store_dword v76, off, s[0:3], 0 offset:184
.LBB100_126:
	s_or_b64 exec, exec, s[10:11]
	buffer_load_dword v76, off, s[0:3], 0 offset:176
	buffer_load_dword v77, off, s[0:3], 0 offset:180
	v_cmp_lt_u32_e64 s[6:7], 22, v0
	s_waitcnt vmcnt(0)
	ds_write_b64 v78, v[76:77]
	s_waitcnt lgkmcnt(0)
	; wave barrier
	s_waitcnt lgkmcnt(0)
	s_and_saveexec_b64 s[10:11], s[6:7]
	s_cbranch_execz .LBB100_136
; %bb.127:
	s_andn2_b64 vcc, exec, s[8:9]
	s_cbranch_vccnz .LBB100_129
; %bb.128:
	buffer_load_dword v76, v79, s[0:3], 0 offen
	buffer_load_dword v77, v79, s[0:3], 0 offen offset:4
	ds_read_b64 v[104:105], v78
	s_waitcnt vmcnt(0) lgkmcnt(0)
	v_mul_f64 v[76:77], v[76:77], v[104:105]
	s_cbranch_execz .LBB100_130
	s_branch .LBB100_131
.LBB100_129:
                                        ; implicit-def: $vgpr76_vgpr77
.LBB100_130:
	ds_read_b64 v[76:77], v78
.LBB100_131:
	s_and_saveexec_b64 s[12:13], s[4:5]
	s_cbranch_execz .LBB100_135
; %bb.132:
	v_subrev_u32_e32 v103, 23, v0
	s_movk_i32 s14, 0x1e8
	s_mov_b64 s[4:5], 0
.LBB100_133:                            ; =>This Inner Loop Header: Depth=1
	buffer_load_dword v104, v102, s[0:3], 0 offen
	buffer_load_dword v105, v102, s[0:3], 0 offen offset:4
	v_mov_b32_e32 v106, s14
	ds_read_b64 v[106:107], v106
	v_add_u32_e32 v103, -1, v103
	s_add_i32 s14, s14, 8
	v_cmp_eq_u32_e32 vcc, 0, v103
	v_add_u32_e32 v102, 8, v102
	s_or_b64 s[4:5], vcc, s[4:5]
	s_waitcnt vmcnt(0) lgkmcnt(0)
	v_fmac_f64_e32 v[76:77], v[104:105], v[106:107]
	s_andn2_b64 exec, exec, s[4:5]
	s_cbranch_execnz .LBB100_133
; %bb.134:
	s_or_b64 exec, exec, s[4:5]
.LBB100_135:
	s_or_b64 exec, exec, s[12:13]
	v_mov_b32_e32 v102, 0
	ds_read_b64 v[102:103], v102 offset:176
	s_waitcnt lgkmcnt(0)
	v_mul_f64 v[76:77], v[76:77], v[102:103]
	buffer_store_dword v77, off, s[0:3], 0 offset:180
	buffer_store_dword v76, off, s[0:3], 0 offset:176
.LBB100_136:
	s_or_b64 exec, exec, s[10:11]
	buffer_load_dword v76, off, s[0:3], 0 offset:168
	buffer_load_dword v77, off, s[0:3], 0 offset:172
	v_cmp_lt_u32_e64 s[4:5], 21, v0
	s_waitcnt vmcnt(0)
	ds_write_b64 v78, v[76:77]
	s_waitcnt lgkmcnt(0)
	; wave barrier
	s_waitcnt lgkmcnt(0)
	s_and_saveexec_b64 s[10:11], s[4:5]
	s_cbranch_execz .LBB100_146
; %bb.137:
	s_andn2_b64 vcc, exec, s[8:9]
	s_cbranch_vccnz .LBB100_139
; %bb.138:
	buffer_load_dword v76, v79, s[0:3], 0 offen
	buffer_load_dword v77, v79, s[0:3], 0 offen offset:4
	ds_read_b64 v[102:103], v78
	s_waitcnt vmcnt(0) lgkmcnt(0)
	v_mul_f64 v[76:77], v[76:77], v[102:103]
	s_cbranch_execz .LBB100_140
	s_branch .LBB100_141
.LBB100_139:
                                        ; implicit-def: $vgpr76_vgpr77
.LBB100_140:
	ds_read_b64 v[76:77], v78
.LBB100_141:
	s_and_saveexec_b64 s[12:13], s[6:7]
	s_cbranch_execz .LBB100_145
; %bb.142:
	v_subrev_u32_e32 v102, 22, v0
	s_movk_i32 s14, 0x1e0
	s_mov_b64 s[6:7], 0
.LBB100_143:                            ; =>This Inner Loop Header: Depth=1
	buffer_load_dword v104, v101, s[0:3], 0 offen
	buffer_load_dword v105, v101, s[0:3], 0 offen offset:4
	v_mov_b32_e32 v103, s14
	ds_read_b64 v[106:107], v103
	v_add_u32_e32 v102, -1, v102
	s_add_i32 s14, s14, 8
	v_cmp_eq_u32_e32 vcc, 0, v102
	v_add_u32_e32 v101, 8, v101
	s_or_b64 s[6:7], vcc, s[6:7]
	s_waitcnt vmcnt(0) lgkmcnt(0)
	v_fmac_f64_e32 v[76:77], v[104:105], v[106:107]
	s_andn2_b64 exec, exec, s[6:7]
	s_cbranch_execnz .LBB100_143
; %bb.144:
	s_or_b64 exec, exec, s[6:7]
.LBB100_145:
	s_or_b64 exec, exec, s[12:13]
	v_mov_b32_e32 v101, 0
	ds_read_b64 v[102:103], v101 offset:168
	s_waitcnt lgkmcnt(0)
	v_mul_f64 v[76:77], v[76:77], v[102:103]
	buffer_store_dword v77, off, s[0:3], 0 offset:172
	buffer_store_dword v76, off, s[0:3], 0 offset:168
.LBB100_146:
	s_or_b64 exec, exec, s[10:11]
	buffer_load_dword v76, off, s[0:3], 0 offset:160
	buffer_load_dword v77, off, s[0:3], 0 offset:164
	v_cmp_lt_u32_e64 s[6:7], 20, v0
	s_waitcnt vmcnt(0)
	ds_write_b64 v78, v[76:77]
	s_waitcnt lgkmcnt(0)
	; wave barrier
	s_waitcnt lgkmcnt(0)
	s_and_saveexec_b64 s[10:11], s[6:7]
	s_cbranch_execz .LBB100_156
; %bb.147:
	s_andn2_b64 vcc, exec, s[8:9]
	s_cbranch_vccnz .LBB100_149
; %bb.148:
	buffer_load_dword v76, v79, s[0:3], 0 offen
	buffer_load_dword v77, v79, s[0:3], 0 offen offset:4
	ds_read_b64 v[102:103], v78
	s_waitcnt vmcnt(0) lgkmcnt(0)
	v_mul_f64 v[76:77], v[76:77], v[102:103]
	s_cbranch_execz .LBB100_150
	s_branch .LBB100_151
.LBB100_149:
                                        ; implicit-def: $vgpr76_vgpr77
.LBB100_150:
	ds_read_b64 v[76:77], v78
.LBB100_151:
	s_and_saveexec_b64 s[12:13], s[4:5]
	s_cbranch_execz .LBB100_155
; %bb.152:
	v_subrev_u32_e32 v101, 21, v0
	s_movk_i32 s14, 0x1d8
	s_mov_b64 s[4:5], 0
.LBB100_153:                            ; =>This Inner Loop Header: Depth=1
	buffer_load_dword v102, v100, s[0:3], 0 offen
	buffer_load_dword v103, v100, s[0:3], 0 offen offset:4
	v_mov_b32_e32 v104, s14
	ds_read_b64 v[104:105], v104
	v_add_u32_e32 v101, -1, v101
	s_add_i32 s14, s14, 8
	v_cmp_eq_u32_e32 vcc, 0, v101
	v_add_u32_e32 v100, 8, v100
	s_or_b64 s[4:5], vcc, s[4:5]
	s_waitcnt vmcnt(0) lgkmcnt(0)
	v_fmac_f64_e32 v[76:77], v[102:103], v[104:105]
	s_andn2_b64 exec, exec, s[4:5]
	s_cbranch_execnz .LBB100_153
; %bb.154:
	s_or_b64 exec, exec, s[4:5]
.LBB100_155:
	s_or_b64 exec, exec, s[12:13]
	v_mov_b32_e32 v100, 0
	ds_read_b64 v[100:101], v100 offset:160
	s_waitcnt lgkmcnt(0)
	v_mul_f64 v[76:77], v[76:77], v[100:101]
	buffer_store_dword v77, off, s[0:3], 0 offset:164
	buffer_store_dword v76, off, s[0:3], 0 offset:160
.LBB100_156:
	s_or_b64 exec, exec, s[10:11]
	buffer_load_dword v76, off, s[0:3], 0 offset:152
	buffer_load_dword v77, off, s[0:3], 0 offset:156
	v_cmp_lt_u32_e64 s[4:5], 19, v0
	s_waitcnt vmcnt(0)
	ds_write_b64 v78, v[76:77]
	s_waitcnt lgkmcnt(0)
	; wave barrier
	s_waitcnt lgkmcnt(0)
	s_and_saveexec_b64 s[10:11], s[4:5]
	s_cbranch_execz .LBB100_166
; %bb.157:
	s_andn2_b64 vcc, exec, s[8:9]
	s_cbranch_vccnz .LBB100_159
; %bb.158:
	buffer_load_dword v76, v79, s[0:3], 0 offen
	buffer_load_dword v77, v79, s[0:3], 0 offen offset:4
	ds_read_b64 v[100:101], v78
	s_waitcnt vmcnt(0) lgkmcnt(0)
	v_mul_f64 v[76:77], v[76:77], v[100:101]
	s_cbranch_execz .LBB100_160
	s_branch .LBB100_161
.LBB100_159:
                                        ; implicit-def: $vgpr76_vgpr77
.LBB100_160:
	ds_read_b64 v[76:77], v78
.LBB100_161:
	s_and_saveexec_b64 s[12:13], s[6:7]
	s_cbranch_execz .LBB100_165
; %bb.162:
	v_subrev_u32_e32 v100, 20, v0
	s_movk_i32 s14, 0x1d0
	s_mov_b64 s[6:7], 0
.LBB100_163:                            ; =>This Inner Loop Header: Depth=1
	buffer_load_dword v102, v99, s[0:3], 0 offen
	buffer_load_dword v103, v99, s[0:3], 0 offen offset:4
	v_mov_b32_e32 v101, s14
	ds_read_b64 v[104:105], v101
	v_add_u32_e32 v100, -1, v100
	s_add_i32 s14, s14, 8
	v_cmp_eq_u32_e32 vcc, 0, v100
	v_add_u32_e32 v99, 8, v99
	s_or_b64 s[6:7], vcc, s[6:7]
	s_waitcnt vmcnt(0) lgkmcnt(0)
	v_fmac_f64_e32 v[76:77], v[102:103], v[104:105]
	s_andn2_b64 exec, exec, s[6:7]
	s_cbranch_execnz .LBB100_163
; %bb.164:
	s_or_b64 exec, exec, s[6:7]
.LBB100_165:
	s_or_b64 exec, exec, s[12:13]
	v_mov_b32_e32 v99, 0
	ds_read_b64 v[100:101], v99 offset:152
	s_waitcnt lgkmcnt(0)
	v_mul_f64 v[76:77], v[76:77], v[100:101]
	buffer_store_dword v77, off, s[0:3], 0 offset:156
	buffer_store_dword v76, off, s[0:3], 0 offset:152
.LBB100_166:
	s_or_b64 exec, exec, s[10:11]
	buffer_load_dword v76, off, s[0:3], 0 offset:144
	buffer_load_dword v77, off, s[0:3], 0 offset:148
	v_cmp_lt_u32_e64 s[6:7], 18, v0
	s_waitcnt vmcnt(0)
	ds_write_b64 v78, v[76:77]
	s_waitcnt lgkmcnt(0)
	; wave barrier
	s_waitcnt lgkmcnt(0)
	s_and_saveexec_b64 s[10:11], s[6:7]
	s_cbranch_execz .LBB100_176
; %bb.167:
	s_andn2_b64 vcc, exec, s[8:9]
	s_cbranch_vccnz .LBB100_169
; %bb.168:
	buffer_load_dword v76, v79, s[0:3], 0 offen
	buffer_load_dword v77, v79, s[0:3], 0 offen offset:4
	ds_read_b64 v[100:101], v78
	s_waitcnt vmcnt(0) lgkmcnt(0)
	v_mul_f64 v[76:77], v[76:77], v[100:101]
	s_cbranch_execz .LBB100_170
	s_branch .LBB100_171
.LBB100_169:
                                        ; implicit-def: $vgpr76_vgpr77
.LBB100_170:
	ds_read_b64 v[76:77], v78
.LBB100_171:
	s_and_saveexec_b64 s[12:13], s[4:5]
	s_cbranch_execz .LBB100_175
; %bb.172:
	v_subrev_u32_e32 v99, 19, v0
	s_movk_i32 s14, 0x1c8
	s_mov_b64 s[4:5], 0
.LBB100_173:                            ; =>This Inner Loop Header: Depth=1
	buffer_load_dword v100, v98, s[0:3], 0 offen
	buffer_load_dword v101, v98, s[0:3], 0 offen offset:4
	v_mov_b32_e32 v102, s14
	ds_read_b64 v[102:103], v102
	v_add_u32_e32 v99, -1, v99
	s_add_i32 s14, s14, 8
	v_cmp_eq_u32_e32 vcc, 0, v99
	v_add_u32_e32 v98, 8, v98
	s_or_b64 s[4:5], vcc, s[4:5]
	s_waitcnt vmcnt(0) lgkmcnt(0)
	v_fmac_f64_e32 v[76:77], v[100:101], v[102:103]
	s_andn2_b64 exec, exec, s[4:5]
	s_cbranch_execnz .LBB100_173
; %bb.174:
	s_or_b64 exec, exec, s[4:5]
.LBB100_175:
	s_or_b64 exec, exec, s[12:13]
	v_mov_b32_e32 v98, 0
	ds_read_b64 v[98:99], v98 offset:144
	s_waitcnt lgkmcnt(0)
	v_mul_f64 v[76:77], v[76:77], v[98:99]
	buffer_store_dword v77, off, s[0:3], 0 offset:148
	buffer_store_dword v76, off, s[0:3], 0 offset:144
.LBB100_176:
	s_or_b64 exec, exec, s[10:11]
	buffer_load_dword v76, off, s[0:3], 0 offset:136
	buffer_load_dword v77, off, s[0:3], 0 offset:140
	v_cmp_lt_u32_e64 s[4:5], 17, v0
	s_waitcnt vmcnt(0)
	ds_write_b64 v78, v[76:77]
	s_waitcnt lgkmcnt(0)
	; wave barrier
	s_waitcnt lgkmcnt(0)
	s_and_saveexec_b64 s[10:11], s[4:5]
	s_cbranch_execz .LBB100_186
; %bb.177:
	s_andn2_b64 vcc, exec, s[8:9]
	s_cbranch_vccnz .LBB100_179
; %bb.178:
	buffer_load_dword v76, v79, s[0:3], 0 offen
	buffer_load_dword v77, v79, s[0:3], 0 offen offset:4
	ds_read_b64 v[98:99], v78
	s_waitcnt vmcnt(0) lgkmcnt(0)
	v_mul_f64 v[76:77], v[76:77], v[98:99]
	s_cbranch_execz .LBB100_180
	s_branch .LBB100_181
.LBB100_179:
                                        ; implicit-def: $vgpr76_vgpr77
.LBB100_180:
	ds_read_b64 v[76:77], v78
.LBB100_181:
	s_and_saveexec_b64 s[12:13], s[6:7]
	s_cbranch_execz .LBB100_185
; %bb.182:
	v_subrev_u32_e32 v98, 18, v0
	s_movk_i32 s14, 0x1c0
	s_mov_b64 s[6:7], 0
.LBB100_183:                            ; =>This Inner Loop Header: Depth=1
	buffer_load_dword v100, v97, s[0:3], 0 offen
	buffer_load_dword v101, v97, s[0:3], 0 offen offset:4
	v_mov_b32_e32 v99, s14
	ds_read_b64 v[102:103], v99
	v_add_u32_e32 v98, -1, v98
	s_add_i32 s14, s14, 8
	v_cmp_eq_u32_e32 vcc, 0, v98
	v_add_u32_e32 v97, 8, v97
	s_or_b64 s[6:7], vcc, s[6:7]
	s_waitcnt vmcnt(0) lgkmcnt(0)
	v_fmac_f64_e32 v[76:77], v[100:101], v[102:103]
	s_andn2_b64 exec, exec, s[6:7]
	s_cbranch_execnz .LBB100_183
; %bb.184:
	s_or_b64 exec, exec, s[6:7]
.LBB100_185:
	s_or_b64 exec, exec, s[12:13]
	v_mov_b32_e32 v97, 0
	ds_read_b64 v[98:99], v97 offset:136
	s_waitcnt lgkmcnt(0)
	v_mul_f64 v[76:77], v[76:77], v[98:99]
	buffer_store_dword v77, off, s[0:3], 0 offset:140
	buffer_store_dword v76, off, s[0:3], 0 offset:136
.LBB100_186:
	s_or_b64 exec, exec, s[10:11]
	buffer_load_dword v76, off, s[0:3], 0 offset:128
	buffer_load_dword v77, off, s[0:3], 0 offset:132
	v_cmp_lt_u32_e64 s[6:7], 16, v0
	s_waitcnt vmcnt(0)
	ds_write_b64 v78, v[76:77]
	s_waitcnt lgkmcnt(0)
	; wave barrier
	s_waitcnt lgkmcnt(0)
	s_and_saveexec_b64 s[10:11], s[6:7]
	s_cbranch_execz .LBB100_196
; %bb.187:
	s_andn2_b64 vcc, exec, s[8:9]
	s_cbranch_vccnz .LBB100_189
; %bb.188:
	buffer_load_dword v76, v79, s[0:3], 0 offen
	buffer_load_dword v77, v79, s[0:3], 0 offen offset:4
	ds_read_b64 v[98:99], v78
	s_waitcnt vmcnt(0) lgkmcnt(0)
	v_mul_f64 v[76:77], v[76:77], v[98:99]
	s_cbranch_execz .LBB100_190
	s_branch .LBB100_191
.LBB100_189:
                                        ; implicit-def: $vgpr76_vgpr77
.LBB100_190:
	ds_read_b64 v[76:77], v78
.LBB100_191:
	s_and_saveexec_b64 s[12:13], s[4:5]
	s_cbranch_execz .LBB100_195
; %bb.192:
	v_subrev_u32_e32 v97, 17, v0
	s_movk_i32 s14, 0x1b8
	s_mov_b64 s[4:5], 0
.LBB100_193:                            ; =>This Inner Loop Header: Depth=1
	buffer_load_dword v98, v96, s[0:3], 0 offen
	buffer_load_dword v99, v96, s[0:3], 0 offen offset:4
	v_mov_b32_e32 v100, s14
	ds_read_b64 v[100:101], v100
	v_add_u32_e32 v97, -1, v97
	s_add_i32 s14, s14, 8
	v_cmp_eq_u32_e32 vcc, 0, v97
	v_add_u32_e32 v96, 8, v96
	s_or_b64 s[4:5], vcc, s[4:5]
	s_waitcnt vmcnt(0) lgkmcnt(0)
	v_fmac_f64_e32 v[76:77], v[98:99], v[100:101]
	s_andn2_b64 exec, exec, s[4:5]
	s_cbranch_execnz .LBB100_193
; %bb.194:
	s_or_b64 exec, exec, s[4:5]
.LBB100_195:
	s_or_b64 exec, exec, s[12:13]
	v_mov_b32_e32 v96, 0
	ds_read_b64 v[96:97], v96 offset:128
	s_waitcnt lgkmcnt(0)
	v_mul_f64 v[76:77], v[76:77], v[96:97]
	buffer_store_dword v77, off, s[0:3], 0 offset:132
	buffer_store_dword v76, off, s[0:3], 0 offset:128
.LBB100_196:
	s_or_b64 exec, exec, s[10:11]
	buffer_load_dword v76, off, s[0:3], 0 offset:120
	buffer_load_dword v77, off, s[0:3], 0 offset:124
	v_cmp_lt_u32_e64 s[4:5], 15, v0
	s_waitcnt vmcnt(0)
	ds_write_b64 v78, v[76:77]
	s_waitcnt lgkmcnt(0)
	; wave barrier
	s_waitcnt lgkmcnt(0)
	s_and_saveexec_b64 s[10:11], s[4:5]
	s_cbranch_execz .LBB100_206
; %bb.197:
	s_andn2_b64 vcc, exec, s[8:9]
	s_cbranch_vccnz .LBB100_199
; %bb.198:
	buffer_load_dword v76, v79, s[0:3], 0 offen
	buffer_load_dword v77, v79, s[0:3], 0 offen offset:4
	ds_read_b64 v[96:97], v78
	s_waitcnt vmcnt(0) lgkmcnt(0)
	v_mul_f64 v[76:77], v[76:77], v[96:97]
	s_cbranch_execz .LBB100_200
	s_branch .LBB100_201
.LBB100_199:
                                        ; implicit-def: $vgpr76_vgpr77
.LBB100_200:
	ds_read_b64 v[76:77], v78
.LBB100_201:
	s_and_saveexec_b64 s[12:13], s[6:7]
	s_cbranch_execz .LBB100_205
; %bb.202:
	v_add_u32_e32 v96, -16, v0
	s_movk_i32 s14, 0x1b0
	s_mov_b64 s[6:7], 0
.LBB100_203:                            ; =>This Inner Loop Header: Depth=1
	buffer_load_dword v98, v95, s[0:3], 0 offen
	buffer_load_dword v99, v95, s[0:3], 0 offen offset:4
	v_mov_b32_e32 v97, s14
	ds_read_b64 v[100:101], v97
	v_add_u32_e32 v96, -1, v96
	s_add_i32 s14, s14, 8
	v_cmp_eq_u32_e32 vcc, 0, v96
	v_add_u32_e32 v95, 8, v95
	s_or_b64 s[6:7], vcc, s[6:7]
	s_waitcnt vmcnt(0) lgkmcnt(0)
	v_fmac_f64_e32 v[76:77], v[98:99], v[100:101]
	s_andn2_b64 exec, exec, s[6:7]
	s_cbranch_execnz .LBB100_203
; %bb.204:
	s_or_b64 exec, exec, s[6:7]
.LBB100_205:
	s_or_b64 exec, exec, s[12:13]
	v_mov_b32_e32 v95, 0
	ds_read_b64 v[96:97], v95 offset:120
	s_waitcnt lgkmcnt(0)
	v_mul_f64 v[76:77], v[76:77], v[96:97]
	buffer_store_dword v77, off, s[0:3], 0 offset:124
	buffer_store_dword v76, off, s[0:3], 0 offset:120
.LBB100_206:
	s_or_b64 exec, exec, s[10:11]
	buffer_load_dword v76, off, s[0:3], 0 offset:112
	buffer_load_dword v77, off, s[0:3], 0 offset:116
	v_cmp_lt_u32_e64 s[6:7], 14, v0
	s_waitcnt vmcnt(0)
	ds_write_b64 v78, v[76:77]
	s_waitcnt lgkmcnt(0)
	; wave barrier
	s_waitcnt lgkmcnt(0)
	s_and_saveexec_b64 s[10:11], s[6:7]
	s_cbranch_execz .LBB100_216
; %bb.207:
	s_andn2_b64 vcc, exec, s[8:9]
	s_cbranch_vccnz .LBB100_209
; %bb.208:
	buffer_load_dword v76, v79, s[0:3], 0 offen
	buffer_load_dword v77, v79, s[0:3], 0 offen offset:4
	ds_read_b64 v[96:97], v78
	s_waitcnt vmcnt(0) lgkmcnt(0)
	v_mul_f64 v[76:77], v[76:77], v[96:97]
	s_cbranch_execz .LBB100_210
	s_branch .LBB100_211
.LBB100_209:
                                        ; implicit-def: $vgpr76_vgpr77
.LBB100_210:
	ds_read_b64 v[76:77], v78
.LBB100_211:
	s_and_saveexec_b64 s[12:13], s[4:5]
	s_cbranch_execz .LBB100_215
; %bb.212:
	v_add_u32_e32 v95, -15, v0
	s_movk_i32 s14, 0x1a8
	s_mov_b64 s[4:5], 0
.LBB100_213:                            ; =>This Inner Loop Header: Depth=1
	buffer_load_dword v96, v94, s[0:3], 0 offen
	buffer_load_dword v97, v94, s[0:3], 0 offen offset:4
	v_mov_b32_e32 v98, s14
	ds_read_b64 v[98:99], v98
	v_add_u32_e32 v95, -1, v95
	s_add_i32 s14, s14, 8
	v_cmp_eq_u32_e32 vcc, 0, v95
	v_add_u32_e32 v94, 8, v94
	s_or_b64 s[4:5], vcc, s[4:5]
	s_waitcnt vmcnt(0) lgkmcnt(0)
	v_fmac_f64_e32 v[76:77], v[96:97], v[98:99]
	s_andn2_b64 exec, exec, s[4:5]
	s_cbranch_execnz .LBB100_213
; %bb.214:
	s_or_b64 exec, exec, s[4:5]
.LBB100_215:
	s_or_b64 exec, exec, s[12:13]
	v_mov_b32_e32 v94, 0
	ds_read_b64 v[94:95], v94 offset:112
	s_waitcnt lgkmcnt(0)
	v_mul_f64 v[76:77], v[76:77], v[94:95]
	buffer_store_dword v77, off, s[0:3], 0 offset:116
	buffer_store_dword v76, off, s[0:3], 0 offset:112
.LBB100_216:
	;; [unrolled: 58-line block ×15, first 2 shown]
	s_or_b64 exec, exec, s[10:11]
	buffer_load_dword v76, off, s[0:3], 0
	buffer_load_dword v77, off, s[0:3], 0 offset:4
	v_cmp_ne_u32_e32 vcc, 0, v0
	s_waitcnt vmcnt(0)
	ds_write_b64 v78, v[76:77]
	s_waitcnt lgkmcnt(0)
	; wave barrier
	s_waitcnt lgkmcnt(0)
	s_and_saveexec_b64 s[6:7], vcc
	s_cbranch_execz .LBB100_356
; %bb.347:
	s_andn2_b64 vcc, exec, s[8:9]
	s_cbranch_vccnz .LBB100_349
; %bb.348:
	buffer_load_dword v76, v79, s[0:3], 0 offen
	buffer_load_dword v77, v79, s[0:3], 0 offen offset:4
	ds_read_b64 v[82:83], v78
	s_waitcnt vmcnt(0) lgkmcnt(0)
	v_mul_f64 v[76:77], v[76:77], v[82:83]
	s_cbranch_execz .LBB100_350
	s_branch .LBB100_351
.LBB100_349:
                                        ; implicit-def: $vgpr76_vgpr77
.LBB100_350:
	ds_read_b64 v[76:77], v78
.LBB100_351:
	s_and_saveexec_b64 s[10:11], s[4:5]
	s_cbranch_execz .LBB100_355
; %bb.352:
	v_add_u32_e32 v81, -1, v0
	s_movk_i32 s12, 0x138
	s_mov_b64 s[4:5], 0
.LBB100_353:                            ; =>This Inner Loop Header: Depth=1
	buffer_load_dword v82, v80, s[0:3], 0 offen
	buffer_load_dword v83, v80, s[0:3], 0 offen offset:4
	v_mov_b32_e32 v84, s12
	ds_read_b64 v[84:85], v84
	v_add_u32_e32 v81, -1, v81
	s_add_i32 s12, s12, 8
	v_cmp_eq_u32_e32 vcc, 0, v81
	v_add_u32_e32 v80, 8, v80
	s_or_b64 s[4:5], vcc, s[4:5]
	s_waitcnt vmcnt(0) lgkmcnt(0)
	v_fmac_f64_e32 v[76:77], v[82:83], v[84:85]
	s_andn2_b64 exec, exec, s[4:5]
	s_cbranch_execnz .LBB100_353
; %bb.354:
	s_or_b64 exec, exec, s[4:5]
.LBB100_355:
	s_or_b64 exec, exec, s[10:11]
	v_mov_b32_e32 v80, 0
	ds_read_b64 v[80:81], v80
	s_waitcnt lgkmcnt(0)
	v_mul_f64 v[76:77], v[76:77], v[80:81]
	buffer_store_dword v77, off, s[0:3], 0 offset:4
	buffer_store_dword v76, off, s[0:3], 0
.LBB100_356:
	s_or_b64 exec, exec, s[6:7]
	s_mov_b64 s[4:5], 0
.LBB100_357:
	s_and_b64 vcc, exec, s[4:5]
	s_cbranch_vccz .LBB100_711
; %bb.358:
	buffer_load_dword v76, off, s[0:3], 0 offset:8
	buffer_load_dword v77, off, s[0:3], 0 offset:12
	v_cmp_eq_u32_e64 s[6:7], 0, v0
	s_waitcnt vmcnt(0)
	ds_write_b64 v78, v[76:77]
	s_waitcnt lgkmcnt(0)
	; wave barrier
	s_waitcnt lgkmcnt(0)
	s_and_saveexec_b64 s[4:5], s[6:7]
	s_cbranch_execz .LBB100_364
; %bb.359:
	s_and_b64 vcc, exec, s[8:9]
	s_cbranch_vccz .LBB100_361
; %bb.360:
	buffer_load_dword v76, v79, s[0:3], 0 offen
	buffer_load_dword v77, v79, s[0:3], 0 offen offset:4
	ds_read_b64 v[80:81], v78
	s_waitcnt vmcnt(0) lgkmcnt(0)
	v_mul_f64 v[76:77], v[76:77], v[80:81]
	s_cbranch_execz .LBB100_362
	s_branch .LBB100_363
.LBB100_361:
                                        ; implicit-def: $vgpr76_vgpr77
.LBB100_362:
	ds_read_b64 v[76:77], v78
.LBB100_363:
	v_mov_b32_e32 v80, 0
	ds_read_b64 v[80:81], v80 offset:8
	s_waitcnt lgkmcnt(0)
	v_mul_f64 v[76:77], v[76:77], v[80:81]
	buffer_store_dword v77, off, s[0:3], 0 offset:12
	buffer_store_dword v76, off, s[0:3], 0 offset:8
.LBB100_364:
	s_or_b64 exec, exec, s[4:5]
	buffer_load_dword v76, off, s[0:3], 0 offset:16
	buffer_load_dword v77, off, s[0:3], 0 offset:20
	v_cndmask_b32_e64 v80, 0, 1, s[8:9]
	v_cmp_gt_u32_e32 vcc, 2, v0
	v_cmp_ne_u32_e64 s[4:5], 1, v80
	s_waitcnt vmcnt(0)
	ds_write_b64 v78, v[76:77]
	s_waitcnt lgkmcnt(0)
	; wave barrier
	s_waitcnt lgkmcnt(0)
	s_and_saveexec_b64 s[8:9], vcc
	s_cbranch_execz .LBB100_372
; %bb.365:
	s_and_b64 vcc, exec, s[4:5]
	s_cbranch_vccnz .LBB100_367
; %bb.366:
	buffer_load_dword v76, v79, s[0:3], 0 offen
	buffer_load_dword v77, v79, s[0:3], 0 offen offset:4
	ds_read_b64 v[80:81], v78
	s_waitcnt vmcnt(0) lgkmcnt(0)
	v_mul_f64 v[76:77], v[76:77], v[80:81]
	s_cbranch_execz .LBB100_368
	s_branch .LBB100_369
.LBB100_367:
                                        ; implicit-def: $vgpr76_vgpr77
.LBB100_368:
	ds_read_b64 v[76:77], v78
.LBB100_369:
	s_and_saveexec_b64 s[10:11], s[6:7]
	s_cbranch_execz .LBB100_371
; %bb.370:
	buffer_load_dword v80, v79, s[0:3], 0 offen offset:8
	buffer_load_dword v81, v79, s[0:3], 0 offen offset:12
	ds_read_b64 v[82:83], v78 offset:8
	s_waitcnt vmcnt(0) lgkmcnt(0)
	v_fmac_f64_e32 v[76:77], v[80:81], v[82:83]
.LBB100_371:
	s_or_b64 exec, exec, s[10:11]
	v_mov_b32_e32 v80, 0
	ds_read_b64 v[80:81], v80 offset:16
	s_waitcnt lgkmcnt(0)
	v_mul_f64 v[76:77], v[76:77], v[80:81]
	buffer_store_dword v77, off, s[0:3], 0 offset:20
	buffer_store_dword v76, off, s[0:3], 0 offset:16
.LBB100_372:
	s_or_b64 exec, exec, s[8:9]
	buffer_load_dword v76, off, s[0:3], 0 offset:24
	buffer_load_dword v77, off, s[0:3], 0 offset:28
	v_cmp_gt_u32_e32 vcc, 3, v0
	s_waitcnt vmcnt(0)
	ds_write_b64 v78, v[76:77]
	s_waitcnt lgkmcnt(0)
	; wave barrier
	s_waitcnt lgkmcnt(0)
	s_and_saveexec_b64 s[8:9], vcc
	s_cbranch_execz .LBB100_380
; %bb.373:
	s_and_b64 vcc, exec, s[4:5]
	s_cbranch_vccnz .LBB100_375
; %bb.374:
	buffer_load_dword v76, v79, s[0:3], 0 offen
	buffer_load_dword v77, v79, s[0:3], 0 offen offset:4
	ds_read_b64 v[80:81], v78
	s_waitcnt vmcnt(0) lgkmcnt(0)
	v_mul_f64 v[76:77], v[76:77], v[80:81]
	s_cbranch_execz .LBB100_376
	s_branch .LBB100_377
.LBB100_375:
                                        ; implicit-def: $vgpr76_vgpr77
.LBB100_376:
	ds_read_b64 v[76:77], v78
.LBB100_377:
	v_cmp_ne_u32_e32 vcc, 2, v0
	s_and_saveexec_b64 s[10:11], vcc
	s_cbranch_execz .LBB100_379
; %bb.378:
	buffer_load_dword v81, v79, s[0:3], 0 offen offset:12
	buffer_load_dword v82, off, s[0:3], 0 offset:16
	buffer_load_dword v80, v79, s[0:3], 0 offen offset:8
	buffer_load_dword v83, off, s[0:3], 0 offset:20
	v_mov_b32_e32 v86, 0
	ds_read_b64 v[84:85], v78 offset:8
	ds_read_b64 v[86:87], v86 offset:320
	s_waitcnt vmcnt(1) lgkmcnt(1)
	v_fmac_f64_e32 v[76:77], v[80:81], v[84:85]
	s_waitcnt vmcnt(0) lgkmcnt(0)
	v_fma_f64 v[80:81], v[82:83], v[86:87], v[76:77]
	v_cndmask_b32_e64 v77, v77, v81, s[6:7]
	v_cndmask_b32_e64 v76, v76, v80, s[6:7]
.LBB100_379:
	s_or_b64 exec, exec, s[10:11]
	v_mov_b32_e32 v80, 0
	ds_read_b64 v[80:81], v80 offset:24
	s_waitcnt lgkmcnt(0)
	v_mul_f64 v[76:77], v[76:77], v[80:81]
	buffer_store_dword v77, off, s[0:3], 0 offset:28
	buffer_store_dword v76, off, s[0:3], 0 offset:24
.LBB100_380:
	s_or_b64 exec, exec, s[8:9]
	buffer_load_dword v76, off, s[0:3], 0 offset:32
	buffer_load_dword v77, off, s[0:3], 0 offset:36
	v_cmp_gt_u32_e32 vcc, 4, v0
	s_waitcnt vmcnt(0)
	ds_write_b64 v78, v[76:77]
	s_waitcnt lgkmcnt(0)
	; wave barrier
	s_waitcnt lgkmcnt(0)
	s_and_saveexec_b64 s[6:7], vcc
	s_cbranch_execz .LBB100_390
; %bb.381:
	s_and_b64 vcc, exec, s[4:5]
	s_cbranch_vccnz .LBB100_383
; %bb.382:
	buffer_load_dword v76, v79, s[0:3], 0 offen
	buffer_load_dword v77, v79, s[0:3], 0 offen offset:4
	ds_read_b64 v[80:81], v78
	s_waitcnt vmcnt(0) lgkmcnt(0)
	v_mul_f64 v[76:77], v[76:77], v[80:81]
	s_cbranch_execz .LBB100_384
	s_branch .LBB100_385
.LBB100_383:
                                        ; implicit-def: $vgpr76_vgpr77
.LBB100_384:
	ds_read_b64 v[76:77], v78
.LBB100_385:
	v_cmp_ne_u32_e32 vcc, 3, v0
	s_and_saveexec_b64 s[8:9], vcc
	s_cbranch_execz .LBB100_389
; %bb.386:
	v_mov_b32_e32 v81, 0
	v_add_u32_e32 v80, 0x138, v1
	v_add3_u32 v81, v1, v81, 8
	s_mov_b64 s[10:11], 0
	v_mov_b32_e32 v82, v0
.LBB100_387:                            ; =>This Inner Loop Header: Depth=1
	buffer_load_dword v84, v81, s[0:3], 0 offen
	buffer_load_dword v85, v81, s[0:3], 0 offen offset:4
	ds_read_b64 v[86:87], v80
	v_add_u32_e32 v82, 1, v82
	v_cmp_lt_u32_e32 vcc, 2, v82
	v_add_u32_e32 v80, 8, v80
	v_add_u32_e32 v81, 8, v81
	s_or_b64 s[10:11], vcc, s[10:11]
	s_waitcnt vmcnt(0) lgkmcnt(0)
	v_fmac_f64_e32 v[76:77], v[84:85], v[86:87]
	s_andn2_b64 exec, exec, s[10:11]
	s_cbranch_execnz .LBB100_387
; %bb.388:
	s_or_b64 exec, exec, s[10:11]
.LBB100_389:
	s_or_b64 exec, exec, s[8:9]
	v_mov_b32_e32 v80, 0
	ds_read_b64 v[80:81], v80 offset:32
	s_waitcnt lgkmcnt(0)
	v_mul_f64 v[76:77], v[76:77], v[80:81]
	buffer_store_dword v77, off, s[0:3], 0 offset:36
	buffer_store_dword v76, off, s[0:3], 0 offset:32
.LBB100_390:
	s_or_b64 exec, exec, s[6:7]
	buffer_load_dword v76, off, s[0:3], 0 offset:40
	buffer_load_dword v77, off, s[0:3], 0 offset:44
	v_cmp_gt_u32_e32 vcc, 5, v0
	s_waitcnt vmcnt(0)
	ds_write_b64 v78, v[76:77]
	s_waitcnt lgkmcnt(0)
	; wave barrier
	s_waitcnt lgkmcnt(0)
	s_and_saveexec_b64 s[6:7], vcc
	s_cbranch_execz .LBB100_400
; %bb.391:
	s_and_b64 vcc, exec, s[4:5]
	s_cbranch_vccnz .LBB100_393
; %bb.392:
	buffer_load_dword v76, v79, s[0:3], 0 offen
	buffer_load_dword v77, v79, s[0:3], 0 offen offset:4
	ds_read_b64 v[80:81], v78
	s_waitcnt vmcnt(0) lgkmcnt(0)
	v_mul_f64 v[76:77], v[76:77], v[80:81]
	s_cbranch_execz .LBB100_394
	s_branch .LBB100_395
.LBB100_393:
                                        ; implicit-def: $vgpr76_vgpr77
.LBB100_394:
	ds_read_b64 v[76:77], v78
.LBB100_395:
	v_cmp_ne_u32_e32 vcc, 4, v0
	s_and_saveexec_b64 s[8:9], vcc
	s_cbranch_execz .LBB100_399
; %bb.396:
	v_mov_b32_e32 v81, 0
	v_add_u32_e32 v80, 0x138, v1
	v_add3_u32 v81, v1, v81, 8
	s_mov_b64 s[10:11], 0
	v_mov_b32_e32 v82, v0
.LBB100_397:                            ; =>This Inner Loop Header: Depth=1
	buffer_load_dword v84, v81, s[0:3], 0 offen
	buffer_load_dword v85, v81, s[0:3], 0 offen offset:4
	ds_read_b64 v[86:87], v80
	v_add_u32_e32 v82, 1, v82
	v_cmp_lt_u32_e32 vcc, 3, v82
	v_add_u32_e32 v80, 8, v80
	v_add_u32_e32 v81, 8, v81
	s_or_b64 s[10:11], vcc, s[10:11]
	s_waitcnt vmcnt(0) lgkmcnt(0)
	v_fmac_f64_e32 v[76:77], v[84:85], v[86:87]
	s_andn2_b64 exec, exec, s[10:11]
	s_cbranch_execnz .LBB100_397
; %bb.398:
	s_or_b64 exec, exec, s[10:11]
.LBB100_399:
	s_or_b64 exec, exec, s[8:9]
	v_mov_b32_e32 v80, 0
	ds_read_b64 v[80:81], v80 offset:40
	s_waitcnt lgkmcnt(0)
	v_mul_f64 v[76:77], v[76:77], v[80:81]
	buffer_store_dword v77, off, s[0:3], 0 offset:44
	buffer_store_dword v76, off, s[0:3], 0 offset:40
.LBB100_400:
	;; [unrolled: 60-line block ×31, first 2 shown]
	s_or_b64 exec, exec, s[6:7]
	buffer_load_dword v76, off, s[0:3], 0 offset:280
	buffer_load_dword v77, off, s[0:3], 0 offset:284
	v_cmp_gt_u32_e64 s[6:7], 35, v0
	s_waitcnt vmcnt(0)
	ds_write_b64 v78, v[76:77]
	s_waitcnt lgkmcnt(0)
	; wave barrier
	s_waitcnt lgkmcnt(0)
	s_and_saveexec_b64 s[8:9], s[6:7]
	s_cbranch_execz .LBB100_700
; %bb.691:
	s_and_b64 vcc, exec, s[4:5]
	s_cbranch_vccnz .LBB100_693
; %bb.692:
	buffer_load_dword v76, v79, s[0:3], 0 offen
	buffer_load_dword v77, v79, s[0:3], 0 offen offset:4
	ds_read_b64 v[80:81], v78
	s_waitcnt vmcnt(0) lgkmcnt(0)
	v_mul_f64 v[76:77], v[76:77], v[80:81]
	s_cbranch_execz .LBB100_694
	s_branch .LBB100_695
.LBB100_693:
                                        ; implicit-def: $vgpr76_vgpr77
.LBB100_694:
	ds_read_b64 v[76:77], v78
.LBB100_695:
	v_cmp_ne_u32_e32 vcc, 34, v0
	s_and_saveexec_b64 s[10:11], vcc
	s_cbranch_execz .LBB100_699
; %bb.696:
	v_mov_b32_e32 v81, 0
	v_add_u32_e32 v80, 0x138, v1
	v_add3_u32 v81, v1, v81, 8
	s_mov_b64 s[12:13], 0
	v_mov_b32_e32 v82, v0
.LBB100_697:                            ; =>This Inner Loop Header: Depth=1
	buffer_load_dword v84, v81, s[0:3], 0 offen
	buffer_load_dword v85, v81, s[0:3], 0 offen offset:4
	ds_read_b64 v[86:87], v80
	v_add_u32_e32 v82, 1, v82
	v_cmp_lt_u32_e32 vcc, 33, v82
	v_add_u32_e32 v80, 8, v80
	v_add_u32_e32 v81, 8, v81
	s_or_b64 s[12:13], vcc, s[12:13]
	s_waitcnt vmcnt(0) lgkmcnt(0)
	v_fmac_f64_e32 v[76:77], v[84:85], v[86:87]
	s_andn2_b64 exec, exec, s[12:13]
	s_cbranch_execnz .LBB100_697
; %bb.698:
	s_or_b64 exec, exec, s[12:13]
.LBB100_699:
	s_or_b64 exec, exec, s[10:11]
	v_mov_b32_e32 v80, 0
	ds_read_b64 v[80:81], v80 offset:280
	s_waitcnt lgkmcnt(0)
	v_mul_f64 v[76:77], v[76:77], v[80:81]
	buffer_store_dword v77, off, s[0:3], 0 offset:284
	buffer_store_dword v76, off, s[0:3], 0 offset:280
.LBB100_700:
	s_or_b64 exec, exec, s[8:9]
	buffer_load_dword v76, off, s[0:3], 0 offset:288
	buffer_load_dword v77, off, s[0:3], 0 offset:292
	v_cmp_ne_u32_e32 vcc, 36, v0
	s_waitcnt vmcnt(0)
	ds_write_b64 v78, v[76:77]
	s_waitcnt lgkmcnt(0)
	; wave barrier
	s_waitcnt lgkmcnt(0)
	s_and_saveexec_b64 s[8:9], vcc
	s_cbranch_execz .LBB100_710
; %bb.701:
	s_and_b64 vcc, exec, s[4:5]
	s_cbranch_vccnz .LBB100_703
; %bb.702:
	buffer_load_dword v76, v79, s[0:3], 0 offen
	buffer_load_dword v77, v79, s[0:3], 0 offen offset:4
	ds_read_b64 v[80:81], v78
	s_waitcnt vmcnt(0) lgkmcnt(0)
	v_mul_f64 v[76:77], v[76:77], v[80:81]
	s_cbranch_execz .LBB100_704
	s_branch .LBB100_705
.LBB100_703:
                                        ; implicit-def: $vgpr76_vgpr77
.LBB100_704:
	ds_read_b64 v[76:77], v78
.LBB100_705:
	s_and_saveexec_b64 s[4:5], s[6:7]
	s_cbranch_execz .LBB100_709
; %bb.706:
	v_mov_b32_e32 v79, 0
	v_add_u32_e32 v78, 0x138, v1
	v_add3_u32 v1, v1, v79, 8
	s_mov_b64 s[6:7], 0
.LBB100_707:                            ; =>This Inner Loop Header: Depth=1
	buffer_load_dword v80, v1, s[0:3], 0 offen
	buffer_load_dword v81, v1, s[0:3], 0 offen offset:4
	ds_read_b64 v[82:83], v78
	v_add_u32_e32 v0, 1, v0
	v_cmp_lt_u32_e32 vcc, 34, v0
	v_add_u32_e32 v78, 8, v78
	v_add_u32_e32 v1, 8, v1
	s_or_b64 s[6:7], vcc, s[6:7]
	s_waitcnt vmcnt(0) lgkmcnt(0)
	v_fmac_f64_e32 v[76:77], v[80:81], v[82:83]
	s_andn2_b64 exec, exec, s[6:7]
	s_cbranch_execnz .LBB100_707
; %bb.708:
	s_or_b64 exec, exec, s[6:7]
.LBB100_709:
	s_or_b64 exec, exec, s[4:5]
	v_mov_b32_e32 v0, 0
	ds_read_b64 v[0:1], v0 offset:288
	s_waitcnt lgkmcnt(0)
	v_mul_f64 v[0:1], v[76:77], v[0:1]
	buffer_store_dword v1, off, s[0:3], 0 offset:292
	buffer_store_dword v0, off, s[0:3], 0 offset:288
.LBB100_710:
	s_or_b64 exec, exec, s[8:9]
.LBB100_711:
	buffer_load_dword v0, off, s[0:3], 0
	buffer_load_dword v1, off, s[0:3], 0 offset:4
	buffer_load_dword v76, off, s[0:3], 0 offset:8
	;; [unrolled: 1-line block ×15, first 2 shown]
	s_waitcnt vmcnt(14)
	global_store_dwordx2 v[72:73], v[0:1], off
	s_waitcnt vmcnt(13)
	global_store_dwordx2 v[74:75], v[76:77], off
	;; [unrolled: 2-line block ×8, first 2 shown]
	buffer_load_dword v1, off, s[0:3], 0 offset:68
	buffer_load_dword v0, off, s[0:3], 0 offset:64
	s_waitcnt vmcnt(0)
	global_store_dwordx2 v[20:21], v[0:1], off
	buffer_load_dword v0, off, s[0:3], 0 offset:72
	s_nop 0
	buffer_load_dword v1, off, s[0:3], 0 offset:76
	s_waitcnt vmcnt(0)
	global_store_dwordx2 v[12:13], v[0:1], off
	buffer_load_dword v0, off, s[0:3], 0 offset:80
	s_nop 0
	;; [unrolled: 5-line block ×28, first 2 shown]
	buffer_load_dword v1, off, s[0:3], 0 offset:292
	s_waitcnt vmcnt(0)
	global_store_dwordx2 v[54:55], v[0:1], off
.LBB100_712:
	s_endpgm
	.section	.rodata,"a",@progbits
	.p2align	6, 0x0
	.amdhsa_kernel _ZN9rocsolver6v33100L18trti2_kernel_smallILi37EdPKPdEEv13rocblas_fill_17rocblas_diagonal_T1_iil
		.amdhsa_group_segment_fixed_size 600
		.amdhsa_private_segment_fixed_size 304
		.amdhsa_kernarg_size 32
		.amdhsa_user_sgpr_count 8
		.amdhsa_user_sgpr_private_segment_buffer 1
		.amdhsa_user_sgpr_dispatch_ptr 0
		.amdhsa_user_sgpr_queue_ptr 0
		.amdhsa_user_sgpr_kernarg_segment_ptr 1
		.amdhsa_user_sgpr_dispatch_id 0
		.amdhsa_user_sgpr_flat_scratch_init 1
		.amdhsa_user_sgpr_kernarg_preload_length 0
		.amdhsa_user_sgpr_kernarg_preload_offset 0
		.amdhsa_user_sgpr_private_segment_size 0
		.amdhsa_uses_dynamic_stack 0
		.amdhsa_system_sgpr_private_segment_wavefront_offset 1
		.amdhsa_system_sgpr_workgroup_id_x 1
		.amdhsa_system_sgpr_workgroup_id_y 0
		.amdhsa_system_sgpr_workgroup_id_z 0
		.amdhsa_system_sgpr_workgroup_info 0
		.amdhsa_system_vgpr_workitem_id 0
		.amdhsa_next_free_vgpr 124
		.amdhsa_next_free_sgpr 16
		.amdhsa_accum_offset 124
		.amdhsa_reserve_vcc 1
		.amdhsa_reserve_flat_scratch 0
		.amdhsa_float_round_mode_32 0
		.amdhsa_float_round_mode_16_64 0
		.amdhsa_float_denorm_mode_32 3
		.amdhsa_float_denorm_mode_16_64 3
		.amdhsa_dx10_clamp 1
		.amdhsa_ieee_mode 1
		.amdhsa_fp16_overflow 0
		.amdhsa_tg_split 0
		.amdhsa_exception_fp_ieee_invalid_op 0
		.amdhsa_exception_fp_denorm_src 0
		.amdhsa_exception_fp_ieee_div_zero 0
		.amdhsa_exception_fp_ieee_overflow 0
		.amdhsa_exception_fp_ieee_underflow 0
		.amdhsa_exception_fp_ieee_inexact 0
		.amdhsa_exception_int_div_zero 0
	.end_amdhsa_kernel
	.section	.text._ZN9rocsolver6v33100L18trti2_kernel_smallILi37EdPKPdEEv13rocblas_fill_17rocblas_diagonal_T1_iil,"axG",@progbits,_ZN9rocsolver6v33100L18trti2_kernel_smallILi37EdPKPdEEv13rocblas_fill_17rocblas_diagonal_T1_iil,comdat
.Lfunc_end100:
	.size	_ZN9rocsolver6v33100L18trti2_kernel_smallILi37EdPKPdEEv13rocblas_fill_17rocblas_diagonal_T1_iil, .Lfunc_end100-_ZN9rocsolver6v33100L18trti2_kernel_smallILi37EdPKPdEEv13rocblas_fill_17rocblas_diagonal_T1_iil
                                        ; -- End function
	.section	.AMDGPU.csdata,"",@progbits
; Kernel info:
; codeLenInByte = 21576
; NumSgprs: 20
; NumVgprs: 124
; NumAgprs: 0
; TotalNumVgprs: 124
; ScratchSize: 304
; MemoryBound: 0
; FloatMode: 240
; IeeeMode: 1
; LDSByteSize: 600 bytes/workgroup (compile time only)
; SGPRBlocks: 2
; VGPRBlocks: 15
; NumSGPRsForWavesPerEU: 20
; NumVGPRsForWavesPerEU: 124
; AccumOffset: 124
; Occupancy: 4
; WaveLimiterHint : 1
; COMPUTE_PGM_RSRC2:SCRATCH_EN: 1
; COMPUTE_PGM_RSRC2:USER_SGPR: 8
; COMPUTE_PGM_RSRC2:TRAP_HANDLER: 0
; COMPUTE_PGM_RSRC2:TGID_X_EN: 1
; COMPUTE_PGM_RSRC2:TGID_Y_EN: 0
; COMPUTE_PGM_RSRC2:TGID_Z_EN: 0
; COMPUTE_PGM_RSRC2:TIDIG_COMP_CNT: 0
; COMPUTE_PGM_RSRC3_GFX90A:ACCUM_OFFSET: 30
; COMPUTE_PGM_RSRC3_GFX90A:TG_SPLIT: 0
	.section	.text._ZN9rocsolver6v33100L18trti2_kernel_smallILi38EdPKPdEEv13rocblas_fill_17rocblas_diagonal_T1_iil,"axG",@progbits,_ZN9rocsolver6v33100L18trti2_kernel_smallILi38EdPKPdEEv13rocblas_fill_17rocblas_diagonal_T1_iil,comdat
	.globl	_ZN9rocsolver6v33100L18trti2_kernel_smallILi38EdPKPdEEv13rocblas_fill_17rocblas_diagonal_T1_iil ; -- Begin function _ZN9rocsolver6v33100L18trti2_kernel_smallILi38EdPKPdEEv13rocblas_fill_17rocblas_diagonal_T1_iil
	.p2align	8
	.type	_ZN9rocsolver6v33100L18trti2_kernel_smallILi38EdPKPdEEv13rocblas_fill_17rocblas_diagonal_T1_iil,@function
_ZN9rocsolver6v33100L18trti2_kernel_smallILi38EdPKPdEEv13rocblas_fill_17rocblas_diagonal_T1_iil: ; @_ZN9rocsolver6v33100L18trti2_kernel_smallILi38EdPKPdEEv13rocblas_fill_17rocblas_diagonal_T1_iil
; %bb.0:
	s_add_u32 s0, s0, s9
	s_addc_u32 s1, s1, 0
	v_cmp_gt_u32_e32 vcc, 38, v0
	s_and_saveexec_b64 s[6:7], vcc
	s_cbranch_execz .LBB101_732
; %bb.1:
	s_load_dwordx2 s[6:7], s[4:5], 0x10
	s_load_dwordx4 s[12:15], s[4:5], 0x0
	s_ashr_i32 s9, s8, 31
	s_lshl_b64 s[4:5], s[8:9], 3
	s_waitcnt lgkmcnt(0)
	s_ashr_i32 s9, s6, 31
	s_add_u32 s4, s14, s4
	s_addc_u32 s5, s15, s5
	s_load_dwordx2 s[4:5], s[4:5], 0x0
	s_mov_b32 s8, s6
	s_lshl_b64 s[8:9], s[8:9], 3
	s_waitcnt lgkmcnt(0)
	s_add_u32 s4, s4, s8
	s_addc_u32 s5, s5, s9
	s_add_i32 s6, s7, s7
	v_add_u32_e32 v4, s6, v0
	v_ashrrev_i32_e32 v5, 31, v4
	v_lshlrev_b64 v[2:3], 3, v[4:5]
	v_add_u32_e32 v6, s7, v4
	v_mov_b32_e32 v1, s5
	v_add_co_u32_e32 v2, vcc, s4, v2
	v_ashrrev_i32_e32 v7, 31, v6
	v_addc_co_u32_e32 v3, vcc, v1, v3, vcc
	v_lshlrev_b64 v[4:5], 3, v[6:7]
	v_add_u32_e32 v8, s7, v6
	v_add_co_u32_e32 v4, vcc, s4, v4
	v_ashrrev_i32_e32 v9, 31, v8
	v_addc_co_u32_e32 v5, vcc, v1, v5, vcc
	v_lshlrev_b64 v[6:7], 3, v[8:9]
	v_add_u32_e32 v10, s7, v8
	;; [unrolled: 5-line block ×5, first 2 shown]
	v_add_co_u32_e32 v14, vcc, s4, v14
	v_ashrrev_i32_e32 v13, 31, v12
	v_addc_co_u32_e32 v15, vcc, v1, v15, vcc
	v_lshlrev_b64 v[16:17], 3, v[12:13]
	v_add_co_u32_e32 v20, vcc, s4, v16
	v_add_u32_e32 v16, s7, v12
	v_addc_co_u32_e32 v21, vcc, v1, v17, vcc
	v_ashrrev_i32_e32 v17, 31, v16
	v_lshlrev_b64 v[12:13], 3, v[16:17]
	v_add_u32_e32 v18, s7, v16
	v_add_co_u32_e32 v12, vcc, s4, v12
	v_ashrrev_i32_e32 v19, 31, v18
	v_addc_co_u32_e32 v13, vcc, v1, v13, vcc
	v_lshlrev_b64 v[16:17], 3, v[18:19]
	v_add_u32_e32 v22, s7, v18
	v_add_co_u32_e32 v16, vcc, s4, v16
	v_ashrrev_i32_e32 v23, 31, v22
	v_addc_co_u32_e32 v17, vcc, v1, v17, vcc
	;; [unrolled: 5-line block ×20, first 2 shown]
	v_lshlrev_b64 v[56:57], 3, v[58:59]
	v_add_co_u32_e32 v56, vcc, s4, v56
	v_addc_co_u32_e32 v57, vcc, v1, v57, vcc
	v_lshlrev_b32_e32 v1, 3, v0
	v_mov_b32_e32 v59, s5
	v_add_co_u32_e32 v74, vcc, s4, v1
	s_ashr_i32 s9, s7, 31
	s_mov_b32 s8, s7
	v_addc_co_u32_e32 v75, vcc, 0, v59, vcc
	s_lshl_b64 s[8:9], s[8:9], 3
	v_mov_b32_e32 v59, s9
	v_add_co_u32_e32 v76, vcc, s8, v74
	global_load_dwordx2 v[78:79], v1, s[4:5]
	global_load_dwordx2 v[82:83], v[2:3], off
	global_load_dwordx2 v[84:85], v[4:5], off
	v_addc_co_u32_e32 v77, vcc, v75, v59, vcc
	global_load_dwordx2 v[80:81], v[76:77], off
	global_load_dwordx2 v[86:87], v[6:7], off
	;; [unrolled: 1-line block ×12, first 2 shown]
	v_add_u32_e32 v58, s7, v58
	v_ashrrev_i32_e32 v59, 31, v58
	v_lshlrev_b64 v[60:61], 3, v[58:59]
	v_add_u32_e32 v58, s7, v58
	v_mov_b32_e32 v62, s5
	v_add_co_u32_e32 v60, vcc, s4, v60
	v_ashrrev_i32_e32 v59, 31, v58
	v_addc_co_u32_e32 v61, vcc, v62, v61, vcc
	v_lshlrev_b64 v[62:63], 3, v[58:59]
	v_add_u32_e32 v58, s7, v58
	v_mov_b32_e32 v64, s5
	v_add_co_u32_e32 v62, vcc, s4, v62
	v_ashrrev_i32_e32 v59, 31, v58
	v_addc_co_u32_e32 v63, vcc, v64, v63, vcc
	;; [unrolled: 6-line block ×7, first 2 shown]
	v_lshlrev_b64 v[58:59], 3, v[58:59]
	v_add_co_u32_e32 v58, vcc, s4, v58
	v_addc_co_u32_e32 v59, vcc, v108, v59, vcc
	global_load_dwordx2 v[108:109], v[58:59], off
	s_waitcnt vmcnt(15)
	buffer_store_dword v79, off, s[0:3], 0 offset:4
	buffer_store_dword v78, off, s[0:3], 0
	s_waitcnt vmcnt(14)
	buffer_store_dword v81, off, s[0:3], 0 offset:12
	buffer_store_dword v80, off, s[0:3], 0 offset:8
	;; [unrolled: 1-line block ×6, first 2 shown]
	s_waitcnt vmcnt(19)
	buffer_store_dword v87, off, s[0:3], 0 offset:36
	global_load_dwordx2 v[78:79], v[28:29], off
	global_load_dwordx2 v[80:81], v[30:31], off
	;; [unrolled: 1-line block ×11, first 2 shown]
	s_cmpk_lg_i32 s13, 0x84
	buffer_store_dword v86, off, s[0:3], 0 offset:32
	global_load_dwordx2 v[86:87], v[36:37], off
	s_cselect_b64 s[8:9], -1, 0
	s_waitcnt vmcnt(32)
	buffer_store_dword v89, off, s[0:3], 0 offset:44
	buffer_store_dword v88, off, s[0:3], 0 offset:40
	global_load_dwordx2 v[88:89], v[38:39], off
	s_cmpk_eq_i32 s13, 0x84
	s_waitcnt vmcnt(34)
	buffer_store_dword v91, off, s[0:3], 0 offset:52
	buffer_store_dword v90, off, s[0:3], 0 offset:48
	global_load_dwordx2 v[90:91], v[40:41], off
	s_waitcnt vmcnt(36)
	buffer_store_dword v93, off, s[0:3], 0 offset:60
	buffer_store_dword v92, off, s[0:3], 0 offset:56
	global_load_dwordx2 v[92:93], v[42:43], off
	;; [unrolled: 4-line block ×4, first 2 shown]
	s_nop 0
	buffer_store_dword v98, off, s[0:3], 0 offset:80
	buffer_store_dword v99, off, s[0:3], 0 offset:84
	global_load_dwordx2 v[98:99], v[54:55], off
	s_nop 0
	buffer_store_dword v100, off, s[0:3], 0 offset:88
	buffer_store_dword v101, off, s[0:3], 0 offset:92
	global_load_dwordx2 v[100:101], v[60:61], off
	s_waitcnt vmcnt(46)
	buffer_store_dword v102, off, s[0:3], 0 offset:96
	buffer_store_dword v103, off, s[0:3], 0 offset:100
	global_load_dwordx2 v[102:103], v[64:65], off
	s_waitcnt vmcnt(48)
	;; [unrolled: 4-line block ×4, first 2 shown]
	buffer_store_dword v78, off, s[0:3], 0 offset:120
	buffer_store_dword v79, off, s[0:3], 0 offset:124
	s_waitcnt vmcnt(43)
	buffer_store_dword v80, off, s[0:3], 0 offset:128
	buffer_store_dword v81, off, s[0:3], 0 offset:132
	s_waitcnt vmcnt(44)
	;; [unrolled: 3-line block ×7, first 2 shown]
	buffer_store_dword v92, off, s[0:3], 0 offset:176
	buffer_store_dword v93, off, s[0:3], 0 offset:180
	buffer_store_dword v110, off, s[0:3], 0 offset:184
	buffer_store_dword v111, off, s[0:3], 0 offset:188
	s_waitcnt vmcnt(36)
	buffer_store_dword v94, off, s[0:3], 0 offset:192
	buffer_store_dword v95, off, s[0:3], 0 offset:196
	buffer_store_dword v113, off, s[0:3], 0 offset:204
	buffer_store_dword v112, off, s[0:3], 0 offset:200
	s_waitcnt vmcnt(37)
	buffer_store_dword v97, off, s[0:3], 0 offset:212
	buffer_store_dword v96, off, s[0:3], 0 offset:208
	buffer_store_dword v114, off, s[0:3], 0 offset:216
	buffer_store_dword v115, off, s[0:3], 0 offset:220
	s_waitcnt vmcnt(38)
	buffer_store_dword v98, off, s[0:3], 0 offset:224
	buffer_store_dword v99, off, s[0:3], 0 offset:228
	buffer_store_dword v116, off, s[0:3], 0 offset:232
	buffer_store_dword v117, off, s[0:3], 0 offset:236
	s_waitcnt vmcnt(39)
	buffer_store_dword v100, off, s[0:3], 0 offset:240
	buffer_store_dword v101, off, s[0:3], 0 offset:244
	buffer_store_dword v119, off, s[0:3], 0 offset:252
	buffer_store_dword v118, off, s[0:3], 0 offset:248
	s_waitcnt vmcnt(40)
	buffer_store_dword v103, off, s[0:3], 0 offset:260
	buffer_store_dword v102, off, s[0:3], 0 offset:256
	buffer_store_dword v120, off, s[0:3], 0 offset:264
	buffer_store_dword v121, off, s[0:3], 0 offset:268
	s_waitcnt vmcnt(41)
	buffer_store_dword v104, off, s[0:3], 0 offset:272
	buffer_store_dword v105, off, s[0:3], 0 offset:276
	buffer_store_dword v122, off, s[0:3], 0 offset:280
	buffer_store_dword v123, off, s[0:3], 0 offset:284
	s_waitcnt vmcnt(42)
	buffer_store_dword v106, off, s[0:3], 0 offset:288
	buffer_store_dword v107, off, s[0:3], 0 offset:292
	;; [unrolled: 1-line block ×4, first 2 shown]
	v_mov_b32_e32 v78, 0
	v_mov_b32_e32 v116, 0
	;; [unrolled: 1-line block ×3, first 2 shown]
	s_cbranch_scc1 .LBB101_3
; %bb.2:
	v_lshl_add_u32 v88, v0, 3, v116
	buffer_load_dword v78, v88, s[0:3], 0 offen
	buffer_load_dword v79, v88, s[0:3], 0 offen offset:4
	s_waitcnt vmcnt(0)
	v_div_scale_f64 v[80:81], s[4:5], v[78:79], v[78:79], 1.0
	v_rcp_f64_e32 v[82:83], v[80:81]
	v_div_scale_f64 v[84:85], vcc, 1.0, v[78:79], 1.0
	v_fma_f64 v[86:87], -v[80:81], v[82:83], 1.0
	v_fmac_f64_e32 v[82:83], v[82:83], v[86:87]
	v_fma_f64 v[86:87], -v[80:81], v[82:83], 1.0
	v_fmac_f64_e32 v[82:83], v[82:83], v[86:87]
	v_mul_f64 v[86:87], v[84:85], v[82:83]
	v_fma_f64 v[80:81], -v[80:81], v[86:87], v[84:85]
	v_div_fmas_f64 v[80:81], v[80:81], v[82:83], v[86:87]
	v_div_fixup_f64 v[78:79], v[80:81], v[78:79], 1.0
	buffer_store_dword v78, v88, s[0:3], 0 offen
	buffer_store_dword v79, v88, s[0:3], 0 offen offset:4
	v_xor_b32_e32 v79, 0x80000000, v79
.LBB101_3:
	s_cmpk_eq_i32 s12, 0x79
	v_add_u32_e32 v80, 0x130, v1
	v_add_u32_e32 v81, 0, v1
	s_mov_b64 s[4:5], -1
	ds_write_b64 v1, v[78:79]
	s_cbranch_scc1 .LBB101_367
; %bb.4:
	buffer_load_dword v78, off, s[0:3], 0 offset:288
	buffer_load_dword v79, off, s[0:3], 0 offset:292
	v_cmp_eq_u32_e64 s[4:5], 37, v0
	s_waitcnt vmcnt(0)
	ds_write_b64 v80, v[78:79]
	s_waitcnt lgkmcnt(0)
	; wave barrier
	s_waitcnt lgkmcnt(0)
	s_and_saveexec_b64 s[6:7], s[4:5]
	s_cbranch_execz .LBB101_10
; %bb.5:
	s_and_b64 vcc, exec, s[8:9]
	s_cbranch_vccz .LBB101_7
; %bb.6:
	buffer_load_dword v78, v81, s[0:3], 0 offen
	buffer_load_dword v79, v81, s[0:3], 0 offen offset:4
	ds_read_b64 v[82:83], v80
	s_waitcnt vmcnt(0) lgkmcnt(0)
	v_mul_f64 v[78:79], v[78:79], v[82:83]
	s_cbranch_execz .LBB101_8
	s_branch .LBB101_9
.LBB101_7:
                                        ; implicit-def: $vgpr78_vgpr79
.LBB101_8:
	ds_read_b64 v[78:79], v80
.LBB101_9:
	v_mov_b32_e32 v82, 0
	ds_read_b64 v[82:83], v82 offset:288
	s_waitcnt lgkmcnt(0)
	v_mul_f64 v[78:79], v[78:79], v[82:83]
	buffer_store_dword v79, off, s[0:3], 0 offset:292
	buffer_store_dword v78, off, s[0:3], 0 offset:288
.LBB101_10:
	s_or_b64 exec, exec, s[6:7]
	buffer_load_dword v78, off, s[0:3], 0 offset:280
	buffer_load_dword v79, off, s[0:3], 0 offset:284
	v_or_b32_e32 v82, 8, v116
	v_add_u32_e32 v83, 16, v116
	v_add_u32_e32 v84, 24, v116
	;; [unrolled: 1-line block ×34, first 2 shown]
	v_cmp_lt_u32_e64 s[6:7], 35, v0
	s_waitcnt vmcnt(0)
	ds_write_b64 v80, v[78:79]
	s_waitcnt lgkmcnt(0)
	; wave barrier
	s_waitcnt lgkmcnt(0)
	s_and_saveexec_b64 s[10:11], s[6:7]
	s_cbranch_execz .LBB101_16
; %bb.11:
	s_andn2_b64 vcc, exec, s[8:9]
	s_cbranch_vccnz .LBB101_13
; %bb.12:
	buffer_load_dword v78, v81, s[0:3], 0 offen
	buffer_load_dword v79, v81, s[0:3], 0 offen offset:4
	ds_read_b64 v[118:119], v80
	s_waitcnt vmcnt(0) lgkmcnt(0)
	v_mul_f64 v[78:79], v[78:79], v[118:119]
	s_cbranch_execz .LBB101_14
	s_branch .LBB101_15
.LBB101_13:
                                        ; implicit-def: $vgpr78_vgpr79
.LBB101_14:
	ds_read_b64 v[78:79], v80
.LBB101_15:
	buffer_load_dword v122, off, s[0:3], 0 offset:288
	buffer_load_dword v123, off, s[0:3], 0 offset:292
	v_mov_b32_e32 v117, 0
	ds_read2_b64 v[118:121], v117 offset0:35 offset1:74
	s_waitcnt vmcnt(0) lgkmcnt(0)
	v_fma_f64 v[120:121], v[122:123], v[120:121], v[78:79]
	v_cndmask_b32_e64 v79, v79, v121, s[4:5]
	v_cndmask_b32_e64 v78, v78, v120, s[4:5]
	v_mul_f64 v[78:79], v[78:79], v[118:119]
	buffer_store_dword v79, off, s[0:3], 0 offset:284
	buffer_store_dword v78, off, s[0:3], 0 offset:280
.LBB101_16:
	s_or_b64 exec, exec, s[10:11]
	buffer_load_dword v78, off, s[0:3], 0 offset:272
	buffer_load_dword v79, off, s[0:3], 0 offset:276
	v_cmp_lt_u32_e64 s[4:5], 34, v0
	s_waitcnt vmcnt(0)
	ds_write_b64 v80, v[78:79]
	s_waitcnt lgkmcnt(0)
	; wave barrier
	s_waitcnt lgkmcnt(0)
	s_and_saveexec_b64 s[10:11], s[4:5]
	s_cbranch_execz .LBB101_26
; %bb.17:
	s_andn2_b64 vcc, exec, s[8:9]
	s_cbranch_vccnz .LBB101_19
; %bb.18:
	buffer_load_dword v78, v81, s[0:3], 0 offen
	buffer_load_dword v79, v81, s[0:3], 0 offen offset:4
	ds_read_b64 v[118:119], v80
	s_waitcnt vmcnt(0) lgkmcnt(0)
	v_mul_f64 v[78:79], v[78:79], v[118:119]
	s_cbranch_execz .LBB101_20
	s_branch .LBB101_21
.LBB101_19:
                                        ; implicit-def: $vgpr78_vgpr79
.LBB101_20:
	ds_read_b64 v[78:79], v80
.LBB101_21:
	s_and_saveexec_b64 s[12:13], s[6:7]
	s_cbranch_execz .LBB101_25
; %bb.22:
	v_subrev_u32_e32 v117, 35, v0
	s_movk_i32 s14, 0x248
	s_mov_b64 s[6:7], 0
.LBB101_23:                             ; =>This Inner Loop Header: Depth=1
	buffer_load_dword v118, v116, s[0:3], 0 offen
	buffer_load_dword v119, v116, s[0:3], 0 offen offset:4
	v_mov_b32_e32 v120, s14
	ds_read_b64 v[120:121], v120
	v_add_u32_e32 v117, -1, v117
	s_add_i32 s14, s14, 8
	v_cmp_eq_u32_e32 vcc, 0, v117
	v_add_u32_e32 v116, 8, v116
	s_or_b64 s[6:7], vcc, s[6:7]
	s_waitcnt vmcnt(0) lgkmcnt(0)
	v_fmac_f64_e32 v[78:79], v[118:119], v[120:121]
	s_andn2_b64 exec, exec, s[6:7]
	s_cbranch_execnz .LBB101_23
; %bb.24:
	s_or_b64 exec, exec, s[6:7]
.LBB101_25:
	s_or_b64 exec, exec, s[12:13]
	v_mov_b32_e32 v116, 0
	ds_read_b64 v[116:117], v116 offset:272
	s_waitcnt lgkmcnt(0)
	v_mul_f64 v[78:79], v[78:79], v[116:117]
	buffer_store_dword v79, off, s[0:3], 0 offset:276
	buffer_store_dword v78, off, s[0:3], 0 offset:272
.LBB101_26:
	s_or_b64 exec, exec, s[10:11]
	buffer_load_dword v78, off, s[0:3], 0 offset:264
	buffer_load_dword v79, off, s[0:3], 0 offset:268
	v_cmp_lt_u32_e64 s[6:7], 33, v0
	s_waitcnt vmcnt(0)
	ds_write_b64 v80, v[78:79]
	s_waitcnt lgkmcnt(0)
	; wave barrier
	s_waitcnt lgkmcnt(0)
	s_and_saveexec_b64 s[10:11], s[6:7]
	s_cbranch_execz .LBB101_36
; %bb.27:
	s_andn2_b64 vcc, exec, s[8:9]
	s_cbranch_vccnz .LBB101_29
; %bb.28:
	buffer_load_dword v78, v81, s[0:3], 0 offen
	buffer_load_dword v79, v81, s[0:3], 0 offen offset:4
	ds_read_b64 v[116:117], v80
	s_waitcnt vmcnt(0) lgkmcnt(0)
	v_mul_f64 v[78:79], v[78:79], v[116:117]
	s_cbranch_execz .LBB101_30
	s_branch .LBB101_31
.LBB101_29:
                                        ; implicit-def: $vgpr78_vgpr79
.LBB101_30:
	ds_read_b64 v[78:79], v80
.LBB101_31:
	s_and_saveexec_b64 s[12:13], s[4:5]
	s_cbranch_execz .LBB101_35
; %bb.32:
	v_subrev_u32_e32 v116, 34, v0
	s_movk_i32 s14, 0x240
	s_mov_b64 s[4:5], 0
.LBB101_33:                             ; =>This Inner Loop Header: Depth=1
	buffer_load_dword v118, v115, s[0:3], 0 offen
	buffer_load_dword v119, v115, s[0:3], 0 offen offset:4
	v_mov_b32_e32 v117, s14
	ds_read_b64 v[120:121], v117
	v_add_u32_e32 v116, -1, v116
	s_add_i32 s14, s14, 8
	v_cmp_eq_u32_e32 vcc, 0, v116
	v_add_u32_e32 v115, 8, v115
	s_or_b64 s[4:5], vcc, s[4:5]
	s_waitcnt vmcnt(0) lgkmcnt(0)
	v_fmac_f64_e32 v[78:79], v[118:119], v[120:121]
	s_andn2_b64 exec, exec, s[4:5]
	s_cbranch_execnz .LBB101_33
; %bb.34:
	s_or_b64 exec, exec, s[4:5]
.LBB101_35:
	s_or_b64 exec, exec, s[12:13]
	v_mov_b32_e32 v115, 0
	ds_read_b64 v[116:117], v115 offset:264
	s_waitcnt lgkmcnt(0)
	v_mul_f64 v[78:79], v[78:79], v[116:117]
	buffer_store_dword v79, off, s[0:3], 0 offset:268
	buffer_store_dword v78, off, s[0:3], 0 offset:264
.LBB101_36:
	;; [unrolled: 58-line block ×8, first 2 shown]
	s_or_b64 exec, exec, s[10:11]
	buffer_load_dword v78, off, s[0:3], 0 offset:208
	buffer_load_dword v79, off, s[0:3], 0 offset:212
	v_cmp_lt_u32_e64 s[4:5], 26, v0
	s_waitcnt vmcnt(0)
	ds_write_b64 v80, v[78:79]
	s_waitcnt lgkmcnt(0)
	; wave barrier
	s_waitcnt lgkmcnt(0)
	s_and_saveexec_b64 s[10:11], s[4:5]
	s_cbranch_execz .LBB101_106
; %bb.97:
	s_andn2_b64 vcc, exec, s[8:9]
	s_cbranch_vccnz .LBB101_99
; %bb.98:
	buffer_load_dword v78, v81, s[0:3], 0 offen
	buffer_load_dword v79, v81, s[0:3], 0 offen offset:4
	ds_read_b64 v[110:111], v80
	s_waitcnt vmcnt(0) lgkmcnt(0)
	v_mul_f64 v[78:79], v[78:79], v[110:111]
	s_cbranch_execz .LBB101_100
	s_branch .LBB101_101
.LBB101_99:
                                        ; implicit-def: $vgpr78_vgpr79
.LBB101_100:
	ds_read_b64 v[78:79], v80
.LBB101_101:
	s_and_saveexec_b64 s[12:13], s[6:7]
	s_cbranch_execz .LBB101_105
; %bb.102:
	v_subrev_u32_e32 v109, 27, v0
	s_movk_i32 s14, 0x208
	s_mov_b64 s[6:7], 0
.LBB101_103:                            ; =>This Inner Loop Header: Depth=1
	buffer_load_dword v110, v108, s[0:3], 0 offen
	buffer_load_dword v111, v108, s[0:3], 0 offen offset:4
	v_mov_b32_e32 v112, s14
	ds_read_b64 v[112:113], v112
	v_add_u32_e32 v109, -1, v109
	s_add_i32 s14, s14, 8
	v_cmp_eq_u32_e32 vcc, 0, v109
	v_add_u32_e32 v108, 8, v108
	s_or_b64 s[6:7], vcc, s[6:7]
	s_waitcnt vmcnt(0) lgkmcnt(0)
	v_fmac_f64_e32 v[78:79], v[110:111], v[112:113]
	s_andn2_b64 exec, exec, s[6:7]
	s_cbranch_execnz .LBB101_103
; %bb.104:
	s_or_b64 exec, exec, s[6:7]
.LBB101_105:
	s_or_b64 exec, exec, s[12:13]
	v_mov_b32_e32 v108, 0
	ds_read_b64 v[108:109], v108 offset:208
	s_waitcnt lgkmcnt(0)
	v_mul_f64 v[78:79], v[78:79], v[108:109]
	buffer_store_dword v79, off, s[0:3], 0 offset:212
	buffer_store_dword v78, off, s[0:3], 0 offset:208
.LBB101_106:
	s_or_b64 exec, exec, s[10:11]
	buffer_load_dword v78, off, s[0:3], 0 offset:200
	buffer_load_dword v79, off, s[0:3], 0 offset:204
	v_cmp_lt_u32_e64 s[6:7], 25, v0
	s_waitcnt vmcnt(0)
	ds_write_b64 v80, v[78:79]
	s_waitcnt lgkmcnt(0)
	; wave barrier
	s_waitcnt lgkmcnt(0)
	s_and_saveexec_b64 s[10:11], s[6:7]
	s_cbranch_execz .LBB101_116
; %bb.107:
	s_andn2_b64 vcc, exec, s[8:9]
	s_cbranch_vccnz .LBB101_109
; %bb.108:
	buffer_load_dword v78, v81, s[0:3], 0 offen
	buffer_load_dword v79, v81, s[0:3], 0 offen offset:4
	ds_read_b64 v[108:109], v80
	s_waitcnt vmcnt(0) lgkmcnt(0)
	v_mul_f64 v[78:79], v[78:79], v[108:109]
	s_cbranch_execz .LBB101_110
	s_branch .LBB101_111
.LBB101_109:
                                        ; implicit-def: $vgpr78_vgpr79
.LBB101_110:
	ds_read_b64 v[78:79], v80
.LBB101_111:
	s_and_saveexec_b64 s[12:13], s[4:5]
	s_cbranch_execz .LBB101_115
; %bb.112:
	v_subrev_u32_e32 v108, 26, v0
	s_movk_i32 s14, 0x200
	s_mov_b64 s[4:5], 0
.LBB101_113:                            ; =>This Inner Loop Header: Depth=1
	buffer_load_dword v110, v107, s[0:3], 0 offen
	buffer_load_dword v111, v107, s[0:3], 0 offen offset:4
	v_mov_b32_e32 v109, s14
	ds_read_b64 v[112:113], v109
	v_add_u32_e32 v108, -1, v108
	s_add_i32 s14, s14, 8
	v_cmp_eq_u32_e32 vcc, 0, v108
	v_add_u32_e32 v107, 8, v107
	s_or_b64 s[4:5], vcc, s[4:5]
	s_waitcnt vmcnt(0) lgkmcnt(0)
	v_fmac_f64_e32 v[78:79], v[110:111], v[112:113]
	s_andn2_b64 exec, exec, s[4:5]
	s_cbranch_execnz .LBB101_113
; %bb.114:
	s_or_b64 exec, exec, s[4:5]
.LBB101_115:
	s_or_b64 exec, exec, s[12:13]
	v_mov_b32_e32 v107, 0
	ds_read_b64 v[108:109], v107 offset:200
	s_waitcnt lgkmcnt(0)
	v_mul_f64 v[78:79], v[78:79], v[108:109]
	buffer_store_dword v79, off, s[0:3], 0 offset:204
	buffer_store_dword v78, off, s[0:3], 0 offset:200
.LBB101_116:
	;; [unrolled: 58-line block ×11, first 2 shown]
	s_or_b64 exec, exec, s[10:11]
	buffer_load_dword v78, off, s[0:3], 0 offset:120
	buffer_load_dword v79, off, s[0:3], 0 offset:124
	v_cmp_lt_u32_e64 s[6:7], 15, v0
	s_waitcnt vmcnt(0)
	ds_write_b64 v80, v[78:79]
	s_waitcnt lgkmcnt(0)
	; wave barrier
	s_waitcnt lgkmcnt(0)
	s_and_saveexec_b64 s[10:11], s[6:7]
	s_cbranch_execz .LBB101_216
; %bb.207:
	s_andn2_b64 vcc, exec, s[8:9]
	s_cbranch_vccnz .LBB101_209
; %bb.208:
	buffer_load_dword v78, v81, s[0:3], 0 offen
	buffer_load_dword v79, v81, s[0:3], 0 offen offset:4
	ds_read_b64 v[98:99], v80
	s_waitcnt vmcnt(0) lgkmcnt(0)
	v_mul_f64 v[78:79], v[78:79], v[98:99]
	s_cbranch_execz .LBB101_210
	s_branch .LBB101_211
.LBB101_209:
                                        ; implicit-def: $vgpr78_vgpr79
.LBB101_210:
	ds_read_b64 v[78:79], v80
.LBB101_211:
	s_and_saveexec_b64 s[12:13], s[4:5]
	s_cbranch_execz .LBB101_215
; %bb.212:
	v_add_u32_e32 v98, -16, v0
	s_movk_i32 s14, 0x1b0
	s_mov_b64 s[4:5], 0
.LBB101_213:                            ; =>This Inner Loop Header: Depth=1
	buffer_load_dword v100, v97, s[0:3], 0 offen
	buffer_load_dword v101, v97, s[0:3], 0 offen offset:4
	v_mov_b32_e32 v99, s14
	ds_read_b64 v[102:103], v99
	v_add_u32_e32 v98, -1, v98
	s_add_i32 s14, s14, 8
	v_cmp_eq_u32_e32 vcc, 0, v98
	v_add_u32_e32 v97, 8, v97
	s_or_b64 s[4:5], vcc, s[4:5]
	s_waitcnt vmcnt(0) lgkmcnt(0)
	v_fmac_f64_e32 v[78:79], v[100:101], v[102:103]
	s_andn2_b64 exec, exec, s[4:5]
	s_cbranch_execnz .LBB101_213
; %bb.214:
	s_or_b64 exec, exec, s[4:5]
.LBB101_215:
	s_or_b64 exec, exec, s[12:13]
	v_mov_b32_e32 v97, 0
	ds_read_b64 v[98:99], v97 offset:120
	s_waitcnt lgkmcnt(0)
	v_mul_f64 v[78:79], v[78:79], v[98:99]
	buffer_store_dword v79, off, s[0:3], 0 offset:124
	buffer_store_dword v78, off, s[0:3], 0 offset:120
.LBB101_216:
	s_or_b64 exec, exec, s[10:11]
	buffer_load_dword v78, off, s[0:3], 0 offset:112
	buffer_load_dword v79, off, s[0:3], 0 offset:116
	v_cmp_lt_u32_e64 s[4:5], 14, v0
	s_waitcnt vmcnt(0)
	ds_write_b64 v80, v[78:79]
	s_waitcnt lgkmcnt(0)
	; wave barrier
	s_waitcnt lgkmcnt(0)
	s_and_saveexec_b64 s[10:11], s[4:5]
	s_cbranch_execz .LBB101_226
; %bb.217:
	s_andn2_b64 vcc, exec, s[8:9]
	s_cbranch_vccnz .LBB101_219
; %bb.218:
	buffer_load_dword v78, v81, s[0:3], 0 offen
	buffer_load_dword v79, v81, s[0:3], 0 offen offset:4
	ds_read_b64 v[98:99], v80
	s_waitcnt vmcnt(0) lgkmcnt(0)
	v_mul_f64 v[78:79], v[78:79], v[98:99]
	s_cbranch_execz .LBB101_220
	s_branch .LBB101_221
.LBB101_219:
                                        ; implicit-def: $vgpr78_vgpr79
.LBB101_220:
	ds_read_b64 v[78:79], v80
.LBB101_221:
	s_and_saveexec_b64 s[12:13], s[6:7]
	s_cbranch_execz .LBB101_225
; %bb.222:
	v_add_u32_e32 v97, -15, v0
	s_movk_i32 s14, 0x1a8
	s_mov_b64 s[6:7], 0
.LBB101_223:                            ; =>This Inner Loop Header: Depth=1
	buffer_load_dword v98, v96, s[0:3], 0 offen
	buffer_load_dword v99, v96, s[0:3], 0 offen offset:4
	v_mov_b32_e32 v100, s14
	ds_read_b64 v[100:101], v100
	v_add_u32_e32 v97, -1, v97
	s_add_i32 s14, s14, 8
	v_cmp_eq_u32_e32 vcc, 0, v97
	v_add_u32_e32 v96, 8, v96
	s_or_b64 s[6:7], vcc, s[6:7]
	s_waitcnt vmcnt(0) lgkmcnt(0)
	v_fmac_f64_e32 v[78:79], v[98:99], v[100:101]
	s_andn2_b64 exec, exec, s[6:7]
	s_cbranch_execnz .LBB101_223
; %bb.224:
	s_or_b64 exec, exec, s[6:7]
.LBB101_225:
	s_or_b64 exec, exec, s[12:13]
	v_mov_b32_e32 v96, 0
	ds_read_b64 v[96:97], v96 offset:112
	s_waitcnt lgkmcnt(0)
	v_mul_f64 v[78:79], v[78:79], v[96:97]
	buffer_store_dword v79, off, s[0:3], 0 offset:116
	buffer_store_dword v78, off, s[0:3], 0 offset:112
.LBB101_226:
	;; [unrolled: 58-line block ×15, first 2 shown]
	s_or_b64 exec, exec, s[10:11]
	buffer_load_dword v78, off, s[0:3], 0
	buffer_load_dword v79, off, s[0:3], 0 offset:4
	v_cmp_ne_u32_e32 vcc, 0, v0
	s_waitcnt vmcnt(0)
	ds_write_b64 v80, v[78:79]
	s_waitcnt lgkmcnt(0)
	; wave barrier
	s_waitcnt lgkmcnt(0)
	s_and_saveexec_b64 s[4:5], vcc
	s_cbranch_execz .LBB101_366
; %bb.357:
	s_andn2_b64 vcc, exec, s[8:9]
	s_cbranch_vccnz .LBB101_359
; %bb.358:
	buffer_load_dword v78, v81, s[0:3], 0 offen
	buffer_load_dword v79, v81, s[0:3], 0 offen offset:4
	ds_read_b64 v[84:85], v80
	s_waitcnt vmcnt(0) lgkmcnt(0)
	v_mul_f64 v[78:79], v[78:79], v[84:85]
	s_cbranch_execz .LBB101_360
	s_branch .LBB101_361
.LBB101_359:
                                        ; implicit-def: $vgpr78_vgpr79
.LBB101_360:
	ds_read_b64 v[78:79], v80
.LBB101_361:
	s_and_saveexec_b64 s[10:11], s[6:7]
	s_cbranch_execz .LBB101_365
; %bb.362:
	v_add_u32_e32 v83, -1, v0
	s_movk_i32 s12, 0x138
	s_mov_b64 s[6:7], 0
.LBB101_363:                            ; =>This Inner Loop Header: Depth=1
	buffer_load_dword v84, v82, s[0:3], 0 offen
	buffer_load_dword v85, v82, s[0:3], 0 offen offset:4
	v_mov_b32_e32 v86, s12
	ds_read_b64 v[86:87], v86
	v_add_u32_e32 v83, -1, v83
	s_add_i32 s12, s12, 8
	v_cmp_eq_u32_e32 vcc, 0, v83
	v_add_u32_e32 v82, 8, v82
	s_or_b64 s[6:7], vcc, s[6:7]
	s_waitcnt vmcnt(0) lgkmcnt(0)
	v_fmac_f64_e32 v[78:79], v[84:85], v[86:87]
	s_andn2_b64 exec, exec, s[6:7]
	s_cbranch_execnz .LBB101_363
; %bb.364:
	s_or_b64 exec, exec, s[6:7]
.LBB101_365:
	s_or_b64 exec, exec, s[10:11]
	v_mov_b32_e32 v82, 0
	ds_read_b64 v[82:83], v82
	s_waitcnt lgkmcnt(0)
	v_mul_f64 v[78:79], v[78:79], v[82:83]
	buffer_store_dword v79, off, s[0:3], 0 offset:4
	buffer_store_dword v78, off, s[0:3], 0
.LBB101_366:
	s_or_b64 exec, exec, s[4:5]
	s_mov_b64 s[4:5], 0
.LBB101_367:
	s_and_b64 vcc, exec, s[4:5]
	s_cbranch_vccz .LBB101_731
; %bb.368:
	buffer_load_dword v78, off, s[0:3], 0 offset:8
	buffer_load_dword v79, off, s[0:3], 0 offset:12
	v_cmp_eq_u32_e64 s[6:7], 0, v0
	s_waitcnt vmcnt(0)
	ds_write_b64 v80, v[78:79]
	s_waitcnt lgkmcnt(0)
	; wave barrier
	s_waitcnt lgkmcnt(0)
	s_and_saveexec_b64 s[4:5], s[6:7]
	s_cbranch_execz .LBB101_374
; %bb.369:
	s_and_b64 vcc, exec, s[8:9]
	s_cbranch_vccz .LBB101_371
; %bb.370:
	buffer_load_dword v78, v81, s[0:3], 0 offen
	buffer_load_dword v79, v81, s[0:3], 0 offen offset:4
	ds_read_b64 v[82:83], v80
	s_waitcnt vmcnt(0) lgkmcnt(0)
	v_mul_f64 v[78:79], v[78:79], v[82:83]
	s_cbranch_execz .LBB101_372
	s_branch .LBB101_373
.LBB101_371:
                                        ; implicit-def: $vgpr78_vgpr79
.LBB101_372:
	ds_read_b64 v[78:79], v80
.LBB101_373:
	v_mov_b32_e32 v82, 0
	ds_read_b64 v[82:83], v82 offset:8
	s_waitcnt lgkmcnt(0)
	v_mul_f64 v[78:79], v[78:79], v[82:83]
	buffer_store_dword v79, off, s[0:3], 0 offset:12
	buffer_store_dword v78, off, s[0:3], 0 offset:8
.LBB101_374:
	s_or_b64 exec, exec, s[4:5]
	buffer_load_dword v78, off, s[0:3], 0 offset:16
	buffer_load_dword v79, off, s[0:3], 0 offset:20
	v_cndmask_b32_e64 v82, 0, 1, s[8:9]
	v_cmp_gt_u32_e32 vcc, 2, v0
	v_cmp_ne_u32_e64 s[4:5], 1, v82
	s_waitcnt vmcnt(0)
	ds_write_b64 v80, v[78:79]
	s_waitcnt lgkmcnt(0)
	; wave barrier
	s_waitcnt lgkmcnt(0)
	s_and_saveexec_b64 s[8:9], vcc
	s_cbranch_execz .LBB101_382
; %bb.375:
	s_and_b64 vcc, exec, s[4:5]
	s_cbranch_vccnz .LBB101_377
; %bb.376:
	buffer_load_dword v78, v81, s[0:3], 0 offen
	buffer_load_dword v79, v81, s[0:3], 0 offen offset:4
	ds_read_b64 v[82:83], v80
	s_waitcnt vmcnt(0) lgkmcnt(0)
	v_mul_f64 v[78:79], v[78:79], v[82:83]
	s_cbranch_execz .LBB101_378
	s_branch .LBB101_379
.LBB101_377:
                                        ; implicit-def: $vgpr78_vgpr79
.LBB101_378:
	ds_read_b64 v[78:79], v80
.LBB101_379:
	s_and_saveexec_b64 s[10:11], s[6:7]
	s_cbranch_execz .LBB101_381
; %bb.380:
	buffer_load_dword v82, v81, s[0:3], 0 offen offset:8
	buffer_load_dword v83, v81, s[0:3], 0 offen offset:12
	ds_read_b64 v[84:85], v80 offset:8
	s_waitcnt vmcnt(0) lgkmcnt(0)
	v_fmac_f64_e32 v[78:79], v[82:83], v[84:85]
.LBB101_381:
	s_or_b64 exec, exec, s[10:11]
	v_mov_b32_e32 v82, 0
	ds_read_b64 v[82:83], v82 offset:16
	s_waitcnt lgkmcnt(0)
	v_mul_f64 v[78:79], v[78:79], v[82:83]
	buffer_store_dword v79, off, s[0:3], 0 offset:20
	buffer_store_dword v78, off, s[0:3], 0 offset:16
.LBB101_382:
	s_or_b64 exec, exec, s[8:9]
	buffer_load_dword v78, off, s[0:3], 0 offset:24
	buffer_load_dword v79, off, s[0:3], 0 offset:28
	v_cmp_gt_u32_e32 vcc, 3, v0
	s_waitcnt vmcnt(0)
	ds_write_b64 v80, v[78:79]
	s_waitcnt lgkmcnt(0)
	; wave barrier
	s_waitcnt lgkmcnt(0)
	s_and_saveexec_b64 s[8:9], vcc
	s_cbranch_execz .LBB101_390
; %bb.383:
	s_and_b64 vcc, exec, s[4:5]
	s_cbranch_vccnz .LBB101_385
; %bb.384:
	buffer_load_dword v78, v81, s[0:3], 0 offen
	buffer_load_dword v79, v81, s[0:3], 0 offen offset:4
	ds_read_b64 v[82:83], v80
	s_waitcnt vmcnt(0) lgkmcnt(0)
	v_mul_f64 v[78:79], v[78:79], v[82:83]
	s_cbranch_execz .LBB101_386
	s_branch .LBB101_387
.LBB101_385:
                                        ; implicit-def: $vgpr78_vgpr79
.LBB101_386:
	ds_read_b64 v[78:79], v80
.LBB101_387:
	v_cmp_ne_u32_e32 vcc, 2, v0
	s_and_saveexec_b64 s[10:11], vcc
	s_cbranch_execz .LBB101_389
; %bb.388:
	buffer_load_dword v83, v81, s[0:3], 0 offen offset:12
	buffer_load_dword v84, off, s[0:3], 0 offset:16
	buffer_load_dword v82, v81, s[0:3], 0 offen offset:8
	buffer_load_dword v85, off, s[0:3], 0 offset:20
	v_mov_b32_e32 v88, 0
	ds_read_b64 v[86:87], v80 offset:8
	ds_read_b64 v[88:89], v88 offset:320
	s_waitcnt vmcnt(1) lgkmcnt(1)
	v_fmac_f64_e32 v[78:79], v[82:83], v[86:87]
	s_waitcnt vmcnt(0) lgkmcnt(0)
	v_fma_f64 v[82:83], v[84:85], v[88:89], v[78:79]
	v_cndmask_b32_e64 v79, v79, v83, s[6:7]
	v_cndmask_b32_e64 v78, v78, v82, s[6:7]
.LBB101_389:
	s_or_b64 exec, exec, s[10:11]
	v_mov_b32_e32 v82, 0
	ds_read_b64 v[82:83], v82 offset:24
	s_waitcnt lgkmcnt(0)
	v_mul_f64 v[78:79], v[78:79], v[82:83]
	buffer_store_dword v79, off, s[0:3], 0 offset:28
	buffer_store_dword v78, off, s[0:3], 0 offset:24
.LBB101_390:
	s_or_b64 exec, exec, s[8:9]
	buffer_load_dword v78, off, s[0:3], 0 offset:32
	buffer_load_dword v79, off, s[0:3], 0 offset:36
	v_cmp_gt_u32_e32 vcc, 4, v0
	s_waitcnt vmcnt(0)
	ds_write_b64 v80, v[78:79]
	s_waitcnt lgkmcnt(0)
	; wave barrier
	s_waitcnt lgkmcnt(0)
	s_and_saveexec_b64 s[6:7], vcc
	s_cbranch_execz .LBB101_400
; %bb.391:
	s_and_b64 vcc, exec, s[4:5]
	s_cbranch_vccnz .LBB101_393
; %bb.392:
	buffer_load_dword v78, v81, s[0:3], 0 offen
	buffer_load_dword v79, v81, s[0:3], 0 offen offset:4
	ds_read_b64 v[82:83], v80
	s_waitcnt vmcnt(0) lgkmcnt(0)
	v_mul_f64 v[78:79], v[78:79], v[82:83]
	s_cbranch_execz .LBB101_394
	s_branch .LBB101_395
.LBB101_393:
                                        ; implicit-def: $vgpr78_vgpr79
.LBB101_394:
	ds_read_b64 v[78:79], v80
.LBB101_395:
	v_cmp_ne_u32_e32 vcc, 3, v0
	s_and_saveexec_b64 s[8:9], vcc
	s_cbranch_execz .LBB101_399
; %bb.396:
	v_mov_b32_e32 v83, 0
	v_add_u32_e32 v82, 0x138, v1
	v_add3_u32 v83, v1, v83, 8
	s_mov_b64 s[10:11], 0
	v_mov_b32_e32 v84, v0
.LBB101_397:                            ; =>This Inner Loop Header: Depth=1
	buffer_load_dword v86, v83, s[0:3], 0 offen
	buffer_load_dword v87, v83, s[0:3], 0 offen offset:4
	ds_read_b64 v[88:89], v82
	v_add_u32_e32 v84, 1, v84
	v_cmp_lt_u32_e32 vcc, 2, v84
	v_add_u32_e32 v82, 8, v82
	v_add_u32_e32 v83, 8, v83
	s_or_b64 s[10:11], vcc, s[10:11]
	s_waitcnt vmcnt(0) lgkmcnt(0)
	v_fmac_f64_e32 v[78:79], v[86:87], v[88:89]
	s_andn2_b64 exec, exec, s[10:11]
	s_cbranch_execnz .LBB101_397
; %bb.398:
	s_or_b64 exec, exec, s[10:11]
.LBB101_399:
	s_or_b64 exec, exec, s[8:9]
	v_mov_b32_e32 v82, 0
	ds_read_b64 v[82:83], v82 offset:32
	s_waitcnt lgkmcnt(0)
	v_mul_f64 v[78:79], v[78:79], v[82:83]
	buffer_store_dword v79, off, s[0:3], 0 offset:36
	buffer_store_dword v78, off, s[0:3], 0 offset:32
.LBB101_400:
	s_or_b64 exec, exec, s[6:7]
	buffer_load_dword v78, off, s[0:3], 0 offset:40
	buffer_load_dword v79, off, s[0:3], 0 offset:44
	v_cmp_gt_u32_e32 vcc, 5, v0
	s_waitcnt vmcnt(0)
	ds_write_b64 v80, v[78:79]
	s_waitcnt lgkmcnt(0)
	; wave barrier
	s_waitcnt lgkmcnt(0)
	s_and_saveexec_b64 s[6:7], vcc
	s_cbranch_execz .LBB101_410
; %bb.401:
	s_and_b64 vcc, exec, s[4:5]
	s_cbranch_vccnz .LBB101_403
; %bb.402:
	buffer_load_dword v78, v81, s[0:3], 0 offen
	buffer_load_dword v79, v81, s[0:3], 0 offen offset:4
	ds_read_b64 v[82:83], v80
	s_waitcnt vmcnt(0) lgkmcnt(0)
	v_mul_f64 v[78:79], v[78:79], v[82:83]
	s_cbranch_execz .LBB101_404
	s_branch .LBB101_405
.LBB101_403:
                                        ; implicit-def: $vgpr78_vgpr79
.LBB101_404:
	ds_read_b64 v[78:79], v80
.LBB101_405:
	v_cmp_ne_u32_e32 vcc, 4, v0
	s_and_saveexec_b64 s[8:9], vcc
	s_cbranch_execz .LBB101_409
; %bb.406:
	v_mov_b32_e32 v83, 0
	v_add_u32_e32 v82, 0x138, v1
	v_add3_u32 v83, v1, v83, 8
	s_mov_b64 s[10:11], 0
	v_mov_b32_e32 v84, v0
.LBB101_407:                            ; =>This Inner Loop Header: Depth=1
	buffer_load_dword v86, v83, s[0:3], 0 offen
	buffer_load_dword v87, v83, s[0:3], 0 offen offset:4
	ds_read_b64 v[88:89], v82
	v_add_u32_e32 v84, 1, v84
	v_cmp_lt_u32_e32 vcc, 3, v84
	v_add_u32_e32 v82, 8, v82
	v_add_u32_e32 v83, 8, v83
	s_or_b64 s[10:11], vcc, s[10:11]
	s_waitcnt vmcnt(0) lgkmcnt(0)
	v_fmac_f64_e32 v[78:79], v[86:87], v[88:89]
	s_andn2_b64 exec, exec, s[10:11]
	s_cbranch_execnz .LBB101_407
; %bb.408:
	s_or_b64 exec, exec, s[10:11]
.LBB101_409:
	s_or_b64 exec, exec, s[8:9]
	v_mov_b32_e32 v82, 0
	ds_read_b64 v[82:83], v82 offset:40
	s_waitcnt lgkmcnt(0)
	v_mul_f64 v[78:79], v[78:79], v[82:83]
	buffer_store_dword v79, off, s[0:3], 0 offset:44
	buffer_store_dword v78, off, s[0:3], 0 offset:40
.LBB101_410:
	;; [unrolled: 60-line block ×32, first 2 shown]
	s_or_b64 exec, exec, s[6:7]
	buffer_load_dword v78, off, s[0:3], 0 offset:288
	buffer_load_dword v79, off, s[0:3], 0 offset:292
	v_cmp_gt_u32_e64 s[6:7], 36, v0
	s_waitcnt vmcnt(0)
	ds_write_b64 v80, v[78:79]
	s_waitcnt lgkmcnt(0)
	; wave barrier
	s_waitcnt lgkmcnt(0)
	s_and_saveexec_b64 s[8:9], s[6:7]
	s_cbranch_execz .LBB101_720
; %bb.711:
	s_and_b64 vcc, exec, s[4:5]
	s_cbranch_vccnz .LBB101_713
; %bb.712:
	buffer_load_dword v78, v81, s[0:3], 0 offen
	buffer_load_dword v79, v81, s[0:3], 0 offen offset:4
	ds_read_b64 v[82:83], v80
	s_waitcnt vmcnt(0) lgkmcnt(0)
	v_mul_f64 v[78:79], v[78:79], v[82:83]
	s_cbranch_execz .LBB101_714
	s_branch .LBB101_715
.LBB101_713:
                                        ; implicit-def: $vgpr78_vgpr79
.LBB101_714:
	ds_read_b64 v[78:79], v80
.LBB101_715:
	v_cmp_ne_u32_e32 vcc, 35, v0
	s_and_saveexec_b64 s[10:11], vcc
	s_cbranch_execz .LBB101_719
; %bb.716:
	v_mov_b32_e32 v83, 0
	v_add_u32_e32 v82, 0x138, v1
	v_add3_u32 v83, v1, v83, 8
	s_mov_b64 s[12:13], 0
	v_mov_b32_e32 v84, v0
.LBB101_717:                            ; =>This Inner Loop Header: Depth=1
	buffer_load_dword v86, v83, s[0:3], 0 offen
	buffer_load_dword v87, v83, s[0:3], 0 offen offset:4
	ds_read_b64 v[88:89], v82
	v_add_u32_e32 v84, 1, v84
	v_cmp_lt_u32_e32 vcc, 34, v84
	v_add_u32_e32 v82, 8, v82
	v_add_u32_e32 v83, 8, v83
	s_or_b64 s[12:13], vcc, s[12:13]
	s_waitcnt vmcnt(0) lgkmcnt(0)
	v_fmac_f64_e32 v[78:79], v[86:87], v[88:89]
	s_andn2_b64 exec, exec, s[12:13]
	s_cbranch_execnz .LBB101_717
; %bb.718:
	s_or_b64 exec, exec, s[12:13]
.LBB101_719:
	s_or_b64 exec, exec, s[10:11]
	v_mov_b32_e32 v82, 0
	ds_read_b64 v[82:83], v82 offset:288
	s_waitcnt lgkmcnt(0)
	v_mul_f64 v[78:79], v[78:79], v[82:83]
	buffer_store_dword v79, off, s[0:3], 0 offset:292
	buffer_store_dword v78, off, s[0:3], 0 offset:288
.LBB101_720:
	s_or_b64 exec, exec, s[8:9]
	buffer_load_dword v78, off, s[0:3], 0 offset:296
	buffer_load_dword v79, off, s[0:3], 0 offset:300
	v_cmp_ne_u32_e32 vcc, 37, v0
	s_waitcnt vmcnt(0)
	ds_write_b64 v80, v[78:79]
	s_waitcnt lgkmcnt(0)
	; wave barrier
	s_waitcnt lgkmcnt(0)
	s_and_saveexec_b64 s[8:9], vcc
	s_cbranch_execz .LBB101_730
; %bb.721:
	s_and_b64 vcc, exec, s[4:5]
	s_cbranch_vccnz .LBB101_723
; %bb.722:
	buffer_load_dword v78, v81, s[0:3], 0 offen
	buffer_load_dword v79, v81, s[0:3], 0 offen offset:4
	ds_read_b64 v[82:83], v80
	s_waitcnt vmcnt(0) lgkmcnt(0)
	v_mul_f64 v[78:79], v[78:79], v[82:83]
	s_cbranch_execz .LBB101_724
	s_branch .LBB101_725
.LBB101_723:
                                        ; implicit-def: $vgpr78_vgpr79
.LBB101_724:
	ds_read_b64 v[78:79], v80
.LBB101_725:
	s_and_saveexec_b64 s[4:5], s[6:7]
	s_cbranch_execz .LBB101_729
; %bb.726:
	v_mov_b32_e32 v81, 0
	v_add_u32_e32 v80, 0x138, v1
	v_add3_u32 v1, v1, v81, 8
	s_mov_b64 s[6:7], 0
.LBB101_727:                            ; =>This Inner Loop Header: Depth=1
	buffer_load_dword v82, v1, s[0:3], 0 offen
	buffer_load_dword v83, v1, s[0:3], 0 offen offset:4
	ds_read_b64 v[84:85], v80
	v_add_u32_e32 v0, 1, v0
	v_cmp_lt_u32_e32 vcc, 35, v0
	v_add_u32_e32 v80, 8, v80
	v_add_u32_e32 v1, 8, v1
	s_or_b64 s[6:7], vcc, s[6:7]
	s_waitcnt vmcnt(0) lgkmcnt(0)
	v_fmac_f64_e32 v[78:79], v[82:83], v[84:85]
	s_andn2_b64 exec, exec, s[6:7]
	s_cbranch_execnz .LBB101_727
; %bb.728:
	s_or_b64 exec, exec, s[6:7]
.LBB101_729:
	s_or_b64 exec, exec, s[4:5]
	v_mov_b32_e32 v0, 0
	ds_read_b64 v[0:1], v0 offset:296
	s_waitcnt lgkmcnt(0)
	v_mul_f64 v[0:1], v[78:79], v[0:1]
	buffer_store_dword v1, off, s[0:3], 0 offset:300
	buffer_store_dword v0, off, s[0:3], 0 offset:296
.LBB101_730:
	s_or_b64 exec, exec, s[8:9]
.LBB101_731:
	buffer_load_dword v0, off, s[0:3], 0
	buffer_load_dword v1, off, s[0:3], 0 offset:4
	buffer_load_dword v78, off, s[0:3], 0 offset:8
	;; [unrolled: 1-line block ×15, first 2 shown]
	s_waitcnt vmcnt(14)
	global_store_dwordx2 v[74:75], v[0:1], off
	s_waitcnt vmcnt(13)
	global_store_dwordx2 v[76:77], v[78:79], off
	;; [unrolled: 2-line block ×8, first 2 shown]
	buffer_load_dword v1, off, s[0:3], 0 offset:68
	buffer_load_dword v0, off, s[0:3], 0 offset:64
	s_waitcnt vmcnt(0)
	global_store_dwordx2 v[20:21], v[0:1], off
	buffer_load_dword v0, off, s[0:3], 0 offset:72
	s_nop 0
	buffer_load_dword v1, off, s[0:3], 0 offset:76
	s_waitcnt vmcnt(0)
	global_store_dwordx2 v[12:13], v[0:1], off
	buffer_load_dword v0, off, s[0:3], 0 offset:80
	s_nop 0
	;; [unrolled: 5-line block ×29, first 2 shown]
	buffer_load_dword v1, off, s[0:3], 0 offset:300
	s_waitcnt vmcnt(0)
	global_store_dwordx2 v[58:59], v[0:1], off
.LBB101_732:
	s_endpgm
	.section	.rodata,"a",@progbits
	.p2align	6, 0x0
	.amdhsa_kernel _ZN9rocsolver6v33100L18trti2_kernel_smallILi38EdPKPdEEv13rocblas_fill_17rocblas_diagonal_T1_iil
		.amdhsa_group_segment_fixed_size 608
		.amdhsa_private_segment_fixed_size 320
		.amdhsa_kernarg_size 32
		.amdhsa_user_sgpr_count 8
		.amdhsa_user_sgpr_private_segment_buffer 1
		.amdhsa_user_sgpr_dispatch_ptr 0
		.amdhsa_user_sgpr_queue_ptr 0
		.amdhsa_user_sgpr_kernarg_segment_ptr 1
		.amdhsa_user_sgpr_dispatch_id 0
		.amdhsa_user_sgpr_flat_scratch_init 1
		.amdhsa_user_sgpr_kernarg_preload_length 0
		.amdhsa_user_sgpr_kernarg_preload_offset 0
		.amdhsa_user_sgpr_private_segment_size 0
		.amdhsa_uses_dynamic_stack 0
		.amdhsa_system_sgpr_private_segment_wavefront_offset 1
		.amdhsa_system_sgpr_workgroup_id_x 1
		.amdhsa_system_sgpr_workgroup_id_y 0
		.amdhsa_system_sgpr_workgroup_id_z 0
		.amdhsa_system_sgpr_workgroup_info 0
		.amdhsa_system_vgpr_workitem_id 0
		.amdhsa_next_free_vgpr 124
		.amdhsa_next_free_sgpr 16
		.amdhsa_accum_offset 124
		.amdhsa_reserve_vcc 1
		.amdhsa_reserve_flat_scratch 0
		.amdhsa_float_round_mode_32 0
		.amdhsa_float_round_mode_16_64 0
		.amdhsa_float_denorm_mode_32 3
		.amdhsa_float_denorm_mode_16_64 3
		.amdhsa_dx10_clamp 1
		.amdhsa_ieee_mode 1
		.amdhsa_fp16_overflow 0
		.amdhsa_tg_split 0
		.amdhsa_exception_fp_ieee_invalid_op 0
		.amdhsa_exception_fp_denorm_src 0
		.amdhsa_exception_fp_ieee_div_zero 0
		.amdhsa_exception_fp_ieee_overflow 0
		.amdhsa_exception_fp_ieee_underflow 0
		.amdhsa_exception_fp_ieee_inexact 0
		.amdhsa_exception_int_div_zero 0
	.end_amdhsa_kernel
	.section	.text._ZN9rocsolver6v33100L18trti2_kernel_smallILi38EdPKPdEEv13rocblas_fill_17rocblas_diagonal_T1_iil,"axG",@progbits,_ZN9rocsolver6v33100L18trti2_kernel_smallILi38EdPKPdEEv13rocblas_fill_17rocblas_diagonal_T1_iil,comdat
.Lfunc_end101:
	.size	_ZN9rocsolver6v33100L18trti2_kernel_smallILi38EdPKPdEEv13rocblas_fill_17rocblas_diagonal_T1_iil, .Lfunc_end101-_ZN9rocsolver6v33100L18trti2_kernel_smallILi38EdPKPdEEv13rocblas_fill_17rocblas_diagonal_T1_iil
                                        ; -- End function
	.section	.AMDGPU.csdata,"",@progbits
; Kernel info:
; codeLenInByte = 22176
; NumSgprs: 20
; NumVgprs: 124
; NumAgprs: 0
; TotalNumVgprs: 124
; ScratchSize: 320
; MemoryBound: 0
; FloatMode: 240
; IeeeMode: 1
; LDSByteSize: 608 bytes/workgroup (compile time only)
; SGPRBlocks: 2
; VGPRBlocks: 15
; NumSGPRsForWavesPerEU: 20
; NumVGPRsForWavesPerEU: 124
; AccumOffset: 124
; Occupancy: 4
; WaveLimiterHint : 1
; COMPUTE_PGM_RSRC2:SCRATCH_EN: 1
; COMPUTE_PGM_RSRC2:USER_SGPR: 8
; COMPUTE_PGM_RSRC2:TRAP_HANDLER: 0
; COMPUTE_PGM_RSRC2:TGID_X_EN: 1
; COMPUTE_PGM_RSRC2:TGID_Y_EN: 0
; COMPUTE_PGM_RSRC2:TGID_Z_EN: 0
; COMPUTE_PGM_RSRC2:TIDIG_COMP_CNT: 0
; COMPUTE_PGM_RSRC3_GFX90A:ACCUM_OFFSET: 30
; COMPUTE_PGM_RSRC3_GFX90A:TG_SPLIT: 0
	.section	.text._ZN9rocsolver6v33100L18trti2_kernel_smallILi39EdPKPdEEv13rocblas_fill_17rocblas_diagonal_T1_iil,"axG",@progbits,_ZN9rocsolver6v33100L18trti2_kernel_smallILi39EdPKPdEEv13rocblas_fill_17rocblas_diagonal_T1_iil,comdat
	.globl	_ZN9rocsolver6v33100L18trti2_kernel_smallILi39EdPKPdEEv13rocblas_fill_17rocblas_diagonal_T1_iil ; -- Begin function _ZN9rocsolver6v33100L18trti2_kernel_smallILi39EdPKPdEEv13rocblas_fill_17rocblas_diagonal_T1_iil
	.p2align	8
	.type	_ZN9rocsolver6v33100L18trti2_kernel_smallILi39EdPKPdEEv13rocblas_fill_17rocblas_diagonal_T1_iil,@function
_ZN9rocsolver6v33100L18trti2_kernel_smallILi39EdPKPdEEv13rocblas_fill_17rocblas_diagonal_T1_iil: ; @_ZN9rocsolver6v33100L18trti2_kernel_smallILi39EdPKPdEEv13rocblas_fill_17rocblas_diagonal_T1_iil
; %bb.0:
	s_add_u32 s0, s0, s9
	s_addc_u32 s1, s1, 0
	v_cmp_gt_u32_e32 vcc, 39, v0
	s_and_saveexec_b64 s[6:7], vcc
	s_cbranch_execz .LBB102_752
; %bb.1:
	s_load_dwordx2 s[6:7], s[4:5], 0x10
	s_load_dwordx4 s[12:15], s[4:5], 0x0
	s_ashr_i32 s9, s8, 31
	s_lshl_b64 s[4:5], s[8:9], 3
	s_waitcnt lgkmcnt(0)
	s_ashr_i32 s9, s6, 31
	s_add_u32 s4, s14, s4
	s_addc_u32 s5, s15, s5
	s_load_dwordx2 s[4:5], s[4:5], 0x0
	s_mov_b32 s8, s6
	s_lshl_b64 s[8:9], s[8:9], 3
	s_waitcnt lgkmcnt(0)
	s_add_u32 s4, s4, s8
	s_addc_u32 s5, s5, s9
	s_add_i32 s6, s7, s7
	v_add_u32_e32 v4, s6, v0
	v_ashrrev_i32_e32 v5, 31, v4
	v_lshlrev_b64 v[2:3], 3, v[4:5]
	v_add_u32_e32 v6, s7, v4
	v_mov_b32_e32 v1, s5
	v_add_co_u32_e32 v2, vcc, s4, v2
	v_ashrrev_i32_e32 v7, 31, v6
	v_addc_co_u32_e32 v3, vcc, v1, v3, vcc
	v_lshlrev_b64 v[4:5], 3, v[6:7]
	v_add_u32_e32 v8, s7, v6
	v_add_co_u32_e32 v4, vcc, s4, v4
	v_ashrrev_i32_e32 v9, 31, v8
	v_addc_co_u32_e32 v5, vcc, v1, v5, vcc
	v_lshlrev_b64 v[6:7], 3, v[8:9]
	v_add_u32_e32 v10, s7, v8
	;; [unrolled: 5-line block ×5, first 2 shown]
	v_add_co_u32_e32 v14, vcc, s4, v14
	v_ashrrev_i32_e32 v13, 31, v12
	v_addc_co_u32_e32 v15, vcc, v1, v15, vcc
	v_lshlrev_b64 v[16:17], 3, v[12:13]
	v_add_co_u32_e32 v20, vcc, s4, v16
	v_add_u32_e32 v16, s7, v12
	v_addc_co_u32_e32 v21, vcc, v1, v17, vcc
	v_ashrrev_i32_e32 v17, 31, v16
	v_lshlrev_b64 v[12:13], 3, v[16:17]
	v_add_u32_e32 v18, s7, v16
	v_add_co_u32_e32 v12, vcc, s4, v12
	v_ashrrev_i32_e32 v19, 31, v18
	v_addc_co_u32_e32 v13, vcc, v1, v13, vcc
	v_lshlrev_b64 v[16:17], 3, v[18:19]
	v_add_u32_e32 v22, s7, v18
	v_add_co_u32_e32 v16, vcc, s4, v16
	v_ashrrev_i32_e32 v23, 31, v22
	v_addc_co_u32_e32 v17, vcc, v1, v17, vcc
	;; [unrolled: 5-line block ×21, first 2 shown]
	v_lshlrev_b64 v[58:59], 3, v[60:61]
	v_add_co_u32_e32 v58, vcc, s4, v58
	v_addc_co_u32_e32 v59, vcc, v1, v59, vcc
	v_lshlrev_b32_e32 v1, 3, v0
	v_mov_b32_e32 v62, s5
	v_add_co_u32_e32 v76, vcc, s4, v1
	s_ashr_i32 s9, s7, 31
	s_mov_b32 s8, s7
	v_addc_co_u32_e32 v77, vcc, 0, v62, vcc
	s_lshl_b64 s[8:9], s[8:9], 3
	v_mov_b32_e32 v62, s9
	v_add_co_u32_e32 v78, vcc, s8, v76
	v_addc_co_u32_e32 v79, vcc, v77, v62, vcc
	global_load_dwordx2 v[80:81], v1, s[4:5]
	global_load_dwordx2 v[82:83], v[78:79], off
	global_load_dwordx2 v[84:85], v[2:3], off
	;; [unrolled: 1-line block ×16, first 2 shown]
	v_add_u32_e32 v60, s7, v60
	v_ashrrev_i32_e32 v61, 31, v60
	v_lshlrev_b64 v[62:63], 3, v[60:61]
	v_add_u32_e32 v60, s7, v60
	v_mov_b32_e32 v64, s5
	v_add_co_u32_e32 v62, vcc, s4, v62
	v_ashrrev_i32_e32 v61, 31, v60
	v_addc_co_u32_e32 v63, vcc, v64, v63, vcc
	v_lshlrev_b64 v[64:65], 3, v[60:61]
	v_add_u32_e32 v60, s7, v60
	v_mov_b32_e32 v66, s5
	v_add_co_u32_e32 v64, vcc, s4, v64
	v_ashrrev_i32_e32 v61, 31, v60
	v_addc_co_u32_e32 v65, vcc, v66, v65, vcc
	;; [unrolled: 6-line block ×7, first 2 shown]
	v_lshlrev_b64 v[60:61], 3, v[60:61]
	v_add_co_u32_e32 v60, vcc, s4, v60
	v_addc_co_u32_e32 v61, vcc, v114, v61, vcc
	global_load_dwordx2 v[114:115], v[60:61], off
	s_waitcnt vmcnt(17)
	buffer_store_dword v81, off, s[0:3], 0 offset:4
	buffer_store_dword v80, off, s[0:3], 0
	s_waitcnt vmcnt(18)
	buffer_store_dword v83, off, s[0:3], 0 offset:12
	buffer_store_dword v82, off, s[0:3], 0 offset:8
	s_waitcnt vmcnt(19)
	buffer_store_dword v85, off, s[0:3], 0 offset:20
	buffer_store_dword v84, off, s[0:3], 0 offset:16
	;; [unrolled: 3-line block ×6, first 2 shown]
	global_load_dwordx2 v[80:81], v[32:33], off
	global_load_dwordx2 v[82:83], v[34:35], off
	;; [unrolled: 1-line block ×11, first 2 shown]
	s_cmpk_lg_i32 s13, 0x84
	s_waitcnt vmcnt(35)
	buffer_store_dword v95, off, s[0:3], 0 offset:60
	buffer_store_dword v94, off, s[0:3], 0 offset:56
	global_load_dwordx2 v[94:95], v[46:47], off
	s_cselect_b64 s[8:9], -1, 0
	s_waitcnt vmcnt(36)
	buffer_store_dword v97, off, s[0:3], 0 offset:68
	buffer_store_dword v96, off, s[0:3], 0 offset:64
	global_load_dwordx2 v[96:97], v[48:49], off
	s_cmpk_eq_i32 s13, 0x84
	s_waitcnt vmcnt(37)
	buffer_store_dword v98, off, s[0:3], 0 offset:72
	buffer_store_dword v99, off, s[0:3], 0 offset:76
	global_load_dwordx2 v[98:99], v[50:51], off
	s_nop 0
	buffer_store_dword v100, off, s[0:3], 0 offset:80
	buffer_store_dword v101, off, s[0:3], 0 offset:84
	global_load_dwordx2 v[100:101], v[52:53], off
	s_waitcnt vmcnt(42)
	buffer_store_dword v102, off, s[0:3], 0 offset:88
	buffer_store_dword v103, off, s[0:3], 0 offset:92
	global_load_dwordx2 v[102:103], v[54:55], off
	s_nop 0
	buffer_store_dword v104, off, s[0:3], 0 offset:96
	buffer_store_dword v105, off, s[0:3], 0 offset:100
	global_load_dwordx2 v[104:105], v[56:57], off
	s_waitcnt vmcnt(47)
	buffer_store_dword v106, off, s[0:3], 0 offset:104
	buffer_store_dword v107, off, s[0:3], 0 offset:108
	global_load_dwordx2 v[106:107], v[62:63], off
	s_waitcnt vmcnt(49)
	;; [unrolled: 4-line block ×5, first 2 shown]
	buffer_store_dword v80, off, s[0:3], 0 offset:136
	buffer_store_dword v81, off, s[0:3], 0 offset:140
	s_waitcnt vmcnt(41)
	buffer_store_dword v82, off, s[0:3], 0 offset:144
	buffer_store_dword v83, off, s[0:3], 0 offset:148
	s_waitcnt vmcnt(42)
	;; [unrolled: 3-line block ×12, first 2 shown]
	buffer_store_dword v104, off, s[0:3], 0 offset:232
	buffer_store_dword v105, off, s[0:3], 0 offset:236
	buffer_store_dword v116, off, s[0:3], 0 offset:240
	buffer_store_dword v117, off, s[0:3], 0 offset:244
	s_waitcnt vmcnt(37)
	buffer_store_dword v107, off, s[0:3], 0 offset:252
	buffer_store_dword v106, off, s[0:3], 0 offset:248
	buffer_store_dword v119, off, s[0:3], 0 offset:260
	buffer_store_dword v118, off, s[0:3], 0 offset:256
	s_waitcnt vmcnt(38)
	;; [unrolled: 5-line block ×4, first 2 shown]
	buffer_store_dword v113, off, s[0:3], 0 offset:300
	buffer_store_dword v112, off, s[0:3], 0 offset:296
	;; [unrolled: 1-line block ×4, first 2 shown]
	v_mov_b32_e32 v80, 0
	v_mov_b32_e32 v119, 0
	;; [unrolled: 1-line block ×3, first 2 shown]
	s_cbranch_scc1 .LBB102_3
; %bb.2:
	v_lshl_add_u32 v90, v0, 3, v119
	buffer_load_dword v80, v90, s[0:3], 0 offen
	buffer_load_dword v81, v90, s[0:3], 0 offen offset:4
	s_waitcnt vmcnt(0)
	v_div_scale_f64 v[82:83], s[4:5], v[80:81], v[80:81], 1.0
	v_rcp_f64_e32 v[84:85], v[82:83]
	v_div_scale_f64 v[86:87], vcc, 1.0, v[80:81], 1.0
	v_fma_f64 v[88:89], -v[82:83], v[84:85], 1.0
	v_fmac_f64_e32 v[84:85], v[84:85], v[88:89]
	v_fma_f64 v[88:89], -v[82:83], v[84:85], 1.0
	v_fmac_f64_e32 v[84:85], v[84:85], v[88:89]
	v_mul_f64 v[88:89], v[86:87], v[84:85]
	v_fma_f64 v[82:83], -v[82:83], v[88:89], v[86:87]
	v_div_fmas_f64 v[82:83], v[82:83], v[84:85], v[88:89]
	v_div_fixup_f64 v[80:81], v[82:83], v[80:81], 1.0
	buffer_store_dword v80, v90, s[0:3], 0 offen
	buffer_store_dword v81, v90, s[0:3], 0 offen offset:4
	v_xor_b32_e32 v81, 0x80000000, v81
.LBB102_3:
	s_cmpk_eq_i32 s12, 0x79
	v_add_u32_e32 v82, 0x140, v1
	v_add_u32_e32 v83, 0, v1
	s_mov_b64 s[4:5], -1
	ds_write_b64 v1, v[80:81]
	s_cbranch_scc1 .LBB102_377
; %bb.4:
	buffer_load_dword v80, off, s[0:3], 0 offset:296
	buffer_load_dword v81, off, s[0:3], 0 offset:300
	v_cmp_eq_u32_e64 s[4:5], 38, v0
	s_waitcnt vmcnt(0)
	ds_write_b64 v82, v[80:81]
	s_waitcnt lgkmcnt(0)
	; wave barrier
	s_waitcnt lgkmcnt(0)
	s_and_saveexec_b64 s[6:7], s[4:5]
	s_cbranch_execz .LBB102_10
; %bb.5:
	s_and_b64 vcc, exec, s[8:9]
	s_cbranch_vccz .LBB102_7
; %bb.6:
	buffer_load_dword v80, v83, s[0:3], 0 offen
	buffer_load_dword v81, v83, s[0:3], 0 offen offset:4
	ds_read_b64 v[84:85], v82
	s_waitcnt vmcnt(0) lgkmcnt(0)
	v_mul_f64 v[80:81], v[80:81], v[84:85]
	s_cbranch_execz .LBB102_8
	s_branch .LBB102_9
.LBB102_7:
                                        ; implicit-def: $vgpr80_vgpr81
.LBB102_8:
	ds_read_b64 v[80:81], v82
.LBB102_9:
	v_mov_b32_e32 v84, 0
	ds_read_b64 v[84:85], v84 offset:296
	s_waitcnt lgkmcnt(0)
	v_mul_f64 v[80:81], v[80:81], v[84:85]
	buffer_store_dword v81, off, s[0:3], 0 offset:300
	buffer_store_dword v80, off, s[0:3], 0 offset:296
.LBB102_10:
	s_or_b64 exec, exec, s[6:7]
	buffer_load_dword v80, off, s[0:3], 0 offset:288
	buffer_load_dword v81, off, s[0:3], 0 offset:292
	v_or_b32_e32 v84, 8, v119
	v_add_u32_e32 v85, 16, v119
	v_add_u32_e32 v86, 24, v119
	;; [unrolled: 1-line block ×35, first 2 shown]
	v_cmp_lt_u32_e64 s[6:7], 36, v0
	s_waitcnt vmcnt(0)
	ds_write_b64 v82, v[80:81]
	s_waitcnt lgkmcnt(0)
	; wave barrier
	s_waitcnt lgkmcnt(0)
	s_and_saveexec_b64 s[10:11], s[6:7]
	s_cbranch_execz .LBB102_16
; %bb.11:
	s_andn2_b64 vcc, exec, s[8:9]
	s_cbranch_vccnz .LBB102_13
; %bb.12:
	buffer_load_dword v80, v83, s[0:3], 0 offen
	buffer_load_dword v81, v83, s[0:3], 0 offen offset:4
	ds_read_b64 v[120:121], v82
	s_waitcnt vmcnt(0) lgkmcnt(0)
	v_mul_f64 v[80:81], v[80:81], v[120:121]
	s_cbranch_execz .LBB102_14
	s_branch .LBB102_15
.LBB102_13:
                                        ; implicit-def: $vgpr80_vgpr81
.LBB102_14:
	ds_read_b64 v[80:81], v82
.LBB102_15:
	buffer_load_dword v124, off, s[0:3], 0 offset:296
	buffer_load_dword v125, off, s[0:3], 0 offset:300
	v_mov_b32_e32 v120, 0
	ds_read2_b64 v[120:123], v120 offset0:36 offset1:77
	s_waitcnt vmcnt(0) lgkmcnt(0)
	v_fma_f64 v[122:123], v[124:125], v[122:123], v[80:81]
	v_cndmask_b32_e64 v81, v81, v123, s[4:5]
	v_cndmask_b32_e64 v80, v80, v122, s[4:5]
	v_mul_f64 v[80:81], v[80:81], v[120:121]
	buffer_store_dword v81, off, s[0:3], 0 offset:292
	buffer_store_dword v80, off, s[0:3], 0 offset:288
.LBB102_16:
	s_or_b64 exec, exec, s[10:11]
	buffer_load_dword v80, off, s[0:3], 0 offset:280
	buffer_load_dword v81, off, s[0:3], 0 offset:284
	v_cmp_lt_u32_e64 s[4:5], 35, v0
	s_waitcnt vmcnt(0)
	ds_write_b64 v82, v[80:81]
	s_waitcnt lgkmcnt(0)
	; wave barrier
	s_waitcnt lgkmcnt(0)
	s_and_saveexec_b64 s[10:11], s[4:5]
	s_cbranch_execz .LBB102_26
; %bb.17:
	s_andn2_b64 vcc, exec, s[8:9]
	s_cbranch_vccnz .LBB102_19
; %bb.18:
	buffer_load_dword v80, v83, s[0:3], 0 offen
	buffer_load_dword v81, v83, s[0:3], 0 offen offset:4
	ds_read_b64 v[120:121], v82
	s_waitcnt vmcnt(0) lgkmcnt(0)
	v_mul_f64 v[80:81], v[80:81], v[120:121]
	s_cbranch_execz .LBB102_20
	s_branch .LBB102_21
.LBB102_19:
                                        ; implicit-def: $vgpr80_vgpr81
.LBB102_20:
	ds_read_b64 v[80:81], v82
.LBB102_21:
	s_and_saveexec_b64 s[12:13], s[6:7]
	s_cbranch_execz .LBB102_25
; %bb.22:
	v_subrev_u32_e32 v120, 36, v0
	s_movk_i32 s14, 0x260
	s_mov_b64 s[6:7], 0
.LBB102_23:                             ; =>This Inner Loop Header: Depth=1
	buffer_load_dword v122, v119, s[0:3], 0 offen
	buffer_load_dword v123, v119, s[0:3], 0 offen offset:4
	v_mov_b32_e32 v121, s14
	ds_read_b64 v[124:125], v121
	v_add_u32_e32 v120, -1, v120
	s_add_i32 s14, s14, 8
	v_cmp_eq_u32_e32 vcc, 0, v120
	v_add_u32_e32 v119, 8, v119
	s_or_b64 s[6:7], vcc, s[6:7]
	s_waitcnt vmcnt(0) lgkmcnt(0)
	v_fmac_f64_e32 v[80:81], v[122:123], v[124:125]
	s_andn2_b64 exec, exec, s[6:7]
	s_cbranch_execnz .LBB102_23
; %bb.24:
	s_or_b64 exec, exec, s[6:7]
.LBB102_25:
	s_or_b64 exec, exec, s[12:13]
	v_mov_b32_e32 v119, 0
	ds_read_b64 v[120:121], v119 offset:280
	s_waitcnt lgkmcnt(0)
	v_mul_f64 v[80:81], v[80:81], v[120:121]
	buffer_store_dword v81, off, s[0:3], 0 offset:284
	buffer_store_dword v80, off, s[0:3], 0 offset:280
.LBB102_26:
	s_or_b64 exec, exec, s[10:11]
	buffer_load_dword v80, off, s[0:3], 0 offset:272
	buffer_load_dword v81, off, s[0:3], 0 offset:276
	v_cmp_lt_u32_e64 s[6:7], 34, v0
	s_waitcnt vmcnt(0)
	ds_write_b64 v82, v[80:81]
	s_waitcnt lgkmcnt(0)
	; wave barrier
	s_waitcnt lgkmcnt(0)
	s_and_saveexec_b64 s[10:11], s[6:7]
	s_cbranch_execz .LBB102_36
; %bb.27:
	s_andn2_b64 vcc, exec, s[8:9]
	s_cbranch_vccnz .LBB102_29
; %bb.28:
	buffer_load_dword v80, v83, s[0:3], 0 offen
	buffer_load_dword v81, v83, s[0:3], 0 offen offset:4
	ds_read_b64 v[120:121], v82
	s_waitcnt vmcnt(0) lgkmcnt(0)
	v_mul_f64 v[80:81], v[80:81], v[120:121]
	s_cbranch_execz .LBB102_30
	s_branch .LBB102_31
.LBB102_29:
                                        ; implicit-def: $vgpr80_vgpr81
.LBB102_30:
	ds_read_b64 v[80:81], v82
.LBB102_31:
	s_and_saveexec_b64 s[12:13], s[4:5]
	s_cbranch_execz .LBB102_35
; %bb.32:
	v_subrev_u32_e32 v119, 35, v0
	s_movk_i32 s14, 0x258
	s_mov_b64 s[4:5], 0
.LBB102_33:                             ; =>This Inner Loop Header: Depth=1
	buffer_load_dword v120, v118, s[0:3], 0 offen
	buffer_load_dword v121, v118, s[0:3], 0 offen offset:4
	v_mov_b32_e32 v122, s14
	ds_read_b64 v[122:123], v122
	v_add_u32_e32 v119, -1, v119
	s_add_i32 s14, s14, 8
	v_cmp_eq_u32_e32 vcc, 0, v119
	v_add_u32_e32 v118, 8, v118
	s_or_b64 s[4:5], vcc, s[4:5]
	s_waitcnt vmcnt(0) lgkmcnt(0)
	v_fmac_f64_e32 v[80:81], v[120:121], v[122:123]
	s_andn2_b64 exec, exec, s[4:5]
	s_cbranch_execnz .LBB102_33
; %bb.34:
	s_or_b64 exec, exec, s[4:5]
.LBB102_35:
	s_or_b64 exec, exec, s[12:13]
	v_mov_b32_e32 v118, 0
	ds_read_b64 v[118:119], v118 offset:272
	s_waitcnt lgkmcnt(0)
	v_mul_f64 v[80:81], v[80:81], v[118:119]
	buffer_store_dword v81, off, s[0:3], 0 offset:276
	buffer_store_dword v80, off, s[0:3], 0 offset:272
.LBB102_36:
	;; [unrolled: 58-line block ×8, first 2 shown]
	s_or_b64 exec, exec, s[10:11]
	buffer_load_dword v80, off, s[0:3], 0 offset:216
	buffer_load_dword v81, off, s[0:3], 0 offset:220
	v_cmp_lt_u32_e64 s[4:5], 27, v0
	s_waitcnt vmcnt(0)
	ds_write_b64 v82, v[80:81]
	s_waitcnt lgkmcnt(0)
	; wave barrier
	s_waitcnt lgkmcnt(0)
	s_and_saveexec_b64 s[10:11], s[4:5]
	s_cbranch_execz .LBB102_106
; %bb.97:
	s_andn2_b64 vcc, exec, s[8:9]
	s_cbranch_vccnz .LBB102_99
; %bb.98:
	buffer_load_dword v80, v83, s[0:3], 0 offen
	buffer_load_dword v81, v83, s[0:3], 0 offen offset:4
	ds_read_b64 v[112:113], v82
	s_waitcnt vmcnt(0) lgkmcnt(0)
	v_mul_f64 v[80:81], v[80:81], v[112:113]
	s_cbranch_execz .LBB102_100
	s_branch .LBB102_101
.LBB102_99:
                                        ; implicit-def: $vgpr80_vgpr81
.LBB102_100:
	ds_read_b64 v[80:81], v82
.LBB102_101:
	s_and_saveexec_b64 s[12:13], s[6:7]
	s_cbranch_execz .LBB102_105
; %bb.102:
	v_subrev_u32_e32 v112, 28, v0
	s_movk_i32 s14, 0x220
	s_mov_b64 s[6:7], 0
.LBB102_103:                            ; =>This Inner Loop Header: Depth=1
	buffer_load_dword v114, v111, s[0:3], 0 offen
	buffer_load_dword v115, v111, s[0:3], 0 offen offset:4
	v_mov_b32_e32 v113, s14
	ds_read_b64 v[116:117], v113
	v_add_u32_e32 v112, -1, v112
	s_add_i32 s14, s14, 8
	v_cmp_eq_u32_e32 vcc, 0, v112
	v_add_u32_e32 v111, 8, v111
	s_or_b64 s[6:7], vcc, s[6:7]
	s_waitcnt vmcnt(0) lgkmcnt(0)
	v_fmac_f64_e32 v[80:81], v[114:115], v[116:117]
	s_andn2_b64 exec, exec, s[6:7]
	s_cbranch_execnz .LBB102_103
; %bb.104:
	s_or_b64 exec, exec, s[6:7]
.LBB102_105:
	s_or_b64 exec, exec, s[12:13]
	v_mov_b32_e32 v111, 0
	ds_read_b64 v[112:113], v111 offset:216
	s_waitcnt lgkmcnt(0)
	v_mul_f64 v[80:81], v[80:81], v[112:113]
	buffer_store_dword v81, off, s[0:3], 0 offset:220
	buffer_store_dword v80, off, s[0:3], 0 offset:216
.LBB102_106:
	s_or_b64 exec, exec, s[10:11]
	buffer_load_dword v80, off, s[0:3], 0 offset:208
	buffer_load_dword v81, off, s[0:3], 0 offset:212
	v_cmp_lt_u32_e64 s[6:7], 26, v0
	s_waitcnt vmcnt(0)
	ds_write_b64 v82, v[80:81]
	s_waitcnt lgkmcnt(0)
	; wave barrier
	s_waitcnt lgkmcnt(0)
	s_and_saveexec_b64 s[10:11], s[6:7]
	s_cbranch_execz .LBB102_116
; %bb.107:
	s_andn2_b64 vcc, exec, s[8:9]
	s_cbranch_vccnz .LBB102_109
; %bb.108:
	buffer_load_dword v80, v83, s[0:3], 0 offen
	buffer_load_dword v81, v83, s[0:3], 0 offen offset:4
	ds_read_b64 v[112:113], v82
	s_waitcnt vmcnt(0) lgkmcnt(0)
	v_mul_f64 v[80:81], v[80:81], v[112:113]
	s_cbranch_execz .LBB102_110
	s_branch .LBB102_111
.LBB102_109:
                                        ; implicit-def: $vgpr80_vgpr81
.LBB102_110:
	ds_read_b64 v[80:81], v82
.LBB102_111:
	s_and_saveexec_b64 s[12:13], s[4:5]
	s_cbranch_execz .LBB102_115
; %bb.112:
	v_subrev_u32_e32 v111, 27, v0
	s_movk_i32 s14, 0x218
	s_mov_b64 s[4:5], 0
.LBB102_113:                            ; =>This Inner Loop Header: Depth=1
	buffer_load_dword v112, v110, s[0:3], 0 offen
	buffer_load_dword v113, v110, s[0:3], 0 offen offset:4
	v_mov_b32_e32 v114, s14
	ds_read_b64 v[114:115], v114
	v_add_u32_e32 v111, -1, v111
	s_add_i32 s14, s14, 8
	v_cmp_eq_u32_e32 vcc, 0, v111
	v_add_u32_e32 v110, 8, v110
	s_or_b64 s[4:5], vcc, s[4:5]
	s_waitcnt vmcnt(0) lgkmcnt(0)
	v_fmac_f64_e32 v[80:81], v[112:113], v[114:115]
	s_andn2_b64 exec, exec, s[4:5]
	s_cbranch_execnz .LBB102_113
; %bb.114:
	s_or_b64 exec, exec, s[4:5]
.LBB102_115:
	s_or_b64 exec, exec, s[12:13]
	v_mov_b32_e32 v110, 0
	ds_read_b64 v[110:111], v110 offset:208
	s_waitcnt lgkmcnt(0)
	v_mul_f64 v[80:81], v[80:81], v[110:111]
	buffer_store_dword v81, off, s[0:3], 0 offset:212
	buffer_store_dword v80, off, s[0:3], 0 offset:208
.LBB102_116:
	s_or_b64 exec, exec, s[10:11]
	buffer_load_dword v80, off, s[0:3], 0 offset:200
	buffer_load_dword v81, off, s[0:3], 0 offset:204
	v_cmp_lt_u32_e64 s[4:5], 25, v0
	s_waitcnt vmcnt(0)
	ds_write_b64 v82, v[80:81]
	s_waitcnt lgkmcnt(0)
	; wave barrier
	s_waitcnt lgkmcnt(0)
	s_and_saveexec_b64 s[10:11], s[4:5]
	s_cbranch_execz .LBB102_126
; %bb.117:
	s_andn2_b64 vcc, exec, s[8:9]
	s_cbranch_vccnz .LBB102_119
; %bb.118:
	buffer_load_dword v80, v83, s[0:3], 0 offen
	buffer_load_dword v81, v83, s[0:3], 0 offen offset:4
	ds_read_b64 v[110:111], v82
	s_waitcnt vmcnt(0) lgkmcnt(0)
	v_mul_f64 v[80:81], v[80:81], v[110:111]
	s_cbranch_execz .LBB102_120
	s_branch .LBB102_121
.LBB102_119:
                                        ; implicit-def: $vgpr80_vgpr81
.LBB102_120:
	ds_read_b64 v[80:81], v82
.LBB102_121:
	s_and_saveexec_b64 s[12:13], s[6:7]
	s_cbranch_execz .LBB102_125
; %bb.122:
	v_subrev_u32_e32 v110, 26, v0
	s_movk_i32 s14, 0x210
	s_mov_b64 s[6:7], 0
.LBB102_123:                            ; =>This Inner Loop Header: Depth=1
	buffer_load_dword v112, v109, s[0:3], 0 offen
	buffer_load_dword v113, v109, s[0:3], 0 offen offset:4
	v_mov_b32_e32 v111, s14
	ds_read_b64 v[114:115], v111
	v_add_u32_e32 v110, -1, v110
	s_add_i32 s14, s14, 8
	v_cmp_eq_u32_e32 vcc, 0, v110
	v_add_u32_e32 v109, 8, v109
	s_or_b64 s[6:7], vcc, s[6:7]
	s_waitcnt vmcnt(0) lgkmcnt(0)
	v_fmac_f64_e32 v[80:81], v[112:113], v[114:115]
	s_andn2_b64 exec, exec, s[6:7]
	s_cbranch_execnz .LBB102_123
; %bb.124:
	s_or_b64 exec, exec, s[6:7]
.LBB102_125:
	s_or_b64 exec, exec, s[12:13]
	v_mov_b32_e32 v109, 0
	ds_read_b64 v[110:111], v109 offset:200
	s_waitcnt lgkmcnt(0)
	v_mul_f64 v[80:81], v[80:81], v[110:111]
	buffer_store_dword v81, off, s[0:3], 0 offset:204
	buffer_store_dword v80, off, s[0:3], 0 offset:200
.LBB102_126:
	s_or_b64 exec, exec, s[10:11]
	buffer_load_dword v80, off, s[0:3], 0 offset:192
	buffer_load_dword v81, off, s[0:3], 0 offset:196
	v_cmp_lt_u32_e64 s[6:7], 24, v0
	s_waitcnt vmcnt(0)
	ds_write_b64 v82, v[80:81]
	s_waitcnt lgkmcnt(0)
	; wave barrier
	s_waitcnt lgkmcnt(0)
	s_and_saveexec_b64 s[10:11], s[6:7]
	s_cbranch_execz .LBB102_136
; %bb.127:
	s_andn2_b64 vcc, exec, s[8:9]
	s_cbranch_vccnz .LBB102_129
; %bb.128:
	buffer_load_dword v80, v83, s[0:3], 0 offen
	buffer_load_dword v81, v83, s[0:3], 0 offen offset:4
	ds_read_b64 v[110:111], v82
	s_waitcnt vmcnt(0) lgkmcnt(0)
	v_mul_f64 v[80:81], v[80:81], v[110:111]
	s_cbranch_execz .LBB102_130
	s_branch .LBB102_131
.LBB102_129:
                                        ; implicit-def: $vgpr80_vgpr81
.LBB102_130:
	ds_read_b64 v[80:81], v82
.LBB102_131:
	s_and_saveexec_b64 s[12:13], s[4:5]
	s_cbranch_execz .LBB102_135
; %bb.132:
	v_subrev_u32_e32 v109, 25, v0
	s_movk_i32 s14, 0x208
	s_mov_b64 s[4:5], 0
.LBB102_133:                            ; =>This Inner Loop Header: Depth=1
	buffer_load_dword v110, v108, s[0:3], 0 offen
	buffer_load_dword v111, v108, s[0:3], 0 offen offset:4
	v_mov_b32_e32 v112, s14
	ds_read_b64 v[112:113], v112
	v_add_u32_e32 v109, -1, v109
	s_add_i32 s14, s14, 8
	v_cmp_eq_u32_e32 vcc, 0, v109
	v_add_u32_e32 v108, 8, v108
	s_or_b64 s[4:5], vcc, s[4:5]
	s_waitcnt vmcnt(0) lgkmcnt(0)
	v_fmac_f64_e32 v[80:81], v[110:111], v[112:113]
	s_andn2_b64 exec, exec, s[4:5]
	s_cbranch_execnz .LBB102_133
; %bb.134:
	s_or_b64 exec, exec, s[4:5]
.LBB102_135:
	s_or_b64 exec, exec, s[12:13]
	v_mov_b32_e32 v108, 0
	ds_read_b64 v[108:109], v108 offset:192
	s_waitcnt lgkmcnt(0)
	v_mul_f64 v[80:81], v[80:81], v[108:109]
	buffer_store_dword v81, off, s[0:3], 0 offset:196
	buffer_store_dword v80, off, s[0:3], 0 offset:192
.LBB102_136:
	s_or_b64 exec, exec, s[10:11]
	buffer_load_dword v80, off, s[0:3], 0 offset:184
	buffer_load_dword v81, off, s[0:3], 0 offset:188
	v_cmp_lt_u32_e64 s[4:5], 23, v0
	s_waitcnt vmcnt(0)
	ds_write_b64 v82, v[80:81]
	s_waitcnt lgkmcnt(0)
	; wave barrier
	s_waitcnt lgkmcnt(0)
	s_and_saveexec_b64 s[10:11], s[4:5]
	s_cbranch_execz .LBB102_146
; %bb.137:
	s_andn2_b64 vcc, exec, s[8:9]
	s_cbranch_vccnz .LBB102_139
; %bb.138:
	buffer_load_dword v80, v83, s[0:3], 0 offen
	buffer_load_dword v81, v83, s[0:3], 0 offen offset:4
	ds_read_b64 v[108:109], v82
	s_waitcnt vmcnt(0) lgkmcnt(0)
	v_mul_f64 v[80:81], v[80:81], v[108:109]
	s_cbranch_execz .LBB102_140
	s_branch .LBB102_141
.LBB102_139:
                                        ; implicit-def: $vgpr80_vgpr81
.LBB102_140:
	ds_read_b64 v[80:81], v82
.LBB102_141:
	s_and_saveexec_b64 s[12:13], s[6:7]
	s_cbranch_execz .LBB102_145
; %bb.142:
	v_subrev_u32_e32 v108, 24, v0
	s_movk_i32 s14, 0x200
	s_mov_b64 s[6:7], 0
.LBB102_143:                            ; =>This Inner Loop Header: Depth=1
	buffer_load_dword v110, v107, s[0:3], 0 offen
	buffer_load_dword v111, v107, s[0:3], 0 offen offset:4
	v_mov_b32_e32 v109, s14
	ds_read_b64 v[112:113], v109
	v_add_u32_e32 v108, -1, v108
	s_add_i32 s14, s14, 8
	v_cmp_eq_u32_e32 vcc, 0, v108
	v_add_u32_e32 v107, 8, v107
	s_or_b64 s[6:7], vcc, s[6:7]
	s_waitcnt vmcnt(0) lgkmcnt(0)
	v_fmac_f64_e32 v[80:81], v[110:111], v[112:113]
	s_andn2_b64 exec, exec, s[6:7]
	s_cbranch_execnz .LBB102_143
; %bb.144:
	s_or_b64 exec, exec, s[6:7]
.LBB102_145:
	s_or_b64 exec, exec, s[12:13]
	v_mov_b32_e32 v107, 0
	ds_read_b64 v[108:109], v107 offset:184
	s_waitcnt lgkmcnt(0)
	v_mul_f64 v[80:81], v[80:81], v[108:109]
	buffer_store_dword v81, off, s[0:3], 0 offset:188
	buffer_store_dword v80, off, s[0:3], 0 offset:184
.LBB102_146:
	s_or_b64 exec, exec, s[10:11]
	buffer_load_dword v80, off, s[0:3], 0 offset:176
	buffer_load_dword v81, off, s[0:3], 0 offset:180
	v_cmp_lt_u32_e64 s[6:7], 22, v0
	s_waitcnt vmcnt(0)
	ds_write_b64 v82, v[80:81]
	s_waitcnt lgkmcnt(0)
	; wave barrier
	s_waitcnt lgkmcnt(0)
	s_and_saveexec_b64 s[10:11], s[6:7]
	s_cbranch_execz .LBB102_156
; %bb.147:
	s_andn2_b64 vcc, exec, s[8:9]
	s_cbranch_vccnz .LBB102_149
; %bb.148:
	buffer_load_dword v80, v83, s[0:3], 0 offen
	buffer_load_dword v81, v83, s[0:3], 0 offen offset:4
	ds_read_b64 v[108:109], v82
	s_waitcnt vmcnt(0) lgkmcnt(0)
	v_mul_f64 v[80:81], v[80:81], v[108:109]
	s_cbranch_execz .LBB102_150
	s_branch .LBB102_151
.LBB102_149:
                                        ; implicit-def: $vgpr80_vgpr81
.LBB102_150:
	ds_read_b64 v[80:81], v82
.LBB102_151:
	s_and_saveexec_b64 s[12:13], s[4:5]
	s_cbranch_execz .LBB102_155
; %bb.152:
	v_subrev_u32_e32 v107, 23, v0
	s_movk_i32 s14, 0x1f8
	s_mov_b64 s[4:5], 0
.LBB102_153:                            ; =>This Inner Loop Header: Depth=1
	buffer_load_dword v108, v106, s[0:3], 0 offen
	buffer_load_dword v109, v106, s[0:3], 0 offen offset:4
	v_mov_b32_e32 v110, s14
	ds_read_b64 v[110:111], v110
	v_add_u32_e32 v107, -1, v107
	s_add_i32 s14, s14, 8
	v_cmp_eq_u32_e32 vcc, 0, v107
	v_add_u32_e32 v106, 8, v106
	s_or_b64 s[4:5], vcc, s[4:5]
	s_waitcnt vmcnt(0) lgkmcnt(0)
	v_fmac_f64_e32 v[80:81], v[108:109], v[110:111]
	s_andn2_b64 exec, exec, s[4:5]
	s_cbranch_execnz .LBB102_153
; %bb.154:
	s_or_b64 exec, exec, s[4:5]
.LBB102_155:
	s_or_b64 exec, exec, s[12:13]
	v_mov_b32_e32 v106, 0
	ds_read_b64 v[106:107], v106 offset:176
	s_waitcnt lgkmcnt(0)
	v_mul_f64 v[80:81], v[80:81], v[106:107]
	buffer_store_dword v81, off, s[0:3], 0 offset:180
	buffer_store_dword v80, off, s[0:3], 0 offset:176
.LBB102_156:
	s_or_b64 exec, exec, s[10:11]
	buffer_load_dword v80, off, s[0:3], 0 offset:168
	buffer_load_dword v81, off, s[0:3], 0 offset:172
	v_cmp_lt_u32_e64 s[4:5], 21, v0
	s_waitcnt vmcnt(0)
	ds_write_b64 v82, v[80:81]
	s_waitcnt lgkmcnt(0)
	; wave barrier
	s_waitcnt lgkmcnt(0)
	s_and_saveexec_b64 s[10:11], s[4:5]
	s_cbranch_execz .LBB102_166
; %bb.157:
	s_andn2_b64 vcc, exec, s[8:9]
	s_cbranch_vccnz .LBB102_159
; %bb.158:
	buffer_load_dword v80, v83, s[0:3], 0 offen
	buffer_load_dword v81, v83, s[0:3], 0 offen offset:4
	ds_read_b64 v[106:107], v82
	s_waitcnt vmcnt(0) lgkmcnt(0)
	v_mul_f64 v[80:81], v[80:81], v[106:107]
	s_cbranch_execz .LBB102_160
	s_branch .LBB102_161
.LBB102_159:
                                        ; implicit-def: $vgpr80_vgpr81
.LBB102_160:
	ds_read_b64 v[80:81], v82
.LBB102_161:
	s_and_saveexec_b64 s[12:13], s[6:7]
	s_cbranch_execz .LBB102_165
; %bb.162:
	v_subrev_u32_e32 v106, 22, v0
	s_movk_i32 s14, 0x1f0
	s_mov_b64 s[6:7], 0
.LBB102_163:                            ; =>This Inner Loop Header: Depth=1
	buffer_load_dword v108, v105, s[0:3], 0 offen
	buffer_load_dword v109, v105, s[0:3], 0 offen offset:4
	v_mov_b32_e32 v107, s14
	ds_read_b64 v[110:111], v107
	v_add_u32_e32 v106, -1, v106
	s_add_i32 s14, s14, 8
	v_cmp_eq_u32_e32 vcc, 0, v106
	v_add_u32_e32 v105, 8, v105
	s_or_b64 s[6:7], vcc, s[6:7]
	s_waitcnt vmcnt(0) lgkmcnt(0)
	v_fmac_f64_e32 v[80:81], v[108:109], v[110:111]
	s_andn2_b64 exec, exec, s[6:7]
	s_cbranch_execnz .LBB102_163
; %bb.164:
	s_or_b64 exec, exec, s[6:7]
.LBB102_165:
	s_or_b64 exec, exec, s[12:13]
	v_mov_b32_e32 v105, 0
	ds_read_b64 v[106:107], v105 offset:168
	s_waitcnt lgkmcnt(0)
	v_mul_f64 v[80:81], v[80:81], v[106:107]
	buffer_store_dword v81, off, s[0:3], 0 offset:172
	buffer_store_dword v80, off, s[0:3], 0 offset:168
.LBB102_166:
	s_or_b64 exec, exec, s[10:11]
	buffer_load_dword v80, off, s[0:3], 0 offset:160
	buffer_load_dword v81, off, s[0:3], 0 offset:164
	v_cmp_lt_u32_e64 s[6:7], 20, v0
	s_waitcnt vmcnt(0)
	ds_write_b64 v82, v[80:81]
	s_waitcnt lgkmcnt(0)
	; wave barrier
	s_waitcnt lgkmcnt(0)
	s_and_saveexec_b64 s[10:11], s[6:7]
	s_cbranch_execz .LBB102_176
; %bb.167:
	s_andn2_b64 vcc, exec, s[8:9]
	s_cbranch_vccnz .LBB102_169
; %bb.168:
	buffer_load_dword v80, v83, s[0:3], 0 offen
	buffer_load_dword v81, v83, s[0:3], 0 offen offset:4
	ds_read_b64 v[106:107], v82
	s_waitcnt vmcnt(0) lgkmcnt(0)
	v_mul_f64 v[80:81], v[80:81], v[106:107]
	s_cbranch_execz .LBB102_170
	s_branch .LBB102_171
.LBB102_169:
                                        ; implicit-def: $vgpr80_vgpr81
.LBB102_170:
	ds_read_b64 v[80:81], v82
.LBB102_171:
	s_and_saveexec_b64 s[12:13], s[4:5]
	s_cbranch_execz .LBB102_175
; %bb.172:
	v_subrev_u32_e32 v105, 21, v0
	s_movk_i32 s14, 0x1e8
	s_mov_b64 s[4:5], 0
.LBB102_173:                            ; =>This Inner Loop Header: Depth=1
	buffer_load_dword v106, v104, s[0:3], 0 offen
	buffer_load_dword v107, v104, s[0:3], 0 offen offset:4
	v_mov_b32_e32 v108, s14
	ds_read_b64 v[108:109], v108
	v_add_u32_e32 v105, -1, v105
	s_add_i32 s14, s14, 8
	v_cmp_eq_u32_e32 vcc, 0, v105
	v_add_u32_e32 v104, 8, v104
	s_or_b64 s[4:5], vcc, s[4:5]
	s_waitcnt vmcnt(0) lgkmcnt(0)
	v_fmac_f64_e32 v[80:81], v[106:107], v[108:109]
	s_andn2_b64 exec, exec, s[4:5]
	s_cbranch_execnz .LBB102_173
; %bb.174:
	s_or_b64 exec, exec, s[4:5]
.LBB102_175:
	s_or_b64 exec, exec, s[12:13]
	v_mov_b32_e32 v104, 0
	ds_read_b64 v[104:105], v104 offset:160
	s_waitcnt lgkmcnt(0)
	v_mul_f64 v[80:81], v[80:81], v[104:105]
	buffer_store_dword v81, off, s[0:3], 0 offset:164
	buffer_store_dword v80, off, s[0:3], 0 offset:160
.LBB102_176:
	s_or_b64 exec, exec, s[10:11]
	buffer_load_dword v80, off, s[0:3], 0 offset:152
	buffer_load_dword v81, off, s[0:3], 0 offset:156
	v_cmp_lt_u32_e64 s[4:5], 19, v0
	s_waitcnt vmcnt(0)
	ds_write_b64 v82, v[80:81]
	s_waitcnt lgkmcnt(0)
	; wave barrier
	s_waitcnt lgkmcnt(0)
	s_and_saveexec_b64 s[10:11], s[4:5]
	s_cbranch_execz .LBB102_186
; %bb.177:
	s_andn2_b64 vcc, exec, s[8:9]
	s_cbranch_vccnz .LBB102_179
; %bb.178:
	buffer_load_dword v80, v83, s[0:3], 0 offen
	buffer_load_dword v81, v83, s[0:3], 0 offen offset:4
	ds_read_b64 v[104:105], v82
	s_waitcnt vmcnt(0) lgkmcnt(0)
	v_mul_f64 v[80:81], v[80:81], v[104:105]
	s_cbranch_execz .LBB102_180
	s_branch .LBB102_181
.LBB102_179:
                                        ; implicit-def: $vgpr80_vgpr81
.LBB102_180:
	ds_read_b64 v[80:81], v82
.LBB102_181:
	s_and_saveexec_b64 s[12:13], s[6:7]
	s_cbranch_execz .LBB102_185
; %bb.182:
	v_subrev_u32_e32 v104, 20, v0
	s_movk_i32 s14, 0x1e0
	s_mov_b64 s[6:7], 0
.LBB102_183:                            ; =>This Inner Loop Header: Depth=1
	buffer_load_dword v106, v103, s[0:3], 0 offen
	buffer_load_dword v107, v103, s[0:3], 0 offen offset:4
	v_mov_b32_e32 v105, s14
	ds_read_b64 v[108:109], v105
	v_add_u32_e32 v104, -1, v104
	s_add_i32 s14, s14, 8
	v_cmp_eq_u32_e32 vcc, 0, v104
	v_add_u32_e32 v103, 8, v103
	s_or_b64 s[6:7], vcc, s[6:7]
	s_waitcnt vmcnt(0) lgkmcnt(0)
	v_fmac_f64_e32 v[80:81], v[106:107], v[108:109]
	s_andn2_b64 exec, exec, s[6:7]
	s_cbranch_execnz .LBB102_183
; %bb.184:
	s_or_b64 exec, exec, s[6:7]
.LBB102_185:
	s_or_b64 exec, exec, s[12:13]
	v_mov_b32_e32 v103, 0
	ds_read_b64 v[104:105], v103 offset:152
	s_waitcnt lgkmcnt(0)
	v_mul_f64 v[80:81], v[80:81], v[104:105]
	buffer_store_dword v81, off, s[0:3], 0 offset:156
	buffer_store_dword v80, off, s[0:3], 0 offset:152
.LBB102_186:
	s_or_b64 exec, exec, s[10:11]
	buffer_load_dword v80, off, s[0:3], 0 offset:144
	buffer_load_dword v81, off, s[0:3], 0 offset:148
	v_cmp_lt_u32_e64 s[6:7], 18, v0
	s_waitcnt vmcnt(0)
	ds_write_b64 v82, v[80:81]
	s_waitcnt lgkmcnt(0)
	; wave barrier
	s_waitcnt lgkmcnt(0)
	s_and_saveexec_b64 s[10:11], s[6:7]
	s_cbranch_execz .LBB102_196
; %bb.187:
	s_andn2_b64 vcc, exec, s[8:9]
	s_cbranch_vccnz .LBB102_189
; %bb.188:
	buffer_load_dword v80, v83, s[0:3], 0 offen
	buffer_load_dword v81, v83, s[0:3], 0 offen offset:4
	ds_read_b64 v[104:105], v82
	s_waitcnt vmcnt(0) lgkmcnt(0)
	v_mul_f64 v[80:81], v[80:81], v[104:105]
	s_cbranch_execz .LBB102_190
	s_branch .LBB102_191
.LBB102_189:
                                        ; implicit-def: $vgpr80_vgpr81
.LBB102_190:
	ds_read_b64 v[80:81], v82
.LBB102_191:
	s_and_saveexec_b64 s[12:13], s[4:5]
	s_cbranch_execz .LBB102_195
; %bb.192:
	v_subrev_u32_e32 v103, 19, v0
	s_movk_i32 s14, 0x1d8
	s_mov_b64 s[4:5], 0
.LBB102_193:                            ; =>This Inner Loop Header: Depth=1
	buffer_load_dword v104, v102, s[0:3], 0 offen
	buffer_load_dword v105, v102, s[0:3], 0 offen offset:4
	v_mov_b32_e32 v106, s14
	ds_read_b64 v[106:107], v106
	v_add_u32_e32 v103, -1, v103
	s_add_i32 s14, s14, 8
	v_cmp_eq_u32_e32 vcc, 0, v103
	v_add_u32_e32 v102, 8, v102
	s_or_b64 s[4:5], vcc, s[4:5]
	s_waitcnt vmcnt(0) lgkmcnt(0)
	v_fmac_f64_e32 v[80:81], v[104:105], v[106:107]
	s_andn2_b64 exec, exec, s[4:5]
	s_cbranch_execnz .LBB102_193
; %bb.194:
	s_or_b64 exec, exec, s[4:5]
.LBB102_195:
	s_or_b64 exec, exec, s[12:13]
	v_mov_b32_e32 v102, 0
	ds_read_b64 v[102:103], v102 offset:144
	s_waitcnt lgkmcnt(0)
	v_mul_f64 v[80:81], v[80:81], v[102:103]
	buffer_store_dword v81, off, s[0:3], 0 offset:148
	buffer_store_dword v80, off, s[0:3], 0 offset:144
.LBB102_196:
	s_or_b64 exec, exec, s[10:11]
	buffer_load_dword v80, off, s[0:3], 0 offset:136
	buffer_load_dword v81, off, s[0:3], 0 offset:140
	v_cmp_lt_u32_e64 s[4:5], 17, v0
	s_waitcnt vmcnt(0)
	ds_write_b64 v82, v[80:81]
	s_waitcnt lgkmcnt(0)
	; wave barrier
	s_waitcnt lgkmcnt(0)
	s_and_saveexec_b64 s[10:11], s[4:5]
	s_cbranch_execz .LBB102_206
; %bb.197:
	s_andn2_b64 vcc, exec, s[8:9]
	s_cbranch_vccnz .LBB102_199
; %bb.198:
	buffer_load_dword v80, v83, s[0:3], 0 offen
	buffer_load_dword v81, v83, s[0:3], 0 offen offset:4
	ds_read_b64 v[102:103], v82
	s_waitcnt vmcnt(0) lgkmcnt(0)
	v_mul_f64 v[80:81], v[80:81], v[102:103]
	s_cbranch_execz .LBB102_200
	s_branch .LBB102_201
.LBB102_199:
                                        ; implicit-def: $vgpr80_vgpr81
.LBB102_200:
	ds_read_b64 v[80:81], v82
.LBB102_201:
	s_and_saveexec_b64 s[12:13], s[6:7]
	s_cbranch_execz .LBB102_205
; %bb.202:
	v_subrev_u32_e32 v102, 18, v0
	s_movk_i32 s14, 0x1d0
	s_mov_b64 s[6:7], 0
.LBB102_203:                            ; =>This Inner Loop Header: Depth=1
	buffer_load_dword v104, v101, s[0:3], 0 offen
	buffer_load_dword v105, v101, s[0:3], 0 offen offset:4
	v_mov_b32_e32 v103, s14
	ds_read_b64 v[106:107], v103
	v_add_u32_e32 v102, -1, v102
	s_add_i32 s14, s14, 8
	v_cmp_eq_u32_e32 vcc, 0, v102
	v_add_u32_e32 v101, 8, v101
	s_or_b64 s[6:7], vcc, s[6:7]
	s_waitcnt vmcnt(0) lgkmcnt(0)
	v_fmac_f64_e32 v[80:81], v[104:105], v[106:107]
	s_andn2_b64 exec, exec, s[6:7]
	s_cbranch_execnz .LBB102_203
; %bb.204:
	s_or_b64 exec, exec, s[6:7]
.LBB102_205:
	s_or_b64 exec, exec, s[12:13]
	v_mov_b32_e32 v101, 0
	ds_read_b64 v[102:103], v101 offset:136
	s_waitcnt lgkmcnt(0)
	v_mul_f64 v[80:81], v[80:81], v[102:103]
	buffer_store_dword v81, off, s[0:3], 0 offset:140
	buffer_store_dword v80, off, s[0:3], 0 offset:136
.LBB102_206:
	s_or_b64 exec, exec, s[10:11]
	buffer_load_dword v80, off, s[0:3], 0 offset:128
	buffer_load_dword v81, off, s[0:3], 0 offset:132
	v_cmp_lt_u32_e64 s[6:7], 16, v0
	s_waitcnt vmcnt(0)
	ds_write_b64 v82, v[80:81]
	s_waitcnt lgkmcnt(0)
	; wave barrier
	s_waitcnt lgkmcnt(0)
	s_and_saveexec_b64 s[10:11], s[6:7]
	s_cbranch_execz .LBB102_216
; %bb.207:
	s_andn2_b64 vcc, exec, s[8:9]
	s_cbranch_vccnz .LBB102_209
; %bb.208:
	buffer_load_dword v80, v83, s[0:3], 0 offen
	buffer_load_dword v81, v83, s[0:3], 0 offen offset:4
	ds_read_b64 v[102:103], v82
	s_waitcnt vmcnt(0) lgkmcnt(0)
	v_mul_f64 v[80:81], v[80:81], v[102:103]
	s_cbranch_execz .LBB102_210
	s_branch .LBB102_211
.LBB102_209:
                                        ; implicit-def: $vgpr80_vgpr81
.LBB102_210:
	ds_read_b64 v[80:81], v82
.LBB102_211:
	s_and_saveexec_b64 s[12:13], s[4:5]
	s_cbranch_execz .LBB102_215
; %bb.212:
	v_subrev_u32_e32 v101, 17, v0
	s_movk_i32 s14, 0x1c8
	s_mov_b64 s[4:5], 0
.LBB102_213:                            ; =>This Inner Loop Header: Depth=1
	buffer_load_dword v102, v100, s[0:3], 0 offen
	buffer_load_dword v103, v100, s[0:3], 0 offen offset:4
	v_mov_b32_e32 v104, s14
	ds_read_b64 v[104:105], v104
	v_add_u32_e32 v101, -1, v101
	s_add_i32 s14, s14, 8
	v_cmp_eq_u32_e32 vcc, 0, v101
	v_add_u32_e32 v100, 8, v100
	s_or_b64 s[4:5], vcc, s[4:5]
	s_waitcnt vmcnt(0) lgkmcnt(0)
	v_fmac_f64_e32 v[80:81], v[102:103], v[104:105]
	s_andn2_b64 exec, exec, s[4:5]
	s_cbranch_execnz .LBB102_213
; %bb.214:
	s_or_b64 exec, exec, s[4:5]
.LBB102_215:
	s_or_b64 exec, exec, s[12:13]
	v_mov_b32_e32 v100, 0
	ds_read_b64 v[100:101], v100 offset:128
	s_waitcnt lgkmcnt(0)
	v_mul_f64 v[80:81], v[80:81], v[100:101]
	buffer_store_dword v81, off, s[0:3], 0 offset:132
	buffer_store_dword v80, off, s[0:3], 0 offset:128
.LBB102_216:
	s_or_b64 exec, exec, s[10:11]
	buffer_load_dword v80, off, s[0:3], 0 offset:120
	buffer_load_dword v81, off, s[0:3], 0 offset:124
	v_cmp_lt_u32_e64 s[4:5], 15, v0
	s_waitcnt vmcnt(0)
	ds_write_b64 v82, v[80:81]
	s_waitcnt lgkmcnt(0)
	; wave barrier
	s_waitcnt lgkmcnt(0)
	s_and_saveexec_b64 s[10:11], s[4:5]
	s_cbranch_execz .LBB102_226
; %bb.217:
	s_andn2_b64 vcc, exec, s[8:9]
	s_cbranch_vccnz .LBB102_219
; %bb.218:
	buffer_load_dword v80, v83, s[0:3], 0 offen
	buffer_load_dword v81, v83, s[0:3], 0 offen offset:4
	ds_read_b64 v[100:101], v82
	s_waitcnt vmcnt(0) lgkmcnt(0)
	v_mul_f64 v[80:81], v[80:81], v[100:101]
	s_cbranch_execz .LBB102_220
	s_branch .LBB102_221
.LBB102_219:
                                        ; implicit-def: $vgpr80_vgpr81
.LBB102_220:
	ds_read_b64 v[80:81], v82
.LBB102_221:
	s_and_saveexec_b64 s[12:13], s[6:7]
	s_cbranch_execz .LBB102_225
; %bb.222:
	v_add_u32_e32 v100, -16, v0
	s_movk_i32 s14, 0x1c0
	s_mov_b64 s[6:7], 0
.LBB102_223:                            ; =>This Inner Loop Header: Depth=1
	buffer_load_dword v102, v99, s[0:3], 0 offen
	buffer_load_dword v103, v99, s[0:3], 0 offen offset:4
	v_mov_b32_e32 v101, s14
	ds_read_b64 v[104:105], v101
	v_add_u32_e32 v100, -1, v100
	s_add_i32 s14, s14, 8
	v_cmp_eq_u32_e32 vcc, 0, v100
	v_add_u32_e32 v99, 8, v99
	s_or_b64 s[6:7], vcc, s[6:7]
	s_waitcnt vmcnt(0) lgkmcnt(0)
	v_fmac_f64_e32 v[80:81], v[102:103], v[104:105]
	s_andn2_b64 exec, exec, s[6:7]
	s_cbranch_execnz .LBB102_223
; %bb.224:
	s_or_b64 exec, exec, s[6:7]
.LBB102_225:
	s_or_b64 exec, exec, s[12:13]
	v_mov_b32_e32 v99, 0
	ds_read_b64 v[100:101], v99 offset:120
	s_waitcnt lgkmcnt(0)
	v_mul_f64 v[80:81], v[80:81], v[100:101]
	buffer_store_dword v81, off, s[0:3], 0 offset:124
	buffer_store_dword v80, off, s[0:3], 0 offset:120
.LBB102_226:
	s_or_b64 exec, exec, s[10:11]
	buffer_load_dword v80, off, s[0:3], 0 offset:112
	buffer_load_dword v81, off, s[0:3], 0 offset:116
	v_cmp_lt_u32_e64 s[6:7], 14, v0
	s_waitcnt vmcnt(0)
	ds_write_b64 v82, v[80:81]
	s_waitcnt lgkmcnt(0)
	; wave barrier
	s_waitcnt lgkmcnt(0)
	s_and_saveexec_b64 s[10:11], s[6:7]
	s_cbranch_execz .LBB102_236
; %bb.227:
	s_andn2_b64 vcc, exec, s[8:9]
	s_cbranch_vccnz .LBB102_229
; %bb.228:
	buffer_load_dword v80, v83, s[0:3], 0 offen
	buffer_load_dword v81, v83, s[0:3], 0 offen offset:4
	ds_read_b64 v[100:101], v82
	s_waitcnt vmcnt(0) lgkmcnt(0)
	v_mul_f64 v[80:81], v[80:81], v[100:101]
	s_cbranch_execz .LBB102_230
	s_branch .LBB102_231
.LBB102_229:
                                        ; implicit-def: $vgpr80_vgpr81
.LBB102_230:
	ds_read_b64 v[80:81], v82
.LBB102_231:
	s_and_saveexec_b64 s[12:13], s[4:5]
	s_cbranch_execz .LBB102_235
; %bb.232:
	v_add_u32_e32 v99, -15, v0
	s_movk_i32 s14, 0x1b8
	s_mov_b64 s[4:5], 0
.LBB102_233:                            ; =>This Inner Loop Header: Depth=1
	buffer_load_dword v100, v98, s[0:3], 0 offen
	buffer_load_dword v101, v98, s[0:3], 0 offen offset:4
	v_mov_b32_e32 v102, s14
	ds_read_b64 v[102:103], v102
	v_add_u32_e32 v99, -1, v99
	s_add_i32 s14, s14, 8
	v_cmp_eq_u32_e32 vcc, 0, v99
	v_add_u32_e32 v98, 8, v98
	s_or_b64 s[4:5], vcc, s[4:5]
	s_waitcnt vmcnt(0) lgkmcnt(0)
	v_fmac_f64_e32 v[80:81], v[100:101], v[102:103]
	s_andn2_b64 exec, exec, s[4:5]
	s_cbranch_execnz .LBB102_233
; %bb.234:
	s_or_b64 exec, exec, s[4:5]
.LBB102_235:
	s_or_b64 exec, exec, s[12:13]
	v_mov_b32_e32 v98, 0
	ds_read_b64 v[98:99], v98 offset:112
	s_waitcnt lgkmcnt(0)
	v_mul_f64 v[80:81], v[80:81], v[98:99]
	buffer_store_dword v81, off, s[0:3], 0 offset:116
	buffer_store_dword v80, off, s[0:3], 0 offset:112
.LBB102_236:
	s_or_b64 exec, exec, s[10:11]
	buffer_load_dword v80, off, s[0:3], 0 offset:104
	buffer_load_dword v81, off, s[0:3], 0 offset:108
	v_cmp_lt_u32_e64 s[4:5], 13, v0
	s_waitcnt vmcnt(0)
	ds_write_b64 v82, v[80:81]
	s_waitcnt lgkmcnt(0)
	; wave barrier
	s_waitcnt lgkmcnt(0)
	s_and_saveexec_b64 s[10:11], s[4:5]
	s_cbranch_execz .LBB102_246
; %bb.237:
	s_andn2_b64 vcc, exec, s[8:9]
	s_cbranch_vccnz .LBB102_239
; %bb.238:
	buffer_load_dword v80, v83, s[0:3], 0 offen
	buffer_load_dword v81, v83, s[0:3], 0 offen offset:4
	ds_read_b64 v[98:99], v82
	s_waitcnt vmcnt(0) lgkmcnt(0)
	v_mul_f64 v[80:81], v[80:81], v[98:99]
	s_cbranch_execz .LBB102_240
	s_branch .LBB102_241
.LBB102_239:
                                        ; implicit-def: $vgpr80_vgpr81
.LBB102_240:
	ds_read_b64 v[80:81], v82
.LBB102_241:
	s_and_saveexec_b64 s[12:13], s[6:7]
	s_cbranch_execz .LBB102_245
; %bb.242:
	v_add_u32_e32 v98, -14, v0
	s_movk_i32 s14, 0x1b0
	s_mov_b64 s[6:7], 0
.LBB102_243:                            ; =>This Inner Loop Header: Depth=1
	buffer_load_dword v100, v97, s[0:3], 0 offen
	buffer_load_dword v101, v97, s[0:3], 0 offen offset:4
	v_mov_b32_e32 v99, s14
	ds_read_b64 v[102:103], v99
	v_add_u32_e32 v98, -1, v98
	s_add_i32 s14, s14, 8
	v_cmp_eq_u32_e32 vcc, 0, v98
	v_add_u32_e32 v97, 8, v97
	s_or_b64 s[6:7], vcc, s[6:7]
	s_waitcnt vmcnt(0) lgkmcnt(0)
	v_fmac_f64_e32 v[80:81], v[100:101], v[102:103]
	s_andn2_b64 exec, exec, s[6:7]
	s_cbranch_execnz .LBB102_243
; %bb.244:
	s_or_b64 exec, exec, s[6:7]
.LBB102_245:
	s_or_b64 exec, exec, s[12:13]
	v_mov_b32_e32 v97, 0
	ds_read_b64 v[98:99], v97 offset:104
	s_waitcnt lgkmcnt(0)
	v_mul_f64 v[80:81], v[80:81], v[98:99]
	buffer_store_dword v81, off, s[0:3], 0 offset:108
	buffer_store_dword v80, off, s[0:3], 0 offset:104
.LBB102_246:
	s_or_b64 exec, exec, s[10:11]
	buffer_load_dword v80, off, s[0:3], 0 offset:96
	buffer_load_dword v81, off, s[0:3], 0 offset:100
	v_cmp_lt_u32_e64 s[6:7], 12, v0
	s_waitcnt vmcnt(0)
	ds_write_b64 v82, v[80:81]
	s_waitcnt lgkmcnt(0)
	; wave barrier
	s_waitcnt lgkmcnt(0)
	s_and_saveexec_b64 s[10:11], s[6:7]
	s_cbranch_execz .LBB102_256
; %bb.247:
	s_andn2_b64 vcc, exec, s[8:9]
	s_cbranch_vccnz .LBB102_249
; %bb.248:
	buffer_load_dword v80, v83, s[0:3], 0 offen
	buffer_load_dword v81, v83, s[0:3], 0 offen offset:4
	ds_read_b64 v[98:99], v82
	s_waitcnt vmcnt(0) lgkmcnt(0)
	v_mul_f64 v[80:81], v[80:81], v[98:99]
	s_cbranch_execz .LBB102_250
	s_branch .LBB102_251
.LBB102_249:
                                        ; implicit-def: $vgpr80_vgpr81
.LBB102_250:
	ds_read_b64 v[80:81], v82
.LBB102_251:
	s_and_saveexec_b64 s[12:13], s[4:5]
	s_cbranch_execz .LBB102_255
; %bb.252:
	v_add_u32_e32 v97, -13, v0
	s_movk_i32 s14, 0x1a8
	s_mov_b64 s[4:5], 0
.LBB102_253:                            ; =>This Inner Loop Header: Depth=1
	buffer_load_dword v98, v96, s[0:3], 0 offen
	buffer_load_dword v99, v96, s[0:3], 0 offen offset:4
	v_mov_b32_e32 v100, s14
	ds_read_b64 v[100:101], v100
	v_add_u32_e32 v97, -1, v97
	s_add_i32 s14, s14, 8
	v_cmp_eq_u32_e32 vcc, 0, v97
	v_add_u32_e32 v96, 8, v96
	s_or_b64 s[4:5], vcc, s[4:5]
	s_waitcnt vmcnt(0) lgkmcnt(0)
	v_fmac_f64_e32 v[80:81], v[98:99], v[100:101]
	s_andn2_b64 exec, exec, s[4:5]
	s_cbranch_execnz .LBB102_253
; %bb.254:
	s_or_b64 exec, exec, s[4:5]
.LBB102_255:
	s_or_b64 exec, exec, s[12:13]
	v_mov_b32_e32 v96, 0
	ds_read_b64 v[96:97], v96 offset:96
	s_waitcnt lgkmcnt(0)
	v_mul_f64 v[80:81], v[80:81], v[96:97]
	buffer_store_dword v81, off, s[0:3], 0 offset:100
	buffer_store_dword v80, off, s[0:3], 0 offset:96
.LBB102_256:
	s_or_b64 exec, exec, s[10:11]
	buffer_load_dword v80, off, s[0:3], 0 offset:88
	buffer_load_dword v81, off, s[0:3], 0 offset:92
	v_cmp_lt_u32_e64 s[4:5], 11, v0
	s_waitcnt vmcnt(0)
	ds_write_b64 v82, v[80:81]
	s_waitcnt lgkmcnt(0)
	; wave barrier
	s_waitcnt lgkmcnt(0)
	s_and_saveexec_b64 s[10:11], s[4:5]
	s_cbranch_execz .LBB102_266
; %bb.257:
	s_andn2_b64 vcc, exec, s[8:9]
	s_cbranch_vccnz .LBB102_259
; %bb.258:
	buffer_load_dword v80, v83, s[0:3], 0 offen
	buffer_load_dword v81, v83, s[0:3], 0 offen offset:4
	ds_read_b64 v[96:97], v82
	s_waitcnt vmcnt(0) lgkmcnt(0)
	v_mul_f64 v[80:81], v[80:81], v[96:97]
	s_cbranch_execz .LBB102_260
	s_branch .LBB102_261
.LBB102_259:
                                        ; implicit-def: $vgpr80_vgpr81
.LBB102_260:
	ds_read_b64 v[80:81], v82
.LBB102_261:
	s_and_saveexec_b64 s[12:13], s[6:7]
	s_cbranch_execz .LBB102_265
; %bb.262:
	v_add_u32_e32 v96, -12, v0
	s_movk_i32 s14, 0x1a0
	s_mov_b64 s[6:7], 0
.LBB102_263:                            ; =>This Inner Loop Header: Depth=1
	buffer_load_dword v98, v95, s[0:3], 0 offen
	buffer_load_dword v99, v95, s[0:3], 0 offen offset:4
	v_mov_b32_e32 v97, s14
	ds_read_b64 v[100:101], v97
	v_add_u32_e32 v96, -1, v96
	s_add_i32 s14, s14, 8
	v_cmp_eq_u32_e32 vcc, 0, v96
	v_add_u32_e32 v95, 8, v95
	s_or_b64 s[6:7], vcc, s[6:7]
	s_waitcnt vmcnt(0) lgkmcnt(0)
	v_fmac_f64_e32 v[80:81], v[98:99], v[100:101]
	s_andn2_b64 exec, exec, s[6:7]
	s_cbranch_execnz .LBB102_263
; %bb.264:
	s_or_b64 exec, exec, s[6:7]
.LBB102_265:
	s_or_b64 exec, exec, s[12:13]
	v_mov_b32_e32 v95, 0
	ds_read_b64 v[96:97], v95 offset:88
	s_waitcnt lgkmcnt(0)
	v_mul_f64 v[80:81], v[80:81], v[96:97]
	buffer_store_dword v81, off, s[0:3], 0 offset:92
	buffer_store_dword v80, off, s[0:3], 0 offset:88
.LBB102_266:
	s_or_b64 exec, exec, s[10:11]
	buffer_load_dword v80, off, s[0:3], 0 offset:80
	buffer_load_dword v81, off, s[0:3], 0 offset:84
	v_cmp_lt_u32_e64 s[6:7], 10, v0
	s_waitcnt vmcnt(0)
	ds_write_b64 v82, v[80:81]
	s_waitcnt lgkmcnt(0)
	; wave barrier
	s_waitcnt lgkmcnt(0)
	s_and_saveexec_b64 s[10:11], s[6:7]
	s_cbranch_execz .LBB102_276
; %bb.267:
	s_andn2_b64 vcc, exec, s[8:9]
	s_cbranch_vccnz .LBB102_269
; %bb.268:
	buffer_load_dword v80, v83, s[0:3], 0 offen
	buffer_load_dword v81, v83, s[0:3], 0 offen offset:4
	ds_read_b64 v[96:97], v82
	s_waitcnt vmcnt(0) lgkmcnt(0)
	v_mul_f64 v[80:81], v[80:81], v[96:97]
	s_cbranch_execz .LBB102_270
	s_branch .LBB102_271
.LBB102_269:
                                        ; implicit-def: $vgpr80_vgpr81
.LBB102_270:
	ds_read_b64 v[80:81], v82
.LBB102_271:
	s_and_saveexec_b64 s[12:13], s[4:5]
	s_cbranch_execz .LBB102_275
; %bb.272:
	v_add_u32_e32 v95, -11, v0
	s_movk_i32 s14, 0x198
	s_mov_b64 s[4:5], 0
.LBB102_273:                            ; =>This Inner Loop Header: Depth=1
	buffer_load_dword v96, v94, s[0:3], 0 offen
	buffer_load_dword v97, v94, s[0:3], 0 offen offset:4
	v_mov_b32_e32 v98, s14
	ds_read_b64 v[98:99], v98
	v_add_u32_e32 v95, -1, v95
	s_add_i32 s14, s14, 8
	v_cmp_eq_u32_e32 vcc, 0, v95
	v_add_u32_e32 v94, 8, v94
	s_or_b64 s[4:5], vcc, s[4:5]
	s_waitcnt vmcnt(0) lgkmcnt(0)
	v_fmac_f64_e32 v[80:81], v[96:97], v[98:99]
	s_andn2_b64 exec, exec, s[4:5]
	s_cbranch_execnz .LBB102_273
; %bb.274:
	s_or_b64 exec, exec, s[4:5]
.LBB102_275:
	s_or_b64 exec, exec, s[12:13]
	v_mov_b32_e32 v94, 0
	ds_read_b64 v[94:95], v94 offset:80
	s_waitcnt lgkmcnt(0)
	v_mul_f64 v[80:81], v[80:81], v[94:95]
	buffer_store_dword v81, off, s[0:3], 0 offset:84
	buffer_store_dword v80, off, s[0:3], 0 offset:80
.LBB102_276:
	s_or_b64 exec, exec, s[10:11]
	buffer_load_dword v80, off, s[0:3], 0 offset:72
	buffer_load_dword v81, off, s[0:3], 0 offset:76
	v_cmp_lt_u32_e64 s[4:5], 9, v0
	s_waitcnt vmcnt(0)
	ds_write_b64 v82, v[80:81]
	s_waitcnt lgkmcnt(0)
	; wave barrier
	s_waitcnt lgkmcnt(0)
	s_and_saveexec_b64 s[10:11], s[4:5]
	s_cbranch_execz .LBB102_286
; %bb.277:
	s_andn2_b64 vcc, exec, s[8:9]
	s_cbranch_vccnz .LBB102_279
; %bb.278:
	buffer_load_dword v80, v83, s[0:3], 0 offen
	buffer_load_dword v81, v83, s[0:3], 0 offen offset:4
	ds_read_b64 v[94:95], v82
	s_waitcnt vmcnt(0) lgkmcnt(0)
	v_mul_f64 v[80:81], v[80:81], v[94:95]
	s_cbranch_execz .LBB102_280
	s_branch .LBB102_281
.LBB102_279:
                                        ; implicit-def: $vgpr80_vgpr81
.LBB102_280:
	ds_read_b64 v[80:81], v82
.LBB102_281:
	s_and_saveexec_b64 s[12:13], s[6:7]
	s_cbranch_execz .LBB102_285
; %bb.282:
	v_add_u32_e32 v94, -10, v0
	s_movk_i32 s14, 0x190
	s_mov_b64 s[6:7], 0
.LBB102_283:                            ; =>This Inner Loop Header: Depth=1
	buffer_load_dword v96, v93, s[0:3], 0 offen
	buffer_load_dword v97, v93, s[0:3], 0 offen offset:4
	v_mov_b32_e32 v95, s14
	ds_read_b64 v[98:99], v95
	v_add_u32_e32 v94, -1, v94
	s_add_i32 s14, s14, 8
	v_cmp_eq_u32_e32 vcc, 0, v94
	v_add_u32_e32 v93, 8, v93
	s_or_b64 s[6:7], vcc, s[6:7]
	s_waitcnt vmcnt(0) lgkmcnt(0)
	v_fmac_f64_e32 v[80:81], v[96:97], v[98:99]
	s_andn2_b64 exec, exec, s[6:7]
	s_cbranch_execnz .LBB102_283
; %bb.284:
	s_or_b64 exec, exec, s[6:7]
.LBB102_285:
	s_or_b64 exec, exec, s[12:13]
	v_mov_b32_e32 v93, 0
	ds_read_b64 v[94:95], v93 offset:72
	s_waitcnt lgkmcnt(0)
	v_mul_f64 v[80:81], v[80:81], v[94:95]
	buffer_store_dword v81, off, s[0:3], 0 offset:76
	buffer_store_dword v80, off, s[0:3], 0 offset:72
.LBB102_286:
	s_or_b64 exec, exec, s[10:11]
	buffer_load_dword v80, off, s[0:3], 0 offset:64
	buffer_load_dword v81, off, s[0:3], 0 offset:68
	v_cmp_lt_u32_e64 s[6:7], 8, v0
	s_waitcnt vmcnt(0)
	ds_write_b64 v82, v[80:81]
	s_waitcnt lgkmcnt(0)
	; wave barrier
	s_waitcnt lgkmcnt(0)
	s_and_saveexec_b64 s[10:11], s[6:7]
	s_cbranch_execz .LBB102_296
; %bb.287:
	s_andn2_b64 vcc, exec, s[8:9]
	s_cbranch_vccnz .LBB102_289
; %bb.288:
	buffer_load_dword v80, v83, s[0:3], 0 offen
	buffer_load_dword v81, v83, s[0:3], 0 offen offset:4
	ds_read_b64 v[94:95], v82
	s_waitcnt vmcnt(0) lgkmcnt(0)
	v_mul_f64 v[80:81], v[80:81], v[94:95]
	s_cbranch_execz .LBB102_290
	s_branch .LBB102_291
.LBB102_289:
                                        ; implicit-def: $vgpr80_vgpr81
.LBB102_290:
	ds_read_b64 v[80:81], v82
.LBB102_291:
	s_and_saveexec_b64 s[12:13], s[4:5]
	s_cbranch_execz .LBB102_295
; %bb.292:
	v_add_u32_e32 v93, -9, v0
	s_movk_i32 s14, 0x188
	s_mov_b64 s[4:5], 0
.LBB102_293:                            ; =>This Inner Loop Header: Depth=1
	buffer_load_dword v94, v92, s[0:3], 0 offen
	buffer_load_dword v95, v92, s[0:3], 0 offen offset:4
	v_mov_b32_e32 v96, s14
	ds_read_b64 v[96:97], v96
	v_add_u32_e32 v93, -1, v93
	s_add_i32 s14, s14, 8
	v_cmp_eq_u32_e32 vcc, 0, v93
	v_add_u32_e32 v92, 8, v92
	s_or_b64 s[4:5], vcc, s[4:5]
	s_waitcnt vmcnt(0) lgkmcnt(0)
	v_fmac_f64_e32 v[80:81], v[94:95], v[96:97]
	s_andn2_b64 exec, exec, s[4:5]
	s_cbranch_execnz .LBB102_293
; %bb.294:
	s_or_b64 exec, exec, s[4:5]
.LBB102_295:
	s_or_b64 exec, exec, s[12:13]
	v_mov_b32_e32 v92, 0
	ds_read_b64 v[92:93], v92 offset:64
	s_waitcnt lgkmcnt(0)
	v_mul_f64 v[80:81], v[80:81], v[92:93]
	buffer_store_dword v81, off, s[0:3], 0 offset:68
	buffer_store_dword v80, off, s[0:3], 0 offset:64
.LBB102_296:
	s_or_b64 exec, exec, s[10:11]
	buffer_load_dword v80, off, s[0:3], 0 offset:56
	buffer_load_dword v81, off, s[0:3], 0 offset:60
	v_cmp_lt_u32_e64 s[4:5], 7, v0
	s_waitcnt vmcnt(0)
	ds_write_b64 v82, v[80:81]
	s_waitcnt lgkmcnt(0)
	; wave barrier
	s_waitcnt lgkmcnt(0)
	s_and_saveexec_b64 s[10:11], s[4:5]
	s_cbranch_execz .LBB102_306
; %bb.297:
	s_andn2_b64 vcc, exec, s[8:9]
	s_cbranch_vccnz .LBB102_299
; %bb.298:
	buffer_load_dword v80, v83, s[0:3], 0 offen
	buffer_load_dword v81, v83, s[0:3], 0 offen offset:4
	ds_read_b64 v[92:93], v82
	s_waitcnt vmcnt(0) lgkmcnt(0)
	v_mul_f64 v[80:81], v[80:81], v[92:93]
	s_cbranch_execz .LBB102_300
	s_branch .LBB102_301
.LBB102_299:
                                        ; implicit-def: $vgpr80_vgpr81
.LBB102_300:
	ds_read_b64 v[80:81], v82
.LBB102_301:
	s_and_saveexec_b64 s[12:13], s[6:7]
	s_cbranch_execz .LBB102_305
; %bb.302:
	v_add_u32_e32 v92, -8, v0
	s_movk_i32 s14, 0x180
	s_mov_b64 s[6:7], 0
.LBB102_303:                            ; =>This Inner Loop Header: Depth=1
	buffer_load_dword v94, v91, s[0:3], 0 offen
	buffer_load_dword v95, v91, s[0:3], 0 offen offset:4
	v_mov_b32_e32 v93, s14
	ds_read_b64 v[96:97], v93
	v_add_u32_e32 v92, -1, v92
	s_add_i32 s14, s14, 8
	v_cmp_eq_u32_e32 vcc, 0, v92
	v_add_u32_e32 v91, 8, v91
	s_or_b64 s[6:7], vcc, s[6:7]
	s_waitcnt vmcnt(0) lgkmcnt(0)
	v_fmac_f64_e32 v[80:81], v[94:95], v[96:97]
	s_andn2_b64 exec, exec, s[6:7]
	s_cbranch_execnz .LBB102_303
; %bb.304:
	s_or_b64 exec, exec, s[6:7]
.LBB102_305:
	s_or_b64 exec, exec, s[12:13]
	v_mov_b32_e32 v91, 0
	ds_read_b64 v[92:93], v91 offset:56
	s_waitcnt lgkmcnt(0)
	v_mul_f64 v[80:81], v[80:81], v[92:93]
	buffer_store_dword v81, off, s[0:3], 0 offset:60
	buffer_store_dword v80, off, s[0:3], 0 offset:56
.LBB102_306:
	s_or_b64 exec, exec, s[10:11]
	buffer_load_dword v80, off, s[0:3], 0 offset:48
	buffer_load_dword v81, off, s[0:3], 0 offset:52
	v_cmp_lt_u32_e64 s[6:7], 6, v0
	s_waitcnt vmcnt(0)
	ds_write_b64 v82, v[80:81]
	s_waitcnt lgkmcnt(0)
	; wave barrier
	s_waitcnt lgkmcnt(0)
	s_and_saveexec_b64 s[10:11], s[6:7]
	s_cbranch_execz .LBB102_316
; %bb.307:
	s_andn2_b64 vcc, exec, s[8:9]
	s_cbranch_vccnz .LBB102_309
; %bb.308:
	buffer_load_dword v80, v83, s[0:3], 0 offen
	buffer_load_dword v81, v83, s[0:3], 0 offen offset:4
	ds_read_b64 v[92:93], v82
	s_waitcnt vmcnt(0) lgkmcnt(0)
	v_mul_f64 v[80:81], v[80:81], v[92:93]
	s_cbranch_execz .LBB102_310
	s_branch .LBB102_311
.LBB102_309:
                                        ; implicit-def: $vgpr80_vgpr81
.LBB102_310:
	ds_read_b64 v[80:81], v82
.LBB102_311:
	s_and_saveexec_b64 s[12:13], s[4:5]
	s_cbranch_execz .LBB102_315
; %bb.312:
	v_add_u32_e32 v91, -7, v0
	s_movk_i32 s14, 0x178
	s_mov_b64 s[4:5], 0
.LBB102_313:                            ; =>This Inner Loop Header: Depth=1
	buffer_load_dword v92, v90, s[0:3], 0 offen
	buffer_load_dword v93, v90, s[0:3], 0 offen offset:4
	v_mov_b32_e32 v94, s14
	ds_read_b64 v[94:95], v94
	v_add_u32_e32 v91, -1, v91
	s_add_i32 s14, s14, 8
	v_cmp_eq_u32_e32 vcc, 0, v91
	v_add_u32_e32 v90, 8, v90
	s_or_b64 s[4:5], vcc, s[4:5]
	s_waitcnt vmcnt(0) lgkmcnt(0)
	v_fmac_f64_e32 v[80:81], v[92:93], v[94:95]
	s_andn2_b64 exec, exec, s[4:5]
	s_cbranch_execnz .LBB102_313
; %bb.314:
	s_or_b64 exec, exec, s[4:5]
.LBB102_315:
	s_or_b64 exec, exec, s[12:13]
	v_mov_b32_e32 v90, 0
	ds_read_b64 v[90:91], v90 offset:48
	s_waitcnt lgkmcnt(0)
	v_mul_f64 v[80:81], v[80:81], v[90:91]
	buffer_store_dword v81, off, s[0:3], 0 offset:52
	buffer_store_dword v80, off, s[0:3], 0 offset:48
.LBB102_316:
	s_or_b64 exec, exec, s[10:11]
	buffer_load_dword v80, off, s[0:3], 0 offset:40
	buffer_load_dword v81, off, s[0:3], 0 offset:44
	v_cmp_lt_u32_e64 s[4:5], 5, v0
	s_waitcnt vmcnt(0)
	ds_write_b64 v82, v[80:81]
	s_waitcnt lgkmcnt(0)
	; wave barrier
	s_waitcnt lgkmcnt(0)
	s_and_saveexec_b64 s[10:11], s[4:5]
	s_cbranch_execz .LBB102_326
; %bb.317:
	s_andn2_b64 vcc, exec, s[8:9]
	s_cbranch_vccnz .LBB102_319
; %bb.318:
	buffer_load_dword v80, v83, s[0:3], 0 offen
	buffer_load_dword v81, v83, s[0:3], 0 offen offset:4
	ds_read_b64 v[90:91], v82
	s_waitcnt vmcnt(0) lgkmcnt(0)
	v_mul_f64 v[80:81], v[80:81], v[90:91]
	s_cbranch_execz .LBB102_320
	s_branch .LBB102_321
.LBB102_319:
                                        ; implicit-def: $vgpr80_vgpr81
.LBB102_320:
	ds_read_b64 v[80:81], v82
.LBB102_321:
	s_and_saveexec_b64 s[12:13], s[6:7]
	s_cbranch_execz .LBB102_325
; %bb.322:
	v_add_u32_e32 v90, -6, v0
	s_movk_i32 s14, 0x170
	s_mov_b64 s[6:7], 0
.LBB102_323:                            ; =>This Inner Loop Header: Depth=1
	buffer_load_dword v92, v89, s[0:3], 0 offen
	buffer_load_dword v93, v89, s[0:3], 0 offen offset:4
	v_mov_b32_e32 v91, s14
	ds_read_b64 v[94:95], v91
	v_add_u32_e32 v90, -1, v90
	s_add_i32 s14, s14, 8
	v_cmp_eq_u32_e32 vcc, 0, v90
	v_add_u32_e32 v89, 8, v89
	s_or_b64 s[6:7], vcc, s[6:7]
	s_waitcnt vmcnt(0) lgkmcnt(0)
	v_fmac_f64_e32 v[80:81], v[92:93], v[94:95]
	s_andn2_b64 exec, exec, s[6:7]
	s_cbranch_execnz .LBB102_323
; %bb.324:
	s_or_b64 exec, exec, s[6:7]
.LBB102_325:
	s_or_b64 exec, exec, s[12:13]
	v_mov_b32_e32 v89, 0
	ds_read_b64 v[90:91], v89 offset:40
	s_waitcnt lgkmcnt(0)
	v_mul_f64 v[80:81], v[80:81], v[90:91]
	buffer_store_dword v81, off, s[0:3], 0 offset:44
	buffer_store_dword v80, off, s[0:3], 0 offset:40
.LBB102_326:
	s_or_b64 exec, exec, s[10:11]
	buffer_load_dword v80, off, s[0:3], 0 offset:32
	buffer_load_dword v81, off, s[0:3], 0 offset:36
	v_cmp_lt_u32_e64 s[6:7], 4, v0
	s_waitcnt vmcnt(0)
	ds_write_b64 v82, v[80:81]
	s_waitcnt lgkmcnt(0)
	; wave barrier
	s_waitcnt lgkmcnt(0)
	s_and_saveexec_b64 s[10:11], s[6:7]
	s_cbranch_execz .LBB102_336
; %bb.327:
	s_andn2_b64 vcc, exec, s[8:9]
	s_cbranch_vccnz .LBB102_329
; %bb.328:
	buffer_load_dword v80, v83, s[0:3], 0 offen
	buffer_load_dword v81, v83, s[0:3], 0 offen offset:4
	ds_read_b64 v[90:91], v82
	s_waitcnt vmcnt(0) lgkmcnt(0)
	v_mul_f64 v[80:81], v[80:81], v[90:91]
	s_cbranch_execz .LBB102_330
	s_branch .LBB102_331
.LBB102_329:
                                        ; implicit-def: $vgpr80_vgpr81
.LBB102_330:
	ds_read_b64 v[80:81], v82
.LBB102_331:
	s_and_saveexec_b64 s[12:13], s[4:5]
	s_cbranch_execz .LBB102_335
; %bb.332:
	v_add_u32_e32 v89, -5, v0
	s_movk_i32 s14, 0x168
	s_mov_b64 s[4:5], 0
.LBB102_333:                            ; =>This Inner Loop Header: Depth=1
	buffer_load_dword v90, v88, s[0:3], 0 offen
	buffer_load_dword v91, v88, s[0:3], 0 offen offset:4
	v_mov_b32_e32 v92, s14
	ds_read_b64 v[92:93], v92
	v_add_u32_e32 v89, -1, v89
	s_add_i32 s14, s14, 8
	v_cmp_eq_u32_e32 vcc, 0, v89
	v_add_u32_e32 v88, 8, v88
	s_or_b64 s[4:5], vcc, s[4:5]
	s_waitcnt vmcnt(0) lgkmcnt(0)
	v_fmac_f64_e32 v[80:81], v[90:91], v[92:93]
	s_andn2_b64 exec, exec, s[4:5]
	s_cbranch_execnz .LBB102_333
; %bb.334:
	s_or_b64 exec, exec, s[4:5]
.LBB102_335:
	s_or_b64 exec, exec, s[12:13]
	v_mov_b32_e32 v88, 0
	ds_read_b64 v[88:89], v88 offset:32
	s_waitcnt lgkmcnt(0)
	v_mul_f64 v[80:81], v[80:81], v[88:89]
	buffer_store_dword v81, off, s[0:3], 0 offset:36
	buffer_store_dword v80, off, s[0:3], 0 offset:32
.LBB102_336:
	s_or_b64 exec, exec, s[10:11]
	buffer_load_dword v80, off, s[0:3], 0 offset:24
	buffer_load_dword v81, off, s[0:3], 0 offset:28
	v_cmp_lt_u32_e64 s[4:5], 3, v0
	s_waitcnt vmcnt(0)
	ds_write_b64 v82, v[80:81]
	s_waitcnt lgkmcnt(0)
	; wave barrier
	s_waitcnt lgkmcnt(0)
	s_and_saveexec_b64 s[10:11], s[4:5]
	s_cbranch_execz .LBB102_346
; %bb.337:
	s_andn2_b64 vcc, exec, s[8:9]
	s_cbranch_vccnz .LBB102_339
; %bb.338:
	buffer_load_dword v80, v83, s[0:3], 0 offen
	buffer_load_dword v81, v83, s[0:3], 0 offen offset:4
	ds_read_b64 v[88:89], v82
	s_waitcnt vmcnt(0) lgkmcnt(0)
	v_mul_f64 v[80:81], v[80:81], v[88:89]
	s_cbranch_execz .LBB102_340
	s_branch .LBB102_341
.LBB102_339:
                                        ; implicit-def: $vgpr80_vgpr81
.LBB102_340:
	ds_read_b64 v[80:81], v82
.LBB102_341:
	s_and_saveexec_b64 s[12:13], s[6:7]
	s_cbranch_execz .LBB102_345
; %bb.342:
	v_add_u32_e32 v88, -4, v0
	s_movk_i32 s14, 0x160
	s_mov_b64 s[6:7], 0
.LBB102_343:                            ; =>This Inner Loop Header: Depth=1
	buffer_load_dword v90, v87, s[0:3], 0 offen
	buffer_load_dword v91, v87, s[0:3], 0 offen offset:4
	v_mov_b32_e32 v89, s14
	ds_read_b64 v[92:93], v89
	v_add_u32_e32 v88, -1, v88
	s_add_i32 s14, s14, 8
	v_cmp_eq_u32_e32 vcc, 0, v88
	v_add_u32_e32 v87, 8, v87
	s_or_b64 s[6:7], vcc, s[6:7]
	s_waitcnt vmcnt(0) lgkmcnt(0)
	v_fmac_f64_e32 v[80:81], v[90:91], v[92:93]
	s_andn2_b64 exec, exec, s[6:7]
	s_cbranch_execnz .LBB102_343
; %bb.344:
	s_or_b64 exec, exec, s[6:7]
.LBB102_345:
	s_or_b64 exec, exec, s[12:13]
	v_mov_b32_e32 v87, 0
	ds_read_b64 v[88:89], v87 offset:24
	s_waitcnt lgkmcnt(0)
	v_mul_f64 v[80:81], v[80:81], v[88:89]
	buffer_store_dword v81, off, s[0:3], 0 offset:28
	buffer_store_dword v80, off, s[0:3], 0 offset:24
.LBB102_346:
	s_or_b64 exec, exec, s[10:11]
	buffer_load_dword v80, off, s[0:3], 0 offset:16
	buffer_load_dword v81, off, s[0:3], 0 offset:20
	v_cmp_lt_u32_e64 s[6:7], 2, v0
	s_waitcnt vmcnt(0)
	ds_write_b64 v82, v[80:81]
	s_waitcnt lgkmcnt(0)
	; wave barrier
	s_waitcnt lgkmcnt(0)
	s_and_saveexec_b64 s[10:11], s[6:7]
	s_cbranch_execz .LBB102_356
; %bb.347:
	s_andn2_b64 vcc, exec, s[8:9]
	s_cbranch_vccnz .LBB102_349
; %bb.348:
	buffer_load_dword v80, v83, s[0:3], 0 offen
	buffer_load_dword v81, v83, s[0:3], 0 offen offset:4
	ds_read_b64 v[88:89], v82
	s_waitcnt vmcnt(0) lgkmcnt(0)
	v_mul_f64 v[80:81], v[80:81], v[88:89]
	s_cbranch_execz .LBB102_350
	s_branch .LBB102_351
.LBB102_349:
                                        ; implicit-def: $vgpr80_vgpr81
.LBB102_350:
	ds_read_b64 v[80:81], v82
.LBB102_351:
	s_and_saveexec_b64 s[12:13], s[4:5]
	s_cbranch_execz .LBB102_355
; %bb.352:
	v_add_u32_e32 v87, -3, v0
	s_movk_i32 s14, 0x158
	s_mov_b64 s[4:5], 0
.LBB102_353:                            ; =>This Inner Loop Header: Depth=1
	buffer_load_dword v88, v86, s[0:3], 0 offen
	buffer_load_dword v89, v86, s[0:3], 0 offen offset:4
	v_mov_b32_e32 v90, s14
	ds_read_b64 v[90:91], v90
	v_add_u32_e32 v87, -1, v87
	s_add_i32 s14, s14, 8
	v_cmp_eq_u32_e32 vcc, 0, v87
	v_add_u32_e32 v86, 8, v86
	s_or_b64 s[4:5], vcc, s[4:5]
	s_waitcnt vmcnt(0) lgkmcnt(0)
	v_fmac_f64_e32 v[80:81], v[88:89], v[90:91]
	s_andn2_b64 exec, exec, s[4:5]
	s_cbranch_execnz .LBB102_353
; %bb.354:
	s_or_b64 exec, exec, s[4:5]
.LBB102_355:
	s_or_b64 exec, exec, s[12:13]
	v_mov_b32_e32 v86, 0
	ds_read_b64 v[86:87], v86 offset:16
	s_waitcnt lgkmcnt(0)
	v_mul_f64 v[80:81], v[80:81], v[86:87]
	buffer_store_dword v81, off, s[0:3], 0 offset:20
	buffer_store_dword v80, off, s[0:3], 0 offset:16
.LBB102_356:
	s_or_b64 exec, exec, s[10:11]
	buffer_load_dword v80, off, s[0:3], 0 offset:8
	buffer_load_dword v81, off, s[0:3], 0 offset:12
	v_cmp_lt_u32_e64 s[4:5], 1, v0
	s_waitcnt vmcnt(0)
	ds_write_b64 v82, v[80:81]
	s_waitcnt lgkmcnt(0)
	; wave barrier
	s_waitcnt lgkmcnt(0)
	s_and_saveexec_b64 s[10:11], s[4:5]
	s_cbranch_execz .LBB102_366
; %bb.357:
	s_andn2_b64 vcc, exec, s[8:9]
	s_cbranch_vccnz .LBB102_359
; %bb.358:
	buffer_load_dword v80, v83, s[0:3], 0 offen
	buffer_load_dword v81, v83, s[0:3], 0 offen offset:4
	ds_read_b64 v[86:87], v82
	s_waitcnt vmcnt(0) lgkmcnt(0)
	v_mul_f64 v[80:81], v[80:81], v[86:87]
	s_cbranch_execz .LBB102_360
	s_branch .LBB102_361
.LBB102_359:
                                        ; implicit-def: $vgpr80_vgpr81
.LBB102_360:
	ds_read_b64 v[80:81], v82
.LBB102_361:
	s_and_saveexec_b64 s[12:13], s[6:7]
	s_cbranch_execz .LBB102_365
; %bb.362:
	v_add_u32_e32 v86, -2, v0
	s_movk_i32 s14, 0x150
	s_mov_b64 s[6:7], 0
.LBB102_363:                            ; =>This Inner Loop Header: Depth=1
	buffer_load_dword v88, v85, s[0:3], 0 offen
	buffer_load_dword v89, v85, s[0:3], 0 offen offset:4
	v_mov_b32_e32 v87, s14
	ds_read_b64 v[90:91], v87
	v_add_u32_e32 v86, -1, v86
	s_add_i32 s14, s14, 8
	v_cmp_eq_u32_e32 vcc, 0, v86
	v_add_u32_e32 v85, 8, v85
	s_or_b64 s[6:7], vcc, s[6:7]
	s_waitcnt vmcnt(0) lgkmcnt(0)
	v_fmac_f64_e32 v[80:81], v[88:89], v[90:91]
	s_andn2_b64 exec, exec, s[6:7]
	s_cbranch_execnz .LBB102_363
; %bb.364:
	s_or_b64 exec, exec, s[6:7]
.LBB102_365:
	s_or_b64 exec, exec, s[12:13]
	v_mov_b32_e32 v85, 0
	ds_read_b64 v[86:87], v85 offset:8
	s_waitcnt lgkmcnt(0)
	v_mul_f64 v[80:81], v[80:81], v[86:87]
	buffer_store_dword v81, off, s[0:3], 0 offset:12
	buffer_store_dword v80, off, s[0:3], 0 offset:8
.LBB102_366:
	s_or_b64 exec, exec, s[10:11]
	buffer_load_dword v80, off, s[0:3], 0
	buffer_load_dword v81, off, s[0:3], 0 offset:4
	v_cmp_ne_u32_e32 vcc, 0, v0
	s_waitcnt vmcnt(0)
	ds_write_b64 v82, v[80:81]
	s_waitcnt lgkmcnt(0)
	; wave barrier
	s_waitcnt lgkmcnt(0)
	s_and_saveexec_b64 s[6:7], vcc
	s_cbranch_execz .LBB102_376
; %bb.367:
	s_andn2_b64 vcc, exec, s[8:9]
	s_cbranch_vccnz .LBB102_369
; %bb.368:
	buffer_load_dword v80, v83, s[0:3], 0 offen
	buffer_load_dword v81, v83, s[0:3], 0 offen offset:4
	ds_read_b64 v[86:87], v82
	s_waitcnt vmcnt(0) lgkmcnt(0)
	v_mul_f64 v[80:81], v[80:81], v[86:87]
	s_cbranch_execz .LBB102_370
	s_branch .LBB102_371
.LBB102_369:
                                        ; implicit-def: $vgpr80_vgpr81
.LBB102_370:
	ds_read_b64 v[80:81], v82
.LBB102_371:
	s_and_saveexec_b64 s[10:11], s[4:5]
	s_cbranch_execz .LBB102_375
; %bb.372:
	v_add_u32_e32 v85, -1, v0
	s_movk_i32 s12, 0x148
	s_mov_b64 s[4:5], 0
.LBB102_373:                            ; =>This Inner Loop Header: Depth=1
	buffer_load_dword v86, v84, s[0:3], 0 offen
	buffer_load_dword v87, v84, s[0:3], 0 offen offset:4
	v_mov_b32_e32 v88, s12
	ds_read_b64 v[88:89], v88
	v_add_u32_e32 v85, -1, v85
	s_add_i32 s12, s12, 8
	v_cmp_eq_u32_e32 vcc, 0, v85
	v_add_u32_e32 v84, 8, v84
	s_or_b64 s[4:5], vcc, s[4:5]
	s_waitcnt vmcnt(0) lgkmcnt(0)
	v_fmac_f64_e32 v[80:81], v[86:87], v[88:89]
	s_andn2_b64 exec, exec, s[4:5]
	s_cbranch_execnz .LBB102_373
; %bb.374:
	s_or_b64 exec, exec, s[4:5]
.LBB102_375:
	s_or_b64 exec, exec, s[10:11]
	v_mov_b32_e32 v84, 0
	ds_read_b64 v[84:85], v84
	s_waitcnt lgkmcnt(0)
	v_mul_f64 v[80:81], v[80:81], v[84:85]
	buffer_store_dword v81, off, s[0:3], 0 offset:4
	buffer_store_dword v80, off, s[0:3], 0
.LBB102_376:
	s_or_b64 exec, exec, s[6:7]
	s_mov_b64 s[4:5], 0
.LBB102_377:
	s_and_b64 vcc, exec, s[4:5]
	s_cbranch_vccz .LBB102_751
; %bb.378:
	buffer_load_dword v80, off, s[0:3], 0 offset:8
	buffer_load_dword v81, off, s[0:3], 0 offset:12
	v_cmp_eq_u32_e64 s[6:7], 0, v0
	s_waitcnt vmcnt(0)
	ds_write_b64 v82, v[80:81]
	s_waitcnt lgkmcnt(0)
	; wave barrier
	s_waitcnt lgkmcnt(0)
	s_and_saveexec_b64 s[4:5], s[6:7]
	s_cbranch_execz .LBB102_384
; %bb.379:
	s_and_b64 vcc, exec, s[8:9]
	s_cbranch_vccz .LBB102_381
; %bb.380:
	buffer_load_dword v80, v83, s[0:3], 0 offen
	buffer_load_dword v81, v83, s[0:3], 0 offen offset:4
	ds_read_b64 v[84:85], v82
	s_waitcnt vmcnt(0) lgkmcnt(0)
	v_mul_f64 v[80:81], v[80:81], v[84:85]
	s_cbranch_execz .LBB102_382
	s_branch .LBB102_383
.LBB102_381:
                                        ; implicit-def: $vgpr80_vgpr81
.LBB102_382:
	ds_read_b64 v[80:81], v82
.LBB102_383:
	v_mov_b32_e32 v84, 0
	ds_read_b64 v[84:85], v84 offset:8
	s_waitcnt lgkmcnt(0)
	v_mul_f64 v[80:81], v[80:81], v[84:85]
	buffer_store_dword v81, off, s[0:3], 0 offset:12
	buffer_store_dword v80, off, s[0:3], 0 offset:8
.LBB102_384:
	s_or_b64 exec, exec, s[4:5]
	buffer_load_dword v80, off, s[0:3], 0 offset:16
	buffer_load_dword v81, off, s[0:3], 0 offset:20
	v_cndmask_b32_e64 v84, 0, 1, s[8:9]
	v_cmp_gt_u32_e32 vcc, 2, v0
	v_cmp_ne_u32_e64 s[4:5], 1, v84
	s_waitcnt vmcnt(0)
	ds_write_b64 v82, v[80:81]
	s_waitcnt lgkmcnt(0)
	; wave barrier
	s_waitcnt lgkmcnt(0)
	s_and_saveexec_b64 s[8:9], vcc
	s_cbranch_execz .LBB102_392
; %bb.385:
	s_and_b64 vcc, exec, s[4:5]
	s_cbranch_vccnz .LBB102_387
; %bb.386:
	buffer_load_dword v80, v83, s[0:3], 0 offen
	buffer_load_dword v81, v83, s[0:3], 0 offen offset:4
	ds_read_b64 v[84:85], v82
	s_waitcnt vmcnt(0) lgkmcnt(0)
	v_mul_f64 v[80:81], v[80:81], v[84:85]
	s_cbranch_execz .LBB102_388
	s_branch .LBB102_389
.LBB102_387:
                                        ; implicit-def: $vgpr80_vgpr81
.LBB102_388:
	ds_read_b64 v[80:81], v82
.LBB102_389:
	s_and_saveexec_b64 s[10:11], s[6:7]
	s_cbranch_execz .LBB102_391
; %bb.390:
	buffer_load_dword v84, v83, s[0:3], 0 offen offset:8
	buffer_load_dword v85, v83, s[0:3], 0 offen offset:12
	ds_read_b64 v[86:87], v82 offset:8
	s_waitcnt vmcnt(0) lgkmcnt(0)
	v_fmac_f64_e32 v[80:81], v[84:85], v[86:87]
.LBB102_391:
	s_or_b64 exec, exec, s[10:11]
	v_mov_b32_e32 v84, 0
	ds_read_b64 v[84:85], v84 offset:16
	s_waitcnt lgkmcnt(0)
	v_mul_f64 v[80:81], v[80:81], v[84:85]
	buffer_store_dword v81, off, s[0:3], 0 offset:20
	buffer_store_dword v80, off, s[0:3], 0 offset:16
.LBB102_392:
	s_or_b64 exec, exec, s[8:9]
	buffer_load_dword v80, off, s[0:3], 0 offset:24
	buffer_load_dword v81, off, s[0:3], 0 offset:28
	v_cmp_gt_u32_e32 vcc, 3, v0
	s_waitcnt vmcnt(0)
	ds_write_b64 v82, v[80:81]
	s_waitcnt lgkmcnt(0)
	; wave barrier
	s_waitcnt lgkmcnt(0)
	s_and_saveexec_b64 s[8:9], vcc
	s_cbranch_execz .LBB102_400
; %bb.393:
	s_and_b64 vcc, exec, s[4:5]
	s_cbranch_vccnz .LBB102_395
; %bb.394:
	buffer_load_dword v80, v83, s[0:3], 0 offen
	buffer_load_dword v81, v83, s[0:3], 0 offen offset:4
	ds_read_b64 v[84:85], v82
	s_waitcnt vmcnt(0) lgkmcnt(0)
	v_mul_f64 v[80:81], v[80:81], v[84:85]
	s_cbranch_execz .LBB102_396
	s_branch .LBB102_397
.LBB102_395:
                                        ; implicit-def: $vgpr80_vgpr81
.LBB102_396:
	ds_read_b64 v[80:81], v82
.LBB102_397:
	v_cmp_ne_u32_e32 vcc, 2, v0
	s_and_saveexec_b64 s[10:11], vcc
	s_cbranch_execz .LBB102_399
; %bb.398:
	buffer_load_dword v85, v83, s[0:3], 0 offen offset:12
	buffer_load_dword v86, off, s[0:3], 0 offset:16
	buffer_load_dword v84, v83, s[0:3], 0 offen offset:8
	buffer_load_dword v87, off, s[0:3], 0 offset:20
	v_mov_b32_e32 v90, 0
	ds_read_b64 v[88:89], v82 offset:8
	ds_read_b64 v[90:91], v90 offset:336
	s_waitcnt vmcnt(1) lgkmcnt(1)
	v_fmac_f64_e32 v[80:81], v[84:85], v[88:89]
	s_waitcnt vmcnt(0) lgkmcnt(0)
	v_fma_f64 v[84:85], v[86:87], v[90:91], v[80:81]
	v_cndmask_b32_e64 v81, v81, v85, s[6:7]
	v_cndmask_b32_e64 v80, v80, v84, s[6:7]
.LBB102_399:
	s_or_b64 exec, exec, s[10:11]
	v_mov_b32_e32 v84, 0
	ds_read_b64 v[84:85], v84 offset:24
	s_waitcnt lgkmcnt(0)
	v_mul_f64 v[80:81], v[80:81], v[84:85]
	buffer_store_dword v81, off, s[0:3], 0 offset:28
	buffer_store_dword v80, off, s[0:3], 0 offset:24
.LBB102_400:
	s_or_b64 exec, exec, s[8:9]
	buffer_load_dword v80, off, s[0:3], 0 offset:32
	buffer_load_dword v81, off, s[0:3], 0 offset:36
	v_cmp_gt_u32_e32 vcc, 4, v0
	s_waitcnt vmcnt(0)
	ds_write_b64 v82, v[80:81]
	s_waitcnt lgkmcnt(0)
	; wave barrier
	s_waitcnt lgkmcnt(0)
	s_and_saveexec_b64 s[6:7], vcc
	s_cbranch_execz .LBB102_410
; %bb.401:
	s_and_b64 vcc, exec, s[4:5]
	s_cbranch_vccnz .LBB102_403
; %bb.402:
	buffer_load_dword v80, v83, s[0:3], 0 offen
	buffer_load_dword v81, v83, s[0:3], 0 offen offset:4
	ds_read_b64 v[84:85], v82
	s_waitcnt vmcnt(0) lgkmcnt(0)
	v_mul_f64 v[80:81], v[80:81], v[84:85]
	s_cbranch_execz .LBB102_404
	s_branch .LBB102_405
.LBB102_403:
                                        ; implicit-def: $vgpr80_vgpr81
.LBB102_404:
	ds_read_b64 v[80:81], v82
.LBB102_405:
	v_cmp_ne_u32_e32 vcc, 3, v0
	s_and_saveexec_b64 s[8:9], vcc
	s_cbranch_execz .LBB102_409
; %bb.406:
	v_mov_b32_e32 v85, 0
	v_add_u32_e32 v84, 0x148, v1
	v_add3_u32 v85, v1, v85, 8
	s_mov_b64 s[10:11], 0
	v_mov_b32_e32 v86, v0
.LBB102_407:                            ; =>This Inner Loop Header: Depth=1
	buffer_load_dword v88, v85, s[0:3], 0 offen
	buffer_load_dword v89, v85, s[0:3], 0 offen offset:4
	ds_read_b64 v[90:91], v84
	v_add_u32_e32 v86, 1, v86
	v_cmp_lt_u32_e32 vcc, 2, v86
	v_add_u32_e32 v84, 8, v84
	v_add_u32_e32 v85, 8, v85
	s_or_b64 s[10:11], vcc, s[10:11]
	s_waitcnt vmcnt(0) lgkmcnt(0)
	v_fmac_f64_e32 v[80:81], v[88:89], v[90:91]
	s_andn2_b64 exec, exec, s[10:11]
	s_cbranch_execnz .LBB102_407
; %bb.408:
	s_or_b64 exec, exec, s[10:11]
.LBB102_409:
	s_or_b64 exec, exec, s[8:9]
	v_mov_b32_e32 v84, 0
	ds_read_b64 v[84:85], v84 offset:32
	s_waitcnt lgkmcnt(0)
	v_mul_f64 v[80:81], v[80:81], v[84:85]
	buffer_store_dword v81, off, s[0:3], 0 offset:36
	buffer_store_dword v80, off, s[0:3], 0 offset:32
.LBB102_410:
	s_or_b64 exec, exec, s[6:7]
	buffer_load_dword v80, off, s[0:3], 0 offset:40
	buffer_load_dword v81, off, s[0:3], 0 offset:44
	v_cmp_gt_u32_e32 vcc, 5, v0
	s_waitcnt vmcnt(0)
	ds_write_b64 v82, v[80:81]
	s_waitcnt lgkmcnt(0)
	; wave barrier
	s_waitcnt lgkmcnt(0)
	s_and_saveexec_b64 s[6:7], vcc
	s_cbranch_execz .LBB102_420
; %bb.411:
	s_and_b64 vcc, exec, s[4:5]
	s_cbranch_vccnz .LBB102_413
; %bb.412:
	buffer_load_dword v80, v83, s[0:3], 0 offen
	buffer_load_dword v81, v83, s[0:3], 0 offen offset:4
	ds_read_b64 v[84:85], v82
	s_waitcnt vmcnt(0) lgkmcnt(0)
	v_mul_f64 v[80:81], v[80:81], v[84:85]
	s_cbranch_execz .LBB102_414
	s_branch .LBB102_415
.LBB102_413:
                                        ; implicit-def: $vgpr80_vgpr81
.LBB102_414:
	ds_read_b64 v[80:81], v82
.LBB102_415:
	v_cmp_ne_u32_e32 vcc, 4, v0
	s_and_saveexec_b64 s[8:9], vcc
	s_cbranch_execz .LBB102_419
; %bb.416:
	v_mov_b32_e32 v85, 0
	v_add_u32_e32 v84, 0x148, v1
	v_add3_u32 v85, v1, v85, 8
	s_mov_b64 s[10:11], 0
	v_mov_b32_e32 v86, v0
.LBB102_417:                            ; =>This Inner Loop Header: Depth=1
	buffer_load_dword v88, v85, s[0:3], 0 offen
	buffer_load_dword v89, v85, s[0:3], 0 offen offset:4
	ds_read_b64 v[90:91], v84
	v_add_u32_e32 v86, 1, v86
	v_cmp_lt_u32_e32 vcc, 3, v86
	v_add_u32_e32 v84, 8, v84
	v_add_u32_e32 v85, 8, v85
	s_or_b64 s[10:11], vcc, s[10:11]
	s_waitcnt vmcnt(0) lgkmcnt(0)
	v_fmac_f64_e32 v[80:81], v[88:89], v[90:91]
	s_andn2_b64 exec, exec, s[10:11]
	s_cbranch_execnz .LBB102_417
; %bb.418:
	s_or_b64 exec, exec, s[10:11]
.LBB102_419:
	s_or_b64 exec, exec, s[8:9]
	v_mov_b32_e32 v84, 0
	ds_read_b64 v[84:85], v84 offset:40
	s_waitcnt lgkmcnt(0)
	v_mul_f64 v[80:81], v[80:81], v[84:85]
	buffer_store_dword v81, off, s[0:3], 0 offset:44
	buffer_store_dword v80, off, s[0:3], 0 offset:40
.LBB102_420:
	;; [unrolled: 60-line block ×33, first 2 shown]
	s_or_b64 exec, exec, s[6:7]
	buffer_load_dword v80, off, s[0:3], 0 offset:296
	buffer_load_dword v81, off, s[0:3], 0 offset:300
	v_cmp_gt_u32_e64 s[6:7], 37, v0
	s_waitcnt vmcnt(0)
	ds_write_b64 v82, v[80:81]
	s_waitcnt lgkmcnt(0)
	; wave barrier
	s_waitcnt lgkmcnt(0)
	s_and_saveexec_b64 s[8:9], s[6:7]
	s_cbranch_execz .LBB102_740
; %bb.731:
	s_and_b64 vcc, exec, s[4:5]
	s_cbranch_vccnz .LBB102_733
; %bb.732:
	buffer_load_dword v80, v83, s[0:3], 0 offen
	buffer_load_dword v81, v83, s[0:3], 0 offen offset:4
	ds_read_b64 v[84:85], v82
	s_waitcnt vmcnt(0) lgkmcnt(0)
	v_mul_f64 v[80:81], v[80:81], v[84:85]
	s_cbranch_execz .LBB102_734
	s_branch .LBB102_735
.LBB102_733:
                                        ; implicit-def: $vgpr80_vgpr81
.LBB102_734:
	ds_read_b64 v[80:81], v82
.LBB102_735:
	v_cmp_ne_u32_e32 vcc, 36, v0
	s_and_saveexec_b64 s[10:11], vcc
	s_cbranch_execz .LBB102_739
; %bb.736:
	v_mov_b32_e32 v85, 0
	v_add_u32_e32 v84, 0x148, v1
	v_add3_u32 v85, v1, v85, 8
	s_mov_b64 s[12:13], 0
	v_mov_b32_e32 v86, v0
.LBB102_737:                            ; =>This Inner Loop Header: Depth=1
	buffer_load_dword v88, v85, s[0:3], 0 offen
	buffer_load_dword v89, v85, s[0:3], 0 offen offset:4
	ds_read_b64 v[90:91], v84
	v_add_u32_e32 v86, 1, v86
	v_cmp_lt_u32_e32 vcc, 35, v86
	v_add_u32_e32 v84, 8, v84
	v_add_u32_e32 v85, 8, v85
	s_or_b64 s[12:13], vcc, s[12:13]
	s_waitcnt vmcnt(0) lgkmcnt(0)
	v_fmac_f64_e32 v[80:81], v[88:89], v[90:91]
	s_andn2_b64 exec, exec, s[12:13]
	s_cbranch_execnz .LBB102_737
; %bb.738:
	s_or_b64 exec, exec, s[12:13]
.LBB102_739:
	s_or_b64 exec, exec, s[10:11]
	v_mov_b32_e32 v84, 0
	ds_read_b64 v[84:85], v84 offset:296
	s_waitcnt lgkmcnt(0)
	v_mul_f64 v[80:81], v[80:81], v[84:85]
	buffer_store_dword v81, off, s[0:3], 0 offset:300
	buffer_store_dword v80, off, s[0:3], 0 offset:296
.LBB102_740:
	s_or_b64 exec, exec, s[8:9]
	buffer_load_dword v80, off, s[0:3], 0 offset:304
	buffer_load_dword v81, off, s[0:3], 0 offset:308
	v_cmp_ne_u32_e32 vcc, 38, v0
	s_waitcnt vmcnt(0)
	ds_write_b64 v82, v[80:81]
	s_waitcnt lgkmcnt(0)
	; wave barrier
	s_waitcnt lgkmcnt(0)
	s_and_saveexec_b64 s[8:9], vcc
	s_cbranch_execz .LBB102_750
; %bb.741:
	s_and_b64 vcc, exec, s[4:5]
	s_cbranch_vccnz .LBB102_743
; %bb.742:
	buffer_load_dword v80, v83, s[0:3], 0 offen
	buffer_load_dword v81, v83, s[0:3], 0 offen offset:4
	ds_read_b64 v[84:85], v82
	s_waitcnt vmcnt(0) lgkmcnt(0)
	v_mul_f64 v[80:81], v[80:81], v[84:85]
	s_cbranch_execz .LBB102_744
	s_branch .LBB102_745
.LBB102_743:
                                        ; implicit-def: $vgpr80_vgpr81
.LBB102_744:
	ds_read_b64 v[80:81], v82
.LBB102_745:
	s_and_saveexec_b64 s[4:5], s[6:7]
	s_cbranch_execz .LBB102_749
; %bb.746:
	v_mov_b32_e32 v83, 0
	v_add_u32_e32 v82, 0x148, v1
	v_add3_u32 v1, v1, v83, 8
	s_mov_b64 s[6:7], 0
.LBB102_747:                            ; =>This Inner Loop Header: Depth=1
	buffer_load_dword v84, v1, s[0:3], 0 offen
	buffer_load_dword v85, v1, s[0:3], 0 offen offset:4
	ds_read_b64 v[86:87], v82
	v_add_u32_e32 v0, 1, v0
	v_cmp_lt_u32_e32 vcc, 36, v0
	v_add_u32_e32 v82, 8, v82
	v_add_u32_e32 v1, 8, v1
	s_or_b64 s[6:7], vcc, s[6:7]
	s_waitcnt vmcnt(0) lgkmcnt(0)
	v_fmac_f64_e32 v[80:81], v[84:85], v[86:87]
	s_andn2_b64 exec, exec, s[6:7]
	s_cbranch_execnz .LBB102_747
; %bb.748:
	s_or_b64 exec, exec, s[6:7]
.LBB102_749:
	s_or_b64 exec, exec, s[4:5]
	v_mov_b32_e32 v0, 0
	ds_read_b64 v[0:1], v0 offset:304
	s_waitcnt lgkmcnt(0)
	v_mul_f64 v[0:1], v[80:81], v[0:1]
	buffer_store_dword v1, off, s[0:3], 0 offset:308
	buffer_store_dword v0, off, s[0:3], 0 offset:304
.LBB102_750:
	s_or_b64 exec, exec, s[8:9]
.LBB102_751:
	buffer_load_dword v0, off, s[0:3], 0
	buffer_load_dword v1, off, s[0:3], 0 offset:4
	buffer_load_dword v80, off, s[0:3], 0 offset:8
	buffer_load_dword v81, off, s[0:3], 0 offset:12
	buffer_load_dword v82, off, s[0:3], 0 offset:16
	buffer_load_dword v83, off, s[0:3], 0 offset:20
	buffer_load_dword v84, off, s[0:3], 0 offset:24
	buffer_load_dword v85, off, s[0:3], 0 offset:28
	buffer_load_dword v86, off, s[0:3], 0 offset:32
	buffer_load_dword v87, off, s[0:3], 0 offset:36
	buffer_load_dword v88, off, s[0:3], 0 offset:40
	buffer_load_dword v89, off, s[0:3], 0 offset:44
	buffer_load_dword v90, off, s[0:3], 0 offset:48
	buffer_load_dword v91, off, s[0:3], 0 offset:52
	buffer_load_dword v92, off, s[0:3], 0 offset:56
	buffer_load_dword v93, off, s[0:3], 0 offset:60
	s_waitcnt vmcnt(14)
	global_store_dwordx2 v[76:77], v[0:1], off
	s_waitcnt vmcnt(13)
	global_store_dwordx2 v[78:79], v[80:81], off
	;; [unrolled: 2-line block ×8, first 2 shown]
	buffer_load_dword v1, off, s[0:3], 0 offset:68
	buffer_load_dword v0, off, s[0:3], 0 offset:64
	s_waitcnt vmcnt(0)
	global_store_dwordx2 v[20:21], v[0:1], off
	buffer_load_dword v0, off, s[0:3], 0 offset:72
	s_nop 0
	buffer_load_dword v1, off, s[0:3], 0 offset:76
	s_waitcnt vmcnt(0)
	global_store_dwordx2 v[12:13], v[0:1], off
	buffer_load_dword v0, off, s[0:3], 0 offset:80
	s_nop 0
	;; [unrolled: 5-line block ×30, first 2 shown]
	buffer_load_dword v1, off, s[0:3], 0 offset:308
	s_waitcnt vmcnt(0)
	global_store_dwordx2 v[60:61], v[0:1], off
.LBB102_752:
	s_endpgm
	.section	.rodata,"a",@progbits
	.p2align	6, 0x0
	.amdhsa_kernel _ZN9rocsolver6v33100L18trti2_kernel_smallILi39EdPKPdEEv13rocblas_fill_17rocblas_diagonal_T1_iil
		.amdhsa_group_segment_fixed_size 632
		.amdhsa_private_segment_fixed_size 320
		.amdhsa_kernarg_size 32
		.amdhsa_user_sgpr_count 8
		.amdhsa_user_sgpr_private_segment_buffer 1
		.amdhsa_user_sgpr_dispatch_ptr 0
		.amdhsa_user_sgpr_queue_ptr 0
		.amdhsa_user_sgpr_kernarg_segment_ptr 1
		.amdhsa_user_sgpr_dispatch_id 0
		.amdhsa_user_sgpr_flat_scratch_init 1
		.amdhsa_user_sgpr_kernarg_preload_length 0
		.amdhsa_user_sgpr_kernarg_preload_offset 0
		.amdhsa_user_sgpr_private_segment_size 0
		.amdhsa_uses_dynamic_stack 0
		.amdhsa_system_sgpr_private_segment_wavefront_offset 1
		.amdhsa_system_sgpr_workgroup_id_x 1
		.amdhsa_system_sgpr_workgroup_id_y 0
		.amdhsa_system_sgpr_workgroup_id_z 0
		.amdhsa_system_sgpr_workgroup_info 0
		.amdhsa_system_vgpr_workitem_id 0
		.amdhsa_next_free_vgpr 126
		.amdhsa_next_free_sgpr 16
		.amdhsa_accum_offset 128
		.amdhsa_reserve_vcc 1
		.amdhsa_reserve_flat_scratch 0
		.amdhsa_float_round_mode_32 0
		.amdhsa_float_round_mode_16_64 0
		.amdhsa_float_denorm_mode_32 3
		.amdhsa_float_denorm_mode_16_64 3
		.amdhsa_dx10_clamp 1
		.amdhsa_ieee_mode 1
		.amdhsa_fp16_overflow 0
		.amdhsa_tg_split 0
		.amdhsa_exception_fp_ieee_invalid_op 0
		.amdhsa_exception_fp_denorm_src 0
		.amdhsa_exception_fp_ieee_div_zero 0
		.amdhsa_exception_fp_ieee_overflow 0
		.amdhsa_exception_fp_ieee_underflow 0
		.amdhsa_exception_fp_ieee_inexact 0
		.amdhsa_exception_int_div_zero 0
	.end_amdhsa_kernel
	.section	.text._ZN9rocsolver6v33100L18trti2_kernel_smallILi39EdPKPdEEv13rocblas_fill_17rocblas_diagonal_T1_iil,"axG",@progbits,_ZN9rocsolver6v33100L18trti2_kernel_smallILi39EdPKPdEEv13rocblas_fill_17rocblas_diagonal_T1_iil,comdat
.Lfunc_end102:
	.size	_ZN9rocsolver6v33100L18trti2_kernel_smallILi39EdPKPdEEv13rocblas_fill_17rocblas_diagonal_T1_iil, .Lfunc_end102-_ZN9rocsolver6v33100L18trti2_kernel_smallILi39EdPKPdEEv13rocblas_fill_17rocblas_diagonal_T1_iil
                                        ; -- End function
	.section	.AMDGPU.csdata,"",@progbits
; Kernel info:
; codeLenInByte = 22796
; NumSgprs: 20
; NumVgprs: 126
; NumAgprs: 0
; TotalNumVgprs: 126
; ScratchSize: 320
; MemoryBound: 0
; FloatMode: 240
; IeeeMode: 1
; LDSByteSize: 632 bytes/workgroup (compile time only)
; SGPRBlocks: 2
; VGPRBlocks: 15
; NumSGPRsForWavesPerEU: 20
; NumVGPRsForWavesPerEU: 126
; AccumOffset: 128
; Occupancy: 4
; WaveLimiterHint : 1
; COMPUTE_PGM_RSRC2:SCRATCH_EN: 1
; COMPUTE_PGM_RSRC2:USER_SGPR: 8
; COMPUTE_PGM_RSRC2:TRAP_HANDLER: 0
; COMPUTE_PGM_RSRC2:TGID_X_EN: 1
; COMPUTE_PGM_RSRC2:TGID_Y_EN: 0
; COMPUTE_PGM_RSRC2:TGID_Z_EN: 0
; COMPUTE_PGM_RSRC2:TIDIG_COMP_CNT: 0
; COMPUTE_PGM_RSRC3_GFX90A:ACCUM_OFFSET: 31
; COMPUTE_PGM_RSRC3_GFX90A:TG_SPLIT: 0
	.section	.text._ZN9rocsolver6v33100L18trti2_kernel_smallILi40EdPKPdEEv13rocblas_fill_17rocblas_diagonal_T1_iil,"axG",@progbits,_ZN9rocsolver6v33100L18trti2_kernel_smallILi40EdPKPdEEv13rocblas_fill_17rocblas_diagonal_T1_iil,comdat
	.globl	_ZN9rocsolver6v33100L18trti2_kernel_smallILi40EdPKPdEEv13rocblas_fill_17rocblas_diagonal_T1_iil ; -- Begin function _ZN9rocsolver6v33100L18trti2_kernel_smallILi40EdPKPdEEv13rocblas_fill_17rocblas_diagonal_T1_iil
	.p2align	8
	.type	_ZN9rocsolver6v33100L18trti2_kernel_smallILi40EdPKPdEEv13rocblas_fill_17rocblas_diagonal_T1_iil,@function
_ZN9rocsolver6v33100L18trti2_kernel_smallILi40EdPKPdEEv13rocblas_fill_17rocblas_diagonal_T1_iil: ; @_ZN9rocsolver6v33100L18trti2_kernel_smallILi40EdPKPdEEv13rocblas_fill_17rocblas_diagonal_T1_iil
; %bb.0:
	s_add_u32 s0, s0, s9
	s_addc_u32 s1, s1, 0
	v_cmp_gt_u32_e32 vcc, 40, v0
	s_and_saveexec_b64 s[6:7], vcc
	s_cbranch_execz .LBB103_772
; %bb.1:
	s_load_dwordx2 s[6:7], s[4:5], 0x10
	s_load_dwordx4 s[12:15], s[4:5], 0x0
	s_ashr_i32 s9, s8, 31
	s_lshl_b64 s[4:5], s[8:9], 3
	s_waitcnt lgkmcnt(0)
	s_ashr_i32 s9, s6, 31
	s_add_u32 s4, s14, s4
	s_addc_u32 s5, s15, s5
	s_load_dwordx2 s[4:5], s[4:5], 0x0
	s_mov_b32 s8, s6
	s_lshl_b64 s[8:9], s[8:9], 3
	s_waitcnt lgkmcnt(0)
	s_add_u32 s4, s4, s8
	s_addc_u32 s5, s5, s9
	s_add_i32 s6, s7, s7
	v_add_u32_e32 v4, s6, v0
	v_ashrrev_i32_e32 v5, 31, v4
	v_lshlrev_b64 v[2:3], 3, v[4:5]
	v_add_u32_e32 v6, s7, v4
	v_mov_b32_e32 v1, s5
	v_add_co_u32_e32 v2, vcc, s4, v2
	v_ashrrev_i32_e32 v7, 31, v6
	v_addc_co_u32_e32 v3, vcc, v1, v3, vcc
	v_lshlrev_b64 v[4:5], 3, v[6:7]
	v_add_u32_e32 v8, s7, v6
	v_add_co_u32_e32 v4, vcc, s4, v4
	v_ashrrev_i32_e32 v9, 31, v8
	v_addc_co_u32_e32 v5, vcc, v1, v5, vcc
	v_lshlrev_b64 v[6:7], 3, v[8:9]
	v_add_u32_e32 v10, s7, v8
	;; [unrolled: 5-line block ×31, first 2 shown]
	v_add_co_u32_e32 v64, vcc, s4, v64
	v_ashrrev_i32_e32 v69, 31, v68
	v_addc_co_u32_e32 v65, vcc, v1, v65, vcc
	v_lshlrev_b64 v[66:67], 3, v[68:69]
	v_add_co_u32_e32 v66, vcc, s4, v66
	v_addc_co_u32_e32 v67, vcc, v1, v67, vcc
	v_lshlrev_b32_e32 v1, 3, v0
	v_add_u32_e32 v74, s7, v68
	v_mov_b32_e32 v68, s5
	v_add_co_u32_e32 v70, vcc, s4, v1
	s_ashr_i32 s9, s7, 31
	s_mov_b32 s8, s7
	v_addc_co_u32_e32 v71, vcc, 0, v68, vcc
	s_lshl_b64 s[8:9], s[8:9], 3
	v_ashrrev_i32_e32 v75, 31, v74
	v_mov_b32_e32 v68, s9
	v_add_co_u32_e32 v72, vcc, s8, v70
	v_addc_co_u32_e32 v73, vcc, v71, v68, vcc
	v_lshlrev_b64 v[68:69], 3, v[74:75]
	v_mov_b32_e32 v76, s5
	v_add_co_u32_e32 v68, vcc, s4, v68
	v_addc_co_u32_e32 v69, vcc, v76, v69, vcc
	v_add_u32_e32 v76, s7, v74
	v_ashrrev_i32_e32 v77, 31, v76
	v_lshlrev_b64 v[74:75], 3, v[76:77]
	v_mov_b32_e32 v78, s5
	v_add_co_u32_e32 v74, vcc, s4, v74
	v_addc_co_u32_e32 v75, vcc, v78, v75, vcc
	v_add_u32_e32 v78, s7, v76
	v_ashrrev_i32_e32 v79, 31, v78
	;; [unrolled: 6-line block ×3, first 2 shown]
	v_lshlrev_b64 v[78:79], 3, v[80:81]
	v_mov_b32_e32 v144, s5
	v_add_co_u32_e32 v78, vcc, s4, v78
	global_load_dwordx2 v[82:83], v1, s[4:5]
	global_load_dwordx2 v[86:87], v[2:3], off
	global_load_dwordx2 v[84:85], v[72:73], off
	;; [unrolled: 1-line block ×30, first 2 shown]
	v_addc_co_u32_e32 v79, vcc, v144, v79, vcc
	global_load_dwordx2 v[144:145], v[60:61], off
	global_load_dwordx2 v[146:147], v[62:63], off
	global_load_dwordx2 v[148:149], v[64:65], off
	global_load_dwordx2 v[150:151], v[66:67], off
	global_load_dwordx2 v[152:153], v[68:69], off
	global_load_dwordx2 v[154:155], v[74:75], off
	global_load_dwordx2 v[156:157], v[76:77], off
	global_load_dwordx2 v[158:159], v[78:79], off
	v_add_u32_e32 v80, s7, v80
	v_ashrrev_i32_e32 v81, 31, v80
	v_lshlrev_b64 v[80:81], 3, v[80:81]
	v_mov_b32_e32 v160, s5
	v_add_co_u32_e32 v80, vcc, s4, v80
	v_addc_co_u32_e32 v81, vcc, v160, v81, vcc
	global_load_dwordx2 v[160:161], v[80:81], off
	s_waitcnt vmcnt(39)
	buffer_store_dword v83, off, s[0:3], 0 offset:4
	buffer_store_dword v82, off, s[0:3], 0
	s_waitcnt vmcnt(39)
	buffer_store_dword v85, off, s[0:3], 0 offset:12
	buffer_store_dword v84, off, s[0:3], 0 offset:8
	;; [unrolled: 1-line block ×4, first 2 shown]
	s_waitcnt vmcnt(42)
	buffer_store_dword v89, off, s[0:3], 0 offset:28
	buffer_store_dword v88, off, s[0:3], 0 offset:24
	s_waitcnt vmcnt(43)
	buffer_store_dword v91, off, s[0:3], 0 offset:36
	buffer_store_dword v90, off, s[0:3], 0 offset:32
	;; [unrolled: 3-line block ×22, first 2 shown]
	buffer_store_dword v133, off, s[0:3], 0 offset:204
	buffer_store_dword v132, off, s[0:3], 0 offset:200
	s_waitcnt vmcnt(62)
	buffer_store_dword v135, off, s[0:3], 0 offset:212
	buffer_store_dword v134, off, s[0:3], 0 offset:208
	;; [unrolled: 1-line block ×8, first 2 shown]
	s_waitcnt vmcnt(62)
	buffer_store_dword v142, off, s[0:3], 0 offset:240
	buffer_store_dword v143, off, s[0:3], 0 offset:244
	;; [unrolled: 1-line block ×16, first 2 shown]
	s_waitcnt vmcnt(62)
	buffer_store_dword v159, off, s[0:3], 0 offset:308
	buffer_store_dword v158, off, s[0:3], 0 offset:304
	;; [unrolled: 1-line block ×4, first 2 shown]
	s_cmpk_lg_i32 s13, 0x84
	v_mov_b32_e32 v82, 0
	s_cselect_b64 s[8:9], -1, 0
	s_cmpk_eq_i32 s13, 0x84
	v_mov_b32_e32 v122, 0
	v_mov_b32_e32 v83, 0xbff00000
	s_cbranch_scc1 .LBB103_3
; %bb.2:
	v_lshl_add_u32 v92, v0, 3, v122
	buffer_load_dword v82, v92, s[0:3], 0 offen
	buffer_load_dword v83, v92, s[0:3], 0 offen offset:4
	s_waitcnt vmcnt(0)
	v_div_scale_f64 v[84:85], s[4:5], v[82:83], v[82:83], 1.0
	v_rcp_f64_e32 v[86:87], v[84:85]
	v_div_scale_f64 v[88:89], vcc, 1.0, v[82:83], 1.0
	v_fma_f64 v[90:91], -v[84:85], v[86:87], 1.0
	v_fmac_f64_e32 v[86:87], v[86:87], v[90:91]
	v_fma_f64 v[90:91], -v[84:85], v[86:87], 1.0
	v_fmac_f64_e32 v[86:87], v[86:87], v[90:91]
	v_mul_f64 v[90:91], v[88:89], v[86:87]
	v_fma_f64 v[84:85], -v[84:85], v[90:91], v[88:89]
	v_div_fmas_f64 v[84:85], v[84:85], v[86:87], v[90:91]
	v_div_fixup_f64 v[82:83], v[84:85], v[82:83], 1.0
	buffer_store_dword v82, v92, s[0:3], 0 offen
	buffer_store_dword v83, v92, s[0:3], 0 offen offset:4
	v_xor_b32_e32 v83, 0x80000000, v83
.LBB103_3:
	s_cmpk_eq_i32 s12, 0x79
	v_add_u32_e32 v84, 0x140, v1
	v_add_u32_e32 v85, 0, v1
	s_mov_b64 s[4:5], -1
	ds_write_b64 v1, v[82:83]
	s_cbranch_scc1 .LBB103_387
; %bb.4:
	buffer_load_dword v82, off, s[0:3], 0 offset:304
	buffer_load_dword v83, off, s[0:3], 0 offset:308
	v_cmp_eq_u32_e64 s[4:5], 39, v0
	s_waitcnt vmcnt(0)
	ds_write_b64 v84, v[82:83]
	s_waitcnt lgkmcnt(0)
	; wave barrier
	s_waitcnt lgkmcnt(0)
	s_and_saveexec_b64 s[6:7], s[4:5]
	s_cbranch_execz .LBB103_10
; %bb.5:
	s_and_b64 vcc, exec, s[8:9]
	s_cbranch_vccz .LBB103_7
; %bb.6:
	buffer_load_dword v82, v85, s[0:3], 0 offen
	buffer_load_dword v83, v85, s[0:3], 0 offen offset:4
	ds_read_b64 v[86:87], v84
	s_waitcnt vmcnt(0) lgkmcnt(0)
	v_mul_f64 v[82:83], v[82:83], v[86:87]
	s_cbranch_execz .LBB103_8
	s_branch .LBB103_9
.LBB103_7:
                                        ; implicit-def: $vgpr82_vgpr83
.LBB103_8:
	ds_read_b64 v[82:83], v84
.LBB103_9:
	v_mov_b32_e32 v86, 0
	ds_read_b64 v[86:87], v86 offset:304
	s_waitcnt lgkmcnt(0)
	v_mul_f64 v[82:83], v[82:83], v[86:87]
	buffer_store_dword v83, off, s[0:3], 0 offset:308
	buffer_store_dword v82, off, s[0:3], 0 offset:304
.LBB103_10:
	s_or_b64 exec, exec, s[6:7]
	buffer_load_dword v82, off, s[0:3], 0 offset:296
	buffer_load_dword v83, off, s[0:3], 0 offset:300
	v_or_b32_e32 v86, 8, v122
	v_add_u32_e32 v87, 16, v122
	v_add_u32_e32 v88, 24, v122
	;; [unrolled: 1-line block ×36, first 2 shown]
	v_cmp_lt_u32_e64 s[6:7], 37, v0
	s_waitcnt vmcnt(0)
	ds_write_b64 v84, v[82:83]
	s_waitcnt lgkmcnt(0)
	; wave barrier
	s_waitcnt lgkmcnt(0)
	s_and_saveexec_b64 s[10:11], s[6:7]
	s_cbranch_execz .LBB103_16
; %bb.11:
	s_andn2_b64 vcc, exec, s[8:9]
	s_cbranch_vccnz .LBB103_13
; %bb.12:
	buffer_load_dword v82, v85, s[0:3], 0 offen
	buffer_load_dword v83, v85, s[0:3], 0 offen offset:4
	ds_read_b64 v[124:125], v84
	s_waitcnt vmcnt(0) lgkmcnt(0)
	v_mul_f64 v[82:83], v[82:83], v[124:125]
	s_cbranch_execz .LBB103_14
	s_branch .LBB103_15
.LBB103_13:
                                        ; implicit-def: $vgpr82_vgpr83
.LBB103_14:
	ds_read_b64 v[82:83], v84
.LBB103_15:
	buffer_load_dword v128, off, s[0:3], 0 offset:304
	buffer_load_dword v129, off, s[0:3], 0 offset:308
	v_mov_b32_e32 v123, 0
	ds_read2_b64 v[124:127], v123 offset0:37 offset1:78
	s_waitcnt vmcnt(0) lgkmcnt(0)
	v_fma_f64 v[126:127], v[128:129], v[126:127], v[82:83]
	v_cndmask_b32_e64 v83, v83, v127, s[4:5]
	v_cndmask_b32_e64 v82, v82, v126, s[4:5]
	v_mul_f64 v[82:83], v[82:83], v[124:125]
	buffer_store_dword v83, off, s[0:3], 0 offset:300
	buffer_store_dword v82, off, s[0:3], 0 offset:296
.LBB103_16:
	s_or_b64 exec, exec, s[10:11]
	buffer_load_dword v82, off, s[0:3], 0 offset:288
	buffer_load_dword v83, off, s[0:3], 0 offset:292
	v_cmp_lt_u32_e64 s[4:5], 36, v0
	s_waitcnt vmcnt(0)
	ds_write_b64 v84, v[82:83]
	s_waitcnt lgkmcnt(0)
	; wave barrier
	s_waitcnt lgkmcnt(0)
	s_and_saveexec_b64 s[10:11], s[4:5]
	s_cbranch_execz .LBB103_26
; %bb.17:
	s_andn2_b64 vcc, exec, s[8:9]
	s_cbranch_vccnz .LBB103_19
; %bb.18:
	buffer_load_dword v82, v85, s[0:3], 0 offen
	buffer_load_dword v83, v85, s[0:3], 0 offen offset:4
	ds_read_b64 v[124:125], v84
	s_waitcnt vmcnt(0) lgkmcnt(0)
	v_mul_f64 v[82:83], v[82:83], v[124:125]
	s_cbranch_execz .LBB103_20
	s_branch .LBB103_21
.LBB103_19:
                                        ; implicit-def: $vgpr82_vgpr83
.LBB103_20:
	ds_read_b64 v[82:83], v84
.LBB103_21:
	s_and_saveexec_b64 s[12:13], s[6:7]
	s_cbranch_execz .LBB103_25
; %bb.22:
	v_subrev_u32_e32 v123, 37, v0
	s_movk_i32 s14, 0x268
	s_mov_b64 s[6:7], 0
.LBB103_23:                             ; =>This Inner Loop Header: Depth=1
	buffer_load_dword v124, v122, s[0:3], 0 offen
	buffer_load_dword v125, v122, s[0:3], 0 offen offset:4
	v_mov_b32_e32 v126, s14
	ds_read_b64 v[126:127], v126
	v_add_u32_e32 v123, -1, v123
	s_add_i32 s14, s14, 8
	v_cmp_eq_u32_e32 vcc, 0, v123
	v_add_u32_e32 v122, 8, v122
	s_or_b64 s[6:7], vcc, s[6:7]
	s_waitcnt vmcnt(0) lgkmcnt(0)
	v_fmac_f64_e32 v[82:83], v[124:125], v[126:127]
	s_andn2_b64 exec, exec, s[6:7]
	s_cbranch_execnz .LBB103_23
; %bb.24:
	s_or_b64 exec, exec, s[6:7]
.LBB103_25:
	s_or_b64 exec, exec, s[12:13]
	v_mov_b32_e32 v122, 0
	ds_read_b64 v[122:123], v122 offset:288
	s_waitcnt lgkmcnt(0)
	v_mul_f64 v[82:83], v[82:83], v[122:123]
	buffer_store_dword v83, off, s[0:3], 0 offset:292
	buffer_store_dword v82, off, s[0:3], 0 offset:288
.LBB103_26:
	s_or_b64 exec, exec, s[10:11]
	buffer_load_dword v82, off, s[0:3], 0 offset:280
	buffer_load_dword v83, off, s[0:3], 0 offset:284
	v_cmp_lt_u32_e64 s[6:7], 35, v0
	s_waitcnt vmcnt(0)
	ds_write_b64 v84, v[82:83]
	s_waitcnt lgkmcnt(0)
	; wave barrier
	s_waitcnt lgkmcnt(0)
	s_and_saveexec_b64 s[10:11], s[6:7]
	s_cbranch_execz .LBB103_36
; %bb.27:
	s_andn2_b64 vcc, exec, s[8:9]
	s_cbranch_vccnz .LBB103_29
; %bb.28:
	buffer_load_dword v82, v85, s[0:3], 0 offen
	buffer_load_dword v83, v85, s[0:3], 0 offen offset:4
	ds_read_b64 v[122:123], v84
	s_waitcnt vmcnt(0) lgkmcnt(0)
	v_mul_f64 v[82:83], v[82:83], v[122:123]
	s_cbranch_execz .LBB103_30
	s_branch .LBB103_31
.LBB103_29:
                                        ; implicit-def: $vgpr82_vgpr83
.LBB103_30:
	ds_read_b64 v[82:83], v84
.LBB103_31:
	s_and_saveexec_b64 s[12:13], s[4:5]
	s_cbranch_execz .LBB103_35
; %bb.32:
	v_subrev_u32_e32 v122, 36, v0
	s_movk_i32 s14, 0x260
	s_mov_b64 s[4:5], 0
.LBB103_33:                             ; =>This Inner Loop Header: Depth=1
	buffer_load_dword v124, v121, s[0:3], 0 offen
	buffer_load_dword v125, v121, s[0:3], 0 offen offset:4
	v_mov_b32_e32 v123, s14
	ds_read_b64 v[126:127], v123
	v_add_u32_e32 v122, -1, v122
	s_add_i32 s14, s14, 8
	v_cmp_eq_u32_e32 vcc, 0, v122
	v_add_u32_e32 v121, 8, v121
	s_or_b64 s[4:5], vcc, s[4:5]
	s_waitcnt vmcnt(0) lgkmcnt(0)
	v_fmac_f64_e32 v[82:83], v[124:125], v[126:127]
	s_andn2_b64 exec, exec, s[4:5]
	s_cbranch_execnz .LBB103_33
; %bb.34:
	s_or_b64 exec, exec, s[4:5]
.LBB103_35:
	s_or_b64 exec, exec, s[12:13]
	v_mov_b32_e32 v121, 0
	ds_read_b64 v[122:123], v121 offset:280
	s_waitcnt lgkmcnt(0)
	v_mul_f64 v[82:83], v[82:83], v[122:123]
	buffer_store_dword v83, off, s[0:3], 0 offset:284
	buffer_store_dword v82, off, s[0:3], 0 offset:280
.LBB103_36:
	;; [unrolled: 58-line block ×8, first 2 shown]
	s_or_b64 exec, exec, s[10:11]
	buffer_load_dword v82, off, s[0:3], 0 offset:224
	buffer_load_dword v83, off, s[0:3], 0 offset:228
	v_cmp_lt_u32_e64 s[4:5], 28, v0
	s_waitcnt vmcnt(0)
	ds_write_b64 v84, v[82:83]
	s_waitcnt lgkmcnt(0)
	; wave barrier
	s_waitcnt lgkmcnt(0)
	s_and_saveexec_b64 s[10:11], s[4:5]
	s_cbranch_execz .LBB103_106
; %bb.97:
	s_andn2_b64 vcc, exec, s[8:9]
	s_cbranch_vccnz .LBB103_99
; %bb.98:
	buffer_load_dword v82, v85, s[0:3], 0 offen
	buffer_load_dword v83, v85, s[0:3], 0 offen offset:4
	ds_read_b64 v[116:117], v84
	s_waitcnt vmcnt(0) lgkmcnt(0)
	v_mul_f64 v[82:83], v[82:83], v[116:117]
	s_cbranch_execz .LBB103_100
	s_branch .LBB103_101
.LBB103_99:
                                        ; implicit-def: $vgpr82_vgpr83
.LBB103_100:
	ds_read_b64 v[82:83], v84
.LBB103_101:
	s_and_saveexec_b64 s[12:13], s[6:7]
	s_cbranch_execz .LBB103_105
; %bb.102:
	v_subrev_u32_e32 v115, 29, v0
	s_movk_i32 s14, 0x228
	s_mov_b64 s[6:7], 0
.LBB103_103:                            ; =>This Inner Loop Header: Depth=1
	buffer_load_dword v116, v114, s[0:3], 0 offen
	buffer_load_dword v117, v114, s[0:3], 0 offen offset:4
	v_mov_b32_e32 v118, s14
	ds_read_b64 v[118:119], v118
	v_add_u32_e32 v115, -1, v115
	s_add_i32 s14, s14, 8
	v_cmp_eq_u32_e32 vcc, 0, v115
	v_add_u32_e32 v114, 8, v114
	s_or_b64 s[6:7], vcc, s[6:7]
	s_waitcnt vmcnt(0) lgkmcnt(0)
	v_fmac_f64_e32 v[82:83], v[116:117], v[118:119]
	s_andn2_b64 exec, exec, s[6:7]
	s_cbranch_execnz .LBB103_103
; %bb.104:
	s_or_b64 exec, exec, s[6:7]
.LBB103_105:
	s_or_b64 exec, exec, s[12:13]
	v_mov_b32_e32 v114, 0
	ds_read_b64 v[114:115], v114 offset:224
	s_waitcnt lgkmcnt(0)
	v_mul_f64 v[82:83], v[82:83], v[114:115]
	buffer_store_dword v83, off, s[0:3], 0 offset:228
	buffer_store_dword v82, off, s[0:3], 0 offset:224
.LBB103_106:
	s_or_b64 exec, exec, s[10:11]
	buffer_load_dword v82, off, s[0:3], 0 offset:216
	buffer_load_dword v83, off, s[0:3], 0 offset:220
	v_cmp_lt_u32_e64 s[6:7], 27, v0
	s_waitcnt vmcnt(0)
	ds_write_b64 v84, v[82:83]
	s_waitcnt lgkmcnt(0)
	; wave barrier
	s_waitcnt lgkmcnt(0)
	s_and_saveexec_b64 s[10:11], s[6:7]
	s_cbranch_execz .LBB103_116
; %bb.107:
	s_andn2_b64 vcc, exec, s[8:9]
	s_cbranch_vccnz .LBB103_109
; %bb.108:
	buffer_load_dword v82, v85, s[0:3], 0 offen
	buffer_load_dword v83, v85, s[0:3], 0 offen offset:4
	ds_read_b64 v[114:115], v84
	s_waitcnt vmcnt(0) lgkmcnt(0)
	v_mul_f64 v[82:83], v[82:83], v[114:115]
	s_cbranch_execz .LBB103_110
	s_branch .LBB103_111
.LBB103_109:
                                        ; implicit-def: $vgpr82_vgpr83
.LBB103_110:
	ds_read_b64 v[82:83], v84
.LBB103_111:
	s_and_saveexec_b64 s[12:13], s[4:5]
	s_cbranch_execz .LBB103_115
; %bb.112:
	v_subrev_u32_e32 v114, 28, v0
	s_movk_i32 s14, 0x220
	s_mov_b64 s[4:5], 0
.LBB103_113:                            ; =>This Inner Loop Header: Depth=1
	buffer_load_dword v116, v113, s[0:3], 0 offen
	buffer_load_dword v117, v113, s[0:3], 0 offen offset:4
	v_mov_b32_e32 v115, s14
	ds_read_b64 v[118:119], v115
	v_add_u32_e32 v114, -1, v114
	s_add_i32 s14, s14, 8
	v_cmp_eq_u32_e32 vcc, 0, v114
	v_add_u32_e32 v113, 8, v113
	s_or_b64 s[4:5], vcc, s[4:5]
	s_waitcnt vmcnt(0) lgkmcnt(0)
	v_fmac_f64_e32 v[82:83], v[116:117], v[118:119]
	s_andn2_b64 exec, exec, s[4:5]
	s_cbranch_execnz .LBB103_113
; %bb.114:
	s_or_b64 exec, exec, s[4:5]
.LBB103_115:
	s_or_b64 exec, exec, s[12:13]
	v_mov_b32_e32 v113, 0
	ds_read_b64 v[114:115], v113 offset:216
	s_waitcnt lgkmcnt(0)
	v_mul_f64 v[82:83], v[82:83], v[114:115]
	buffer_store_dword v83, off, s[0:3], 0 offset:220
	buffer_store_dword v82, off, s[0:3], 0 offset:216
.LBB103_116:
	;; [unrolled: 58-line block ×13, first 2 shown]
	s_or_b64 exec, exec, s[10:11]
	buffer_load_dword v82, off, s[0:3], 0 offset:120
	buffer_load_dword v83, off, s[0:3], 0 offset:124
	v_cmp_lt_u32_e64 s[6:7], 15, v0
	s_waitcnt vmcnt(0)
	ds_write_b64 v84, v[82:83]
	s_waitcnt lgkmcnt(0)
	; wave barrier
	s_waitcnt lgkmcnt(0)
	s_and_saveexec_b64 s[10:11], s[6:7]
	s_cbranch_execz .LBB103_236
; %bb.227:
	s_andn2_b64 vcc, exec, s[8:9]
	s_cbranch_vccnz .LBB103_229
; %bb.228:
	buffer_load_dword v82, v85, s[0:3], 0 offen
	buffer_load_dword v83, v85, s[0:3], 0 offen offset:4
	ds_read_b64 v[102:103], v84
	s_waitcnt vmcnt(0) lgkmcnt(0)
	v_mul_f64 v[82:83], v[82:83], v[102:103]
	s_cbranch_execz .LBB103_230
	s_branch .LBB103_231
.LBB103_229:
                                        ; implicit-def: $vgpr82_vgpr83
.LBB103_230:
	ds_read_b64 v[82:83], v84
.LBB103_231:
	s_and_saveexec_b64 s[12:13], s[4:5]
	s_cbranch_execz .LBB103_235
; %bb.232:
	v_add_u32_e32 v102, -16, v0
	s_movk_i32 s14, 0x1c0
	s_mov_b64 s[4:5], 0
.LBB103_233:                            ; =>This Inner Loop Header: Depth=1
	buffer_load_dword v104, v101, s[0:3], 0 offen
	buffer_load_dword v105, v101, s[0:3], 0 offen offset:4
	v_mov_b32_e32 v103, s14
	ds_read_b64 v[106:107], v103
	v_add_u32_e32 v102, -1, v102
	s_add_i32 s14, s14, 8
	v_cmp_eq_u32_e32 vcc, 0, v102
	v_add_u32_e32 v101, 8, v101
	s_or_b64 s[4:5], vcc, s[4:5]
	s_waitcnt vmcnt(0) lgkmcnt(0)
	v_fmac_f64_e32 v[82:83], v[104:105], v[106:107]
	s_andn2_b64 exec, exec, s[4:5]
	s_cbranch_execnz .LBB103_233
; %bb.234:
	s_or_b64 exec, exec, s[4:5]
.LBB103_235:
	s_or_b64 exec, exec, s[12:13]
	v_mov_b32_e32 v101, 0
	ds_read_b64 v[102:103], v101 offset:120
	s_waitcnt lgkmcnt(0)
	v_mul_f64 v[82:83], v[82:83], v[102:103]
	buffer_store_dword v83, off, s[0:3], 0 offset:124
	buffer_store_dword v82, off, s[0:3], 0 offset:120
.LBB103_236:
	s_or_b64 exec, exec, s[10:11]
	buffer_load_dword v82, off, s[0:3], 0 offset:112
	buffer_load_dword v83, off, s[0:3], 0 offset:116
	v_cmp_lt_u32_e64 s[4:5], 14, v0
	s_waitcnt vmcnt(0)
	ds_write_b64 v84, v[82:83]
	s_waitcnt lgkmcnt(0)
	; wave barrier
	s_waitcnt lgkmcnt(0)
	s_and_saveexec_b64 s[10:11], s[4:5]
	s_cbranch_execz .LBB103_246
; %bb.237:
	s_andn2_b64 vcc, exec, s[8:9]
	s_cbranch_vccnz .LBB103_239
; %bb.238:
	buffer_load_dword v82, v85, s[0:3], 0 offen
	buffer_load_dword v83, v85, s[0:3], 0 offen offset:4
	ds_read_b64 v[102:103], v84
	s_waitcnt vmcnt(0) lgkmcnt(0)
	v_mul_f64 v[82:83], v[82:83], v[102:103]
	s_cbranch_execz .LBB103_240
	s_branch .LBB103_241
.LBB103_239:
                                        ; implicit-def: $vgpr82_vgpr83
.LBB103_240:
	ds_read_b64 v[82:83], v84
.LBB103_241:
	s_and_saveexec_b64 s[12:13], s[6:7]
	s_cbranch_execz .LBB103_245
; %bb.242:
	v_add_u32_e32 v101, -15, v0
	s_movk_i32 s14, 0x1b8
	s_mov_b64 s[6:7], 0
.LBB103_243:                            ; =>This Inner Loop Header: Depth=1
	buffer_load_dword v102, v100, s[0:3], 0 offen
	buffer_load_dword v103, v100, s[0:3], 0 offen offset:4
	v_mov_b32_e32 v104, s14
	ds_read_b64 v[104:105], v104
	v_add_u32_e32 v101, -1, v101
	s_add_i32 s14, s14, 8
	v_cmp_eq_u32_e32 vcc, 0, v101
	v_add_u32_e32 v100, 8, v100
	s_or_b64 s[6:7], vcc, s[6:7]
	s_waitcnt vmcnt(0) lgkmcnt(0)
	v_fmac_f64_e32 v[82:83], v[102:103], v[104:105]
	s_andn2_b64 exec, exec, s[6:7]
	s_cbranch_execnz .LBB103_243
; %bb.244:
	s_or_b64 exec, exec, s[6:7]
.LBB103_245:
	s_or_b64 exec, exec, s[12:13]
	v_mov_b32_e32 v100, 0
	ds_read_b64 v[100:101], v100 offset:112
	s_waitcnt lgkmcnt(0)
	v_mul_f64 v[82:83], v[82:83], v[100:101]
	buffer_store_dword v83, off, s[0:3], 0 offset:116
	buffer_store_dword v82, off, s[0:3], 0 offset:112
.LBB103_246:
	s_or_b64 exec, exec, s[10:11]
	buffer_load_dword v82, off, s[0:3], 0 offset:104
	buffer_load_dword v83, off, s[0:3], 0 offset:108
	v_cmp_lt_u32_e64 s[6:7], 13, v0
	s_waitcnt vmcnt(0)
	ds_write_b64 v84, v[82:83]
	s_waitcnt lgkmcnt(0)
	; wave barrier
	s_waitcnt lgkmcnt(0)
	s_and_saveexec_b64 s[10:11], s[6:7]
	s_cbranch_execz .LBB103_256
; %bb.247:
	s_andn2_b64 vcc, exec, s[8:9]
	s_cbranch_vccnz .LBB103_249
; %bb.248:
	buffer_load_dword v82, v85, s[0:3], 0 offen
	buffer_load_dword v83, v85, s[0:3], 0 offen offset:4
	ds_read_b64 v[100:101], v84
	s_waitcnt vmcnt(0) lgkmcnt(0)
	v_mul_f64 v[82:83], v[82:83], v[100:101]
	s_cbranch_execz .LBB103_250
	s_branch .LBB103_251
.LBB103_249:
                                        ; implicit-def: $vgpr82_vgpr83
.LBB103_250:
	ds_read_b64 v[82:83], v84
.LBB103_251:
	s_and_saveexec_b64 s[12:13], s[4:5]
	s_cbranch_execz .LBB103_255
; %bb.252:
	v_add_u32_e32 v100, -14, v0
	s_movk_i32 s14, 0x1b0
	s_mov_b64 s[4:5], 0
.LBB103_253:                            ; =>This Inner Loop Header: Depth=1
	buffer_load_dword v102, v99, s[0:3], 0 offen
	buffer_load_dword v103, v99, s[0:3], 0 offen offset:4
	v_mov_b32_e32 v101, s14
	ds_read_b64 v[104:105], v101
	v_add_u32_e32 v100, -1, v100
	s_add_i32 s14, s14, 8
	v_cmp_eq_u32_e32 vcc, 0, v100
	v_add_u32_e32 v99, 8, v99
	s_or_b64 s[4:5], vcc, s[4:5]
	s_waitcnt vmcnt(0) lgkmcnt(0)
	v_fmac_f64_e32 v[82:83], v[102:103], v[104:105]
	s_andn2_b64 exec, exec, s[4:5]
	s_cbranch_execnz .LBB103_253
; %bb.254:
	s_or_b64 exec, exec, s[4:5]
.LBB103_255:
	s_or_b64 exec, exec, s[12:13]
	v_mov_b32_e32 v99, 0
	ds_read_b64 v[100:101], v99 offset:104
	s_waitcnt lgkmcnt(0)
	v_mul_f64 v[82:83], v[82:83], v[100:101]
	buffer_store_dword v83, off, s[0:3], 0 offset:108
	buffer_store_dword v82, off, s[0:3], 0 offset:104
.LBB103_256:
	s_or_b64 exec, exec, s[10:11]
	buffer_load_dword v82, off, s[0:3], 0 offset:96
	buffer_load_dword v83, off, s[0:3], 0 offset:100
	v_cmp_lt_u32_e64 s[4:5], 12, v0
	s_waitcnt vmcnt(0)
	ds_write_b64 v84, v[82:83]
	s_waitcnt lgkmcnt(0)
	; wave barrier
	s_waitcnt lgkmcnt(0)
	s_and_saveexec_b64 s[10:11], s[4:5]
	s_cbranch_execz .LBB103_266
; %bb.257:
	s_andn2_b64 vcc, exec, s[8:9]
	s_cbranch_vccnz .LBB103_259
; %bb.258:
	buffer_load_dword v82, v85, s[0:3], 0 offen
	buffer_load_dword v83, v85, s[0:3], 0 offen offset:4
	ds_read_b64 v[100:101], v84
	s_waitcnt vmcnt(0) lgkmcnt(0)
	v_mul_f64 v[82:83], v[82:83], v[100:101]
	s_cbranch_execz .LBB103_260
	s_branch .LBB103_261
.LBB103_259:
                                        ; implicit-def: $vgpr82_vgpr83
.LBB103_260:
	ds_read_b64 v[82:83], v84
.LBB103_261:
	s_and_saveexec_b64 s[12:13], s[6:7]
	s_cbranch_execz .LBB103_265
; %bb.262:
	v_add_u32_e32 v99, -13, v0
	s_movk_i32 s14, 0x1a8
	s_mov_b64 s[6:7], 0
.LBB103_263:                            ; =>This Inner Loop Header: Depth=1
	buffer_load_dword v100, v98, s[0:3], 0 offen
	buffer_load_dword v101, v98, s[0:3], 0 offen offset:4
	v_mov_b32_e32 v102, s14
	ds_read_b64 v[102:103], v102
	v_add_u32_e32 v99, -1, v99
	s_add_i32 s14, s14, 8
	v_cmp_eq_u32_e32 vcc, 0, v99
	v_add_u32_e32 v98, 8, v98
	s_or_b64 s[6:7], vcc, s[6:7]
	s_waitcnt vmcnt(0) lgkmcnt(0)
	v_fmac_f64_e32 v[82:83], v[100:101], v[102:103]
	s_andn2_b64 exec, exec, s[6:7]
	s_cbranch_execnz .LBB103_263
; %bb.264:
	s_or_b64 exec, exec, s[6:7]
.LBB103_265:
	s_or_b64 exec, exec, s[12:13]
	v_mov_b32_e32 v98, 0
	ds_read_b64 v[98:99], v98 offset:96
	s_waitcnt lgkmcnt(0)
	v_mul_f64 v[82:83], v[82:83], v[98:99]
	buffer_store_dword v83, off, s[0:3], 0 offset:100
	buffer_store_dword v82, off, s[0:3], 0 offset:96
.LBB103_266:
	s_or_b64 exec, exec, s[10:11]
	buffer_load_dword v82, off, s[0:3], 0 offset:88
	buffer_load_dword v83, off, s[0:3], 0 offset:92
	v_cmp_lt_u32_e64 s[6:7], 11, v0
	s_waitcnt vmcnt(0)
	ds_write_b64 v84, v[82:83]
	s_waitcnt lgkmcnt(0)
	; wave barrier
	s_waitcnt lgkmcnt(0)
	s_and_saveexec_b64 s[10:11], s[6:7]
	s_cbranch_execz .LBB103_276
; %bb.267:
	s_andn2_b64 vcc, exec, s[8:9]
	s_cbranch_vccnz .LBB103_269
; %bb.268:
	buffer_load_dword v82, v85, s[0:3], 0 offen
	buffer_load_dword v83, v85, s[0:3], 0 offen offset:4
	ds_read_b64 v[98:99], v84
	s_waitcnt vmcnt(0) lgkmcnt(0)
	v_mul_f64 v[82:83], v[82:83], v[98:99]
	s_cbranch_execz .LBB103_270
	s_branch .LBB103_271
.LBB103_269:
                                        ; implicit-def: $vgpr82_vgpr83
.LBB103_270:
	ds_read_b64 v[82:83], v84
.LBB103_271:
	s_and_saveexec_b64 s[12:13], s[4:5]
	s_cbranch_execz .LBB103_275
; %bb.272:
	v_add_u32_e32 v98, -12, v0
	s_movk_i32 s14, 0x1a0
	s_mov_b64 s[4:5], 0
.LBB103_273:                            ; =>This Inner Loop Header: Depth=1
	buffer_load_dword v100, v97, s[0:3], 0 offen
	buffer_load_dword v101, v97, s[0:3], 0 offen offset:4
	v_mov_b32_e32 v99, s14
	ds_read_b64 v[102:103], v99
	v_add_u32_e32 v98, -1, v98
	s_add_i32 s14, s14, 8
	v_cmp_eq_u32_e32 vcc, 0, v98
	v_add_u32_e32 v97, 8, v97
	s_or_b64 s[4:5], vcc, s[4:5]
	s_waitcnt vmcnt(0) lgkmcnt(0)
	v_fmac_f64_e32 v[82:83], v[100:101], v[102:103]
	s_andn2_b64 exec, exec, s[4:5]
	s_cbranch_execnz .LBB103_273
; %bb.274:
	s_or_b64 exec, exec, s[4:5]
.LBB103_275:
	s_or_b64 exec, exec, s[12:13]
	v_mov_b32_e32 v97, 0
	ds_read_b64 v[98:99], v97 offset:88
	s_waitcnt lgkmcnt(0)
	v_mul_f64 v[82:83], v[82:83], v[98:99]
	buffer_store_dword v83, off, s[0:3], 0 offset:92
	buffer_store_dword v82, off, s[0:3], 0 offset:88
.LBB103_276:
	s_or_b64 exec, exec, s[10:11]
	buffer_load_dword v82, off, s[0:3], 0 offset:80
	buffer_load_dword v83, off, s[0:3], 0 offset:84
	v_cmp_lt_u32_e64 s[4:5], 10, v0
	s_waitcnt vmcnt(0)
	ds_write_b64 v84, v[82:83]
	s_waitcnt lgkmcnt(0)
	; wave barrier
	s_waitcnt lgkmcnt(0)
	s_and_saveexec_b64 s[10:11], s[4:5]
	s_cbranch_execz .LBB103_286
; %bb.277:
	s_andn2_b64 vcc, exec, s[8:9]
	s_cbranch_vccnz .LBB103_279
; %bb.278:
	buffer_load_dword v82, v85, s[0:3], 0 offen
	buffer_load_dword v83, v85, s[0:3], 0 offen offset:4
	ds_read_b64 v[98:99], v84
	s_waitcnt vmcnt(0) lgkmcnt(0)
	v_mul_f64 v[82:83], v[82:83], v[98:99]
	s_cbranch_execz .LBB103_280
	s_branch .LBB103_281
.LBB103_279:
                                        ; implicit-def: $vgpr82_vgpr83
.LBB103_280:
	ds_read_b64 v[82:83], v84
.LBB103_281:
	s_and_saveexec_b64 s[12:13], s[6:7]
	s_cbranch_execz .LBB103_285
; %bb.282:
	v_add_u32_e32 v97, -11, v0
	s_movk_i32 s14, 0x198
	s_mov_b64 s[6:7], 0
.LBB103_283:                            ; =>This Inner Loop Header: Depth=1
	buffer_load_dword v98, v96, s[0:3], 0 offen
	buffer_load_dword v99, v96, s[0:3], 0 offen offset:4
	v_mov_b32_e32 v100, s14
	ds_read_b64 v[100:101], v100
	v_add_u32_e32 v97, -1, v97
	s_add_i32 s14, s14, 8
	v_cmp_eq_u32_e32 vcc, 0, v97
	v_add_u32_e32 v96, 8, v96
	s_or_b64 s[6:7], vcc, s[6:7]
	s_waitcnt vmcnt(0) lgkmcnt(0)
	v_fmac_f64_e32 v[82:83], v[98:99], v[100:101]
	s_andn2_b64 exec, exec, s[6:7]
	s_cbranch_execnz .LBB103_283
; %bb.284:
	s_or_b64 exec, exec, s[6:7]
.LBB103_285:
	s_or_b64 exec, exec, s[12:13]
	v_mov_b32_e32 v96, 0
	ds_read_b64 v[96:97], v96 offset:80
	s_waitcnt lgkmcnt(0)
	v_mul_f64 v[82:83], v[82:83], v[96:97]
	buffer_store_dword v83, off, s[0:3], 0 offset:84
	buffer_store_dword v82, off, s[0:3], 0 offset:80
.LBB103_286:
	s_or_b64 exec, exec, s[10:11]
	buffer_load_dword v82, off, s[0:3], 0 offset:72
	buffer_load_dword v83, off, s[0:3], 0 offset:76
	v_cmp_lt_u32_e64 s[6:7], 9, v0
	s_waitcnt vmcnt(0)
	ds_write_b64 v84, v[82:83]
	s_waitcnt lgkmcnt(0)
	; wave barrier
	s_waitcnt lgkmcnt(0)
	s_and_saveexec_b64 s[10:11], s[6:7]
	s_cbranch_execz .LBB103_296
; %bb.287:
	s_andn2_b64 vcc, exec, s[8:9]
	s_cbranch_vccnz .LBB103_289
; %bb.288:
	buffer_load_dword v82, v85, s[0:3], 0 offen
	buffer_load_dword v83, v85, s[0:3], 0 offen offset:4
	ds_read_b64 v[96:97], v84
	s_waitcnt vmcnt(0) lgkmcnt(0)
	v_mul_f64 v[82:83], v[82:83], v[96:97]
	s_cbranch_execz .LBB103_290
	s_branch .LBB103_291
.LBB103_289:
                                        ; implicit-def: $vgpr82_vgpr83
.LBB103_290:
	ds_read_b64 v[82:83], v84
.LBB103_291:
	s_and_saveexec_b64 s[12:13], s[4:5]
	s_cbranch_execz .LBB103_295
; %bb.292:
	v_add_u32_e32 v96, -10, v0
	s_movk_i32 s14, 0x190
	s_mov_b64 s[4:5], 0
.LBB103_293:                            ; =>This Inner Loop Header: Depth=1
	buffer_load_dword v98, v95, s[0:3], 0 offen
	buffer_load_dword v99, v95, s[0:3], 0 offen offset:4
	v_mov_b32_e32 v97, s14
	ds_read_b64 v[100:101], v97
	v_add_u32_e32 v96, -1, v96
	s_add_i32 s14, s14, 8
	v_cmp_eq_u32_e32 vcc, 0, v96
	v_add_u32_e32 v95, 8, v95
	s_or_b64 s[4:5], vcc, s[4:5]
	s_waitcnt vmcnt(0) lgkmcnt(0)
	v_fmac_f64_e32 v[82:83], v[98:99], v[100:101]
	s_andn2_b64 exec, exec, s[4:5]
	s_cbranch_execnz .LBB103_293
; %bb.294:
	s_or_b64 exec, exec, s[4:5]
.LBB103_295:
	s_or_b64 exec, exec, s[12:13]
	v_mov_b32_e32 v95, 0
	ds_read_b64 v[96:97], v95 offset:72
	s_waitcnt lgkmcnt(0)
	v_mul_f64 v[82:83], v[82:83], v[96:97]
	buffer_store_dword v83, off, s[0:3], 0 offset:76
	buffer_store_dword v82, off, s[0:3], 0 offset:72
.LBB103_296:
	s_or_b64 exec, exec, s[10:11]
	buffer_load_dword v82, off, s[0:3], 0 offset:64
	buffer_load_dword v83, off, s[0:3], 0 offset:68
	v_cmp_lt_u32_e64 s[4:5], 8, v0
	s_waitcnt vmcnt(0)
	ds_write_b64 v84, v[82:83]
	s_waitcnt lgkmcnt(0)
	; wave barrier
	s_waitcnt lgkmcnt(0)
	s_and_saveexec_b64 s[10:11], s[4:5]
	s_cbranch_execz .LBB103_306
; %bb.297:
	s_andn2_b64 vcc, exec, s[8:9]
	s_cbranch_vccnz .LBB103_299
; %bb.298:
	buffer_load_dword v82, v85, s[0:3], 0 offen
	buffer_load_dword v83, v85, s[0:3], 0 offen offset:4
	ds_read_b64 v[96:97], v84
	s_waitcnt vmcnt(0) lgkmcnt(0)
	v_mul_f64 v[82:83], v[82:83], v[96:97]
	s_cbranch_execz .LBB103_300
	s_branch .LBB103_301
.LBB103_299:
                                        ; implicit-def: $vgpr82_vgpr83
.LBB103_300:
	ds_read_b64 v[82:83], v84
.LBB103_301:
	s_and_saveexec_b64 s[12:13], s[6:7]
	s_cbranch_execz .LBB103_305
; %bb.302:
	v_add_u32_e32 v95, -9, v0
	s_movk_i32 s14, 0x188
	s_mov_b64 s[6:7], 0
.LBB103_303:                            ; =>This Inner Loop Header: Depth=1
	buffer_load_dword v96, v94, s[0:3], 0 offen
	buffer_load_dword v97, v94, s[0:3], 0 offen offset:4
	v_mov_b32_e32 v98, s14
	ds_read_b64 v[98:99], v98
	v_add_u32_e32 v95, -1, v95
	s_add_i32 s14, s14, 8
	v_cmp_eq_u32_e32 vcc, 0, v95
	v_add_u32_e32 v94, 8, v94
	s_or_b64 s[6:7], vcc, s[6:7]
	s_waitcnt vmcnt(0) lgkmcnt(0)
	v_fmac_f64_e32 v[82:83], v[96:97], v[98:99]
	s_andn2_b64 exec, exec, s[6:7]
	s_cbranch_execnz .LBB103_303
; %bb.304:
	s_or_b64 exec, exec, s[6:7]
.LBB103_305:
	s_or_b64 exec, exec, s[12:13]
	v_mov_b32_e32 v94, 0
	ds_read_b64 v[94:95], v94 offset:64
	s_waitcnt lgkmcnt(0)
	v_mul_f64 v[82:83], v[82:83], v[94:95]
	buffer_store_dword v83, off, s[0:3], 0 offset:68
	buffer_store_dword v82, off, s[0:3], 0 offset:64
.LBB103_306:
	s_or_b64 exec, exec, s[10:11]
	buffer_load_dword v82, off, s[0:3], 0 offset:56
	buffer_load_dword v83, off, s[0:3], 0 offset:60
	v_cmp_lt_u32_e64 s[6:7], 7, v0
	s_waitcnt vmcnt(0)
	ds_write_b64 v84, v[82:83]
	s_waitcnt lgkmcnt(0)
	; wave barrier
	s_waitcnt lgkmcnt(0)
	s_and_saveexec_b64 s[10:11], s[6:7]
	s_cbranch_execz .LBB103_316
; %bb.307:
	s_andn2_b64 vcc, exec, s[8:9]
	s_cbranch_vccnz .LBB103_309
; %bb.308:
	buffer_load_dword v82, v85, s[0:3], 0 offen
	buffer_load_dword v83, v85, s[0:3], 0 offen offset:4
	ds_read_b64 v[94:95], v84
	s_waitcnt vmcnt(0) lgkmcnt(0)
	v_mul_f64 v[82:83], v[82:83], v[94:95]
	s_cbranch_execz .LBB103_310
	s_branch .LBB103_311
.LBB103_309:
                                        ; implicit-def: $vgpr82_vgpr83
.LBB103_310:
	ds_read_b64 v[82:83], v84
.LBB103_311:
	s_and_saveexec_b64 s[12:13], s[4:5]
	s_cbranch_execz .LBB103_315
; %bb.312:
	v_add_u32_e32 v94, -8, v0
	s_movk_i32 s14, 0x180
	s_mov_b64 s[4:5], 0
.LBB103_313:                            ; =>This Inner Loop Header: Depth=1
	buffer_load_dword v96, v93, s[0:3], 0 offen
	buffer_load_dword v97, v93, s[0:3], 0 offen offset:4
	v_mov_b32_e32 v95, s14
	ds_read_b64 v[98:99], v95
	v_add_u32_e32 v94, -1, v94
	s_add_i32 s14, s14, 8
	v_cmp_eq_u32_e32 vcc, 0, v94
	v_add_u32_e32 v93, 8, v93
	s_or_b64 s[4:5], vcc, s[4:5]
	s_waitcnt vmcnt(0) lgkmcnt(0)
	v_fmac_f64_e32 v[82:83], v[96:97], v[98:99]
	s_andn2_b64 exec, exec, s[4:5]
	s_cbranch_execnz .LBB103_313
; %bb.314:
	s_or_b64 exec, exec, s[4:5]
.LBB103_315:
	s_or_b64 exec, exec, s[12:13]
	v_mov_b32_e32 v93, 0
	ds_read_b64 v[94:95], v93 offset:56
	s_waitcnt lgkmcnt(0)
	v_mul_f64 v[82:83], v[82:83], v[94:95]
	buffer_store_dword v83, off, s[0:3], 0 offset:60
	buffer_store_dword v82, off, s[0:3], 0 offset:56
.LBB103_316:
	s_or_b64 exec, exec, s[10:11]
	buffer_load_dword v82, off, s[0:3], 0 offset:48
	buffer_load_dword v83, off, s[0:3], 0 offset:52
	v_cmp_lt_u32_e64 s[4:5], 6, v0
	s_waitcnt vmcnt(0)
	ds_write_b64 v84, v[82:83]
	s_waitcnt lgkmcnt(0)
	; wave barrier
	s_waitcnt lgkmcnt(0)
	s_and_saveexec_b64 s[10:11], s[4:5]
	s_cbranch_execz .LBB103_326
; %bb.317:
	s_andn2_b64 vcc, exec, s[8:9]
	s_cbranch_vccnz .LBB103_319
; %bb.318:
	buffer_load_dword v82, v85, s[0:3], 0 offen
	buffer_load_dword v83, v85, s[0:3], 0 offen offset:4
	ds_read_b64 v[94:95], v84
	s_waitcnt vmcnt(0) lgkmcnt(0)
	v_mul_f64 v[82:83], v[82:83], v[94:95]
	s_cbranch_execz .LBB103_320
	s_branch .LBB103_321
.LBB103_319:
                                        ; implicit-def: $vgpr82_vgpr83
.LBB103_320:
	ds_read_b64 v[82:83], v84
.LBB103_321:
	s_and_saveexec_b64 s[12:13], s[6:7]
	s_cbranch_execz .LBB103_325
; %bb.322:
	v_add_u32_e32 v93, -7, v0
	s_movk_i32 s14, 0x178
	s_mov_b64 s[6:7], 0
.LBB103_323:                            ; =>This Inner Loop Header: Depth=1
	buffer_load_dword v94, v92, s[0:3], 0 offen
	buffer_load_dword v95, v92, s[0:3], 0 offen offset:4
	v_mov_b32_e32 v96, s14
	ds_read_b64 v[96:97], v96
	v_add_u32_e32 v93, -1, v93
	s_add_i32 s14, s14, 8
	v_cmp_eq_u32_e32 vcc, 0, v93
	v_add_u32_e32 v92, 8, v92
	s_or_b64 s[6:7], vcc, s[6:7]
	s_waitcnt vmcnt(0) lgkmcnt(0)
	v_fmac_f64_e32 v[82:83], v[94:95], v[96:97]
	s_andn2_b64 exec, exec, s[6:7]
	s_cbranch_execnz .LBB103_323
; %bb.324:
	s_or_b64 exec, exec, s[6:7]
.LBB103_325:
	s_or_b64 exec, exec, s[12:13]
	v_mov_b32_e32 v92, 0
	ds_read_b64 v[92:93], v92 offset:48
	s_waitcnt lgkmcnt(0)
	v_mul_f64 v[82:83], v[82:83], v[92:93]
	buffer_store_dword v83, off, s[0:3], 0 offset:52
	buffer_store_dword v82, off, s[0:3], 0 offset:48
.LBB103_326:
	s_or_b64 exec, exec, s[10:11]
	buffer_load_dword v82, off, s[0:3], 0 offset:40
	buffer_load_dword v83, off, s[0:3], 0 offset:44
	v_cmp_lt_u32_e64 s[6:7], 5, v0
	s_waitcnt vmcnt(0)
	ds_write_b64 v84, v[82:83]
	s_waitcnt lgkmcnt(0)
	; wave barrier
	s_waitcnt lgkmcnt(0)
	s_and_saveexec_b64 s[10:11], s[6:7]
	s_cbranch_execz .LBB103_336
; %bb.327:
	s_andn2_b64 vcc, exec, s[8:9]
	s_cbranch_vccnz .LBB103_329
; %bb.328:
	buffer_load_dword v82, v85, s[0:3], 0 offen
	buffer_load_dword v83, v85, s[0:3], 0 offen offset:4
	ds_read_b64 v[92:93], v84
	s_waitcnt vmcnt(0) lgkmcnt(0)
	v_mul_f64 v[82:83], v[82:83], v[92:93]
	s_cbranch_execz .LBB103_330
	s_branch .LBB103_331
.LBB103_329:
                                        ; implicit-def: $vgpr82_vgpr83
.LBB103_330:
	ds_read_b64 v[82:83], v84
.LBB103_331:
	s_and_saveexec_b64 s[12:13], s[4:5]
	s_cbranch_execz .LBB103_335
; %bb.332:
	v_add_u32_e32 v92, -6, v0
	s_movk_i32 s14, 0x170
	s_mov_b64 s[4:5], 0
.LBB103_333:                            ; =>This Inner Loop Header: Depth=1
	buffer_load_dword v94, v91, s[0:3], 0 offen
	buffer_load_dword v95, v91, s[0:3], 0 offen offset:4
	v_mov_b32_e32 v93, s14
	ds_read_b64 v[96:97], v93
	v_add_u32_e32 v92, -1, v92
	s_add_i32 s14, s14, 8
	v_cmp_eq_u32_e32 vcc, 0, v92
	v_add_u32_e32 v91, 8, v91
	s_or_b64 s[4:5], vcc, s[4:5]
	s_waitcnt vmcnt(0) lgkmcnt(0)
	v_fmac_f64_e32 v[82:83], v[94:95], v[96:97]
	s_andn2_b64 exec, exec, s[4:5]
	s_cbranch_execnz .LBB103_333
; %bb.334:
	s_or_b64 exec, exec, s[4:5]
.LBB103_335:
	s_or_b64 exec, exec, s[12:13]
	v_mov_b32_e32 v91, 0
	ds_read_b64 v[92:93], v91 offset:40
	s_waitcnt lgkmcnt(0)
	v_mul_f64 v[82:83], v[82:83], v[92:93]
	buffer_store_dword v83, off, s[0:3], 0 offset:44
	buffer_store_dword v82, off, s[0:3], 0 offset:40
.LBB103_336:
	s_or_b64 exec, exec, s[10:11]
	buffer_load_dword v82, off, s[0:3], 0 offset:32
	buffer_load_dword v83, off, s[0:3], 0 offset:36
	v_cmp_lt_u32_e64 s[4:5], 4, v0
	s_waitcnt vmcnt(0)
	ds_write_b64 v84, v[82:83]
	s_waitcnt lgkmcnt(0)
	; wave barrier
	s_waitcnt lgkmcnt(0)
	s_and_saveexec_b64 s[10:11], s[4:5]
	s_cbranch_execz .LBB103_346
; %bb.337:
	s_andn2_b64 vcc, exec, s[8:9]
	s_cbranch_vccnz .LBB103_339
; %bb.338:
	buffer_load_dword v82, v85, s[0:3], 0 offen
	buffer_load_dword v83, v85, s[0:3], 0 offen offset:4
	ds_read_b64 v[92:93], v84
	s_waitcnt vmcnt(0) lgkmcnt(0)
	v_mul_f64 v[82:83], v[82:83], v[92:93]
	s_cbranch_execz .LBB103_340
	s_branch .LBB103_341
.LBB103_339:
                                        ; implicit-def: $vgpr82_vgpr83
.LBB103_340:
	ds_read_b64 v[82:83], v84
.LBB103_341:
	s_and_saveexec_b64 s[12:13], s[6:7]
	s_cbranch_execz .LBB103_345
; %bb.342:
	v_add_u32_e32 v91, -5, v0
	s_movk_i32 s14, 0x168
	s_mov_b64 s[6:7], 0
.LBB103_343:                            ; =>This Inner Loop Header: Depth=1
	buffer_load_dword v92, v90, s[0:3], 0 offen
	buffer_load_dword v93, v90, s[0:3], 0 offen offset:4
	v_mov_b32_e32 v94, s14
	ds_read_b64 v[94:95], v94
	v_add_u32_e32 v91, -1, v91
	s_add_i32 s14, s14, 8
	v_cmp_eq_u32_e32 vcc, 0, v91
	v_add_u32_e32 v90, 8, v90
	s_or_b64 s[6:7], vcc, s[6:7]
	s_waitcnt vmcnt(0) lgkmcnt(0)
	v_fmac_f64_e32 v[82:83], v[92:93], v[94:95]
	s_andn2_b64 exec, exec, s[6:7]
	s_cbranch_execnz .LBB103_343
; %bb.344:
	s_or_b64 exec, exec, s[6:7]
.LBB103_345:
	s_or_b64 exec, exec, s[12:13]
	v_mov_b32_e32 v90, 0
	ds_read_b64 v[90:91], v90 offset:32
	s_waitcnt lgkmcnt(0)
	v_mul_f64 v[82:83], v[82:83], v[90:91]
	buffer_store_dword v83, off, s[0:3], 0 offset:36
	buffer_store_dword v82, off, s[0:3], 0 offset:32
.LBB103_346:
	s_or_b64 exec, exec, s[10:11]
	buffer_load_dword v82, off, s[0:3], 0 offset:24
	buffer_load_dword v83, off, s[0:3], 0 offset:28
	v_cmp_lt_u32_e64 s[6:7], 3, v0
	s_waitcnt vmcnt(0)
	ds_write_b64 v84, v[82:83]
	s_waitcnt lgkmcnt(0)
	; wave barrier
	s_waitcnt lgkmcnt(0)
	s_and_saveexec_b64 s[10:11], s[6:7]
	s_cbranch_execz .LBB103_356
; %bb.347:
	s_andn2_b64 vcc, exec, s[8:9]
	s_cbranch_vccnz .LBB103_349
; %bb.348:
	buffer_load_dword v82, v85, s[0:3], 0 offen
	buffer_load_dword v83, v85, s[0:3], 0 offen offset:4
	ds_read_b64 v[90:91], v84
	s_waitcnt vmcnt(0) lgkmcnt(0)
	v_mul_f64 v[82:83], v[82:83], v[90:91]
	s_cbranch_execz .LBB103_350
	s_branch .LBB103_351
.LBB103_349:
                                        ; implicit-def: $vgpr82_vgpr83
.LBB103_350:
	ds_read_b64 v[82:83], v84
.LBB103_351:
	s_and_saveexec_b64 s[12:13], s[4:5]
	s_cbranch_execz .LBB103_355
; %bb.352:
	v_add_u32_e32 v90, -4, v0
	s_movk_i32 s14, 0x160
	s_mov_b64 s[4:5], 0
.LBB103_353:                            ; =>This Inner Loop Header: Depth=1
	buffer_load_dword v92, v89, s[0:3], 0 offen
	buffer_load_dword v93, v89, s[0:3], 0 offen offset:4
	v_mov_b32_e32 v91, s14
	ds_read_b64 v[94:95], v91
	v_add_u32_e32 v90, -1, v90
	s_add_i32 s14, s14, 8
	v_cmp_eq_u32_e32 vcc, 0, v90
	v_add_u32_e32 v89, 8, v89
	s_or_b64 s[4:5], vcc, s[4:5]
	s_waitcnt vmcnt(0) lgkmcnt(0)
	v_fmac_f64_e32 v[82:83], v[92:93], v[94:95]
	s_andn2_b64 exec, exec, s[4:5]
	s_cbranch_execnz .LBB103_353
; %bb.354:
	s_or_b64 exec, exec, s[4:5]
.LBB103_355:
	s_or_b64 exec, exec, s[12:13]
	v_mov_b32_e32 v89, 0
	ds_read_b64 v[90:91], v89 offset:24
	s_waitcnt lgkmcnt(0)
	v_mul_f64 v[82:83], v[82:83], v[90:91]
	buffer_store_dword v83, off, s[0:3], 0 offset:28
	buffer_store_dword v82, off, s[0:3], 0 offset:24
.LBB103_356:
	s_or_b64 exec, exec, s[10:11]
	buffer_load_dword v82, off, s[0:3], 0 offset:16
	buffer_load_dword v83, off, s[0:3], 0 offset:20
	v_cmp_lt_u32_e64 s[4:5], 2, v0
	s_waitcnt vmcnt(0)
	ds_write_b64 v84, v[82:83]
	s_waitcnt lgkmcnt(0)
	; wave barrier
	s_waitcnt lgkmcnt(0)
	s_and_saveexec_b64 s[10:11], s[4:5]
	s_cbranch_execz .LBB103_366
; %bb.357:
	s_andn2_b64 vcc, exec, s[8:9]
	s_cbranch_vccnz .LBB103_359
; %bb.358:
	buffer_load_dword v82, v85, s[0:3], 0 offen
	buffer_load_dword v83, v85, s[0:3], 0 offen offset:4
	ds_read_b64 v[90:91], v84
	s_waitcnt vmcnt(0) lgkmcnt(0)
	v_mul_f64 v[82:83], v[82:83], v[90:91]
	s_cbranch_execz .LBB103_360
	s_branch .LBB103_361
.LBB103_359:
                                        ; implicit-def: $vgpr82_vgpr83
.LBB103_360:
	ds_read_b64 v[82:83], v84
.LBB103_361:
	s_and_saveexec_b64 s[12:13], s[6:7]
	s_cbranch_execz .LBB103_365
; %bb.362:
	v_add_u32_e32 v89, -3, v0
	s_movk_i32 s14, 0x158
	s_mov_b64 s[6:7], 0
.LBB103_363:                            ; =>This Inner Loop Header: Depth=1
	buffer_load_dword v90, v88, s[0:3], 0 offen
	buffer_load_dword v91, v88, s[0:3], 0 offen offset:4
	v_mov_b32_e32 v92, s14
	ds_read_b64 v[92:93], v92
	v_add_u32_e32 v89, -1, v89
	s_add_i32 s14, s14, 8
	v_cmp_eq_u32_e32 vcc, 0, v89
	v_add_u32_e32 v88, 8, v88
	s_or_b64 s[6:7], vcc, s[6:7]
	s_waitcnt vmcnt(0) lgkmcnt(0)
	v_fmac_f64_e32 v[82:83], v[90:91], v[92:93]
	s_andn2_b64 exec, exec, s[6:7]
	s_cbranch_execnz .LBB103_363
; %bb.364:
	s_or_b64 exec, exec, s[6:7]
.LBB103_365:
	s_or_b64 exec, exec, s[12:13]
	v_mov_b32_e32 v88, 0
	ds_read_b64 v[88:89], v88 offset:16
	s_waitcnt lgkmcnt(0)
	v_mul_f64 v[82:83], v[82:83], v[88:89]
	buffer_store_dword v83, off, s[0:3], 0 offset:20
	buffer_store_dword v82, off, s[0:3], 0 offset:16
.LBB103_366:
	s_or_b64 exec, exec, s[10:11]
	buffer_load_dword v82, off, s[0:3], 0 offset:8
	buffer_load_dword v83, off, s[0:3], 0 offset:12
	v_cmp_lt_u32_e64 s[6:7], 1, v0
	s_waitcnt vmcnt(0)
	ds_write_b64 v84, v[82:83]
	s_waitcnt lgkmcnt(0)
	; wave barrier
	s_waitcnt lgkmcnt(0)
	s_and_saveexec_b64 s[10:11], s[6:7]
	s_cbranch_execz .LBB103_376
; %bb.367:
	s_andn2_b64 vcc, exec, s[8:9]
	s_cbranch_vccnz .LBB103_369
; %bb.368:
	buffer_load_dword v82, v85, s[0:3], 0 offen
	buffer_load_dword v83, v85, s[0:3], 0 offen offset:4
	ds_read_b64 v[88:89], v84
	s_waitcnt vmcnt(0) lgkmcnt(0)
	v_mul_f64 v[82:83], v[82:83], v[88:89]
	s_cbranch_execz .LBB103_370
	s_branch .LBB103_371
.LBB103_369:
                                        ; implicit-def: $vgpr82_vgpr83
.LBB103_370:
	ds_read_b64 v[82:83], v84
.LBB103_371:
	s_and_saveexec_b64 s[12:13], s[4:5]
	s_cbranch_execz .LBB103_375
; %bb.372:
	v_add_u32_e32 v88, -2, v0
	s_movk_i32 s14, 0x150
	s_mov_b64 s[4:5], 0
.LBB103_373:                            ; =>This Inner Loop Header: Depth=1
	buffer_load_dword v90, v87, s[0:3], 0 offen
	buffer_load_dword v91, v87, s[0:3], 0 offen offset:4
	v_mov_b32_e32 v89, s14
	ds_read_b64 v[92:93], v89
	v_add_u32_e32 v88, -1, v88
	s_add_i32 s14, s14, 8
	v_cmp_eq_u32_e32 vcc, 0, v88
	v_add_u32_e32 v87, 8, v87
	s_or_b64 s[4:5], vcc, s[4:5]
	s_waitcnt vmcnt(0) lgkmcnt(0)
	v_fmac_f64_e32 v[82:83], v[90:91], v[92:93]
	s_andn2_b64 exec, exec, s[4:5]
	s_cbranch_execnz .LBB103_373
; %bb.374:
	s_or_b64 exec, exec, s[4:5]
.LBB103_375:
	s_or_b64 exec, exec, s[12:13]
	v_mov_b32_e32 v87, 0
	ds_read_b64 v[88:89], v87 offset:8
	s_waitcnt lgkmcnt(0)
	v_mul_f64 v[82:83], v[82:83], v[88:89]
	buffer_store_dword v83, off, s[0:3], 0 offset:12
	buffer_store_dword v82, off, s[0:3], 0 offset:8
.LBB103_376:
	s_or_b64 exec, exec, s[10:11]
	buffer_load_dword v82, off, s[0:3], 0
	buffer_load_dword v83, off, s[0:3], 0 offset:4
	v_cmp_ne_u32_e32 vcc, 0, v0
	s_waitcnt vmcnt(0)
	ds_write_b64 v84, v[82:83]
	s_waitcnt lgkmcnt(0)
	; wave barrier
	s_waitcnt lgkmcnt(0)
	s_and_saveexec_b64 s[4:5], vcc
	s_cbranch_execz .LBB103_386
; %bb.377:
	s_andn2_b64 vcc, exec, s[8:9]
	s_cbranch_vccnz .LBB103_379
; %bb.378:
	buffer_load_dword v82, v85, s[0:3], 0 offen
	buffer_load_dword v83, v85, s[0:3], 0 offen offset:4
	ds_read_b64 v[88:89], v84
	s_waitcnt vmcnt(0) lgkmcnt(0)
	v_mul_f64 v[82:83], v[82:83], v[88:89]
	s_cbranch_execz .LBB103_380
	s_branch .LBB103_381
.LBB103_379:
                                        ; implicit-def: $vgpr82_vgpr83
.LBB103_380:
	ds_read_b64 v[82:83], v84
.LBB103_381:
	s_and_saveexec_b64 s[10:11], s[6:7]
	s_cbranch_execz .LBB103_385
; %bb.382:
	v_add_u32_e32 v87, -1, v0
	s_movk_i32 s12, 0x148
	s_mov_b64 s[6:7], 0
.LBB103_383:                            ; =>This Inner Loop Header: Depth=1
	buffer_load_dword v88, v86, s[0:3], 0 offen
	buffer_load_dword v89, v86, s[0:3], 0 offen offset:4
	v_mov_b32_e32 v90, s12
	ds_read_b64 v[90:91], v90
	v_add_u32_e32 v87, -1, v87
	s_add_i32 s12, s12, 8
	v_cmp_eq_u32_e32 vcc, 0, v87
	v_add_u32_e32 v86, 8, v86
	s_or_b64 s[6:7], vcc, s[6:7]
	s_waitcnt vmcnt(0) lgkmcnt(0)
	v_fmac_f64_e32 v[82:83], v[88:89], v[90:91]
	s_andn2_b64 exec, exec, s[6:7]
	s_cbranch_execnz .LBB103_383
; %bb.384:
	s_or_b64 exec, exec, s[6:7]
.LBB103_385:
	s_or_b64 exec, exec, s[10:11]
	v_mov_b32_e32 v86, 0
	ds_read_b64 v[86:87], v86
	s_waitcnt lgkmcnt(0)
	v_mul_f64 v[82:83], v[82:83], v[86:87]
	buffer_store_dword v83, off, s[0:3], 0 offset:4
	buffer_store_dword v82, off, s[0:3], 0
.LBB103_386:
	s_or_b64 exec, exec, s[4:5]
	s_mov_b64 s[4:5], 0
.LBB103_387:
	s_and_b64 vcc, exec, s[4:5]
	s_cbranch_vccz .LBB103_771
; %bb.388:
	buffer_load_dword v82, off, s[0:3], 0 offset:8
	buffer_load_dword v83, off, s[0:3], 0 offset:12
	v_cmp_eq_u32_e64 s[6:7], 0, v0
	s_waitcnt vmcnt(0)
	ds_write_b64 v84, v[82:83]
	s_waitcnt lgkmcnt(0)
	; wave barrier
	s_waitcnt lgkmcnt(0)
	s_and_saveexec_b64 s[4:5], s[6:7]
	s_cbranch_execz .LBB103_394
; %bb.389:
	s_and_b64 vcc, exec, s[8:9]
	s_cbranch_vccz .LBB103_391
; %bb.390:
	buffer_load_dword v82, v85, s[0:3], 0 offen
	buffer_load_dword v83, v85, s[0:3], 0 offen offset:4
	ds_read_b64 v[86:87], v84
	s_waitcnt vmcnt(0) lgkmcnt(0)
	v_mul_f64 v[82:83], v[82:83], v[86:87]
	s_cbranch_execz .LBB103_392
	s_branch .LBB103_393
.LBB103_391:
                                        ; implicit-def: $vgpr82_vgpr83
.LBB103_392:
	ds_read_b64 v[82:83], v84
.LBB103_393:
	v_mov_b32_e32 v86, 0
	ds_read_b64 v[86:87], v86 offset:8
	s_waitcnt lgkmcnt(0)
	v_mul_f64 v[82:83], v[82:83], v[86:87]
	buffer_store_dword v83, off, s[0:3], 0 offset:12
	buffer_store_dword v82, off, s[0:3], 0 offset:8
.LBB103_394:
	s_or_b64 exec, exec, s[4:5]
	buffer_load_dword v82, off, s[0:3], 0 offset:16
	buffer_load_dword v83, off, s[0:3], 0 offset:20
	v_cndmask_b32_e64 v86, 0, 1, s[8:9]
	v_cmp_gt_u32_e32 vcc, 2, v0
	v_cmp_ne_u32_e64 s[4:5], 1, v86
	s_waitcnt vmcnt(0)
	ds_write_b64 v84, v[82:83]
	s_waitcnt lgkmcnt(0)
	; wave barrier
	s_waitcnt lgkmcnt(0)
	s_and_saveexec_b64 s[8:9], vcc
	s_cbranch_execz .LBB103_402
; %bb.395:
	s_and_b64 vcc, exec, s[4:5]
	s_cbranch_vccnz .LBB103_397
; %bb.396:
	buffer_load_dword v82, v85, s[0:3], 0 offen
	buffer_load_dword v83, v85, s[0:3], 0 offen offset:4
	ds_read_b64 v[86:87], v84
	s_waitcnt vmcnt(0) lgkmcnt(0)
	v_mul_f64 v[82:83], v[82:83], v[86:87]
	s_cbranch_execz .LBB103_398
	s_branch .LBB103_399
.LBB103_397:
                                        ; implicit-def: $vgpr82_vgpr83
.LBB103_398:
	ds_read_b64 v[82:83], v84
.LBB103_399:
	s_and_saveexec_b64 s[10:11], s[6:7]
	s_cbranch_execz .LBB103_401
; %bb.400:
	buffer_load_dword v86, v85, s[0:3], 0 offen offset:8
	buffer_load_dword v87, v85, s[0:3], 0 offen offset:12
	ds_read_b64 v[88:89], v84 offset:8
	s_waitcnt vmcnt(0) lgkmcnt(0)
	v_fmac_f64_e32 v[82:83], v[86:87], v[88:89]
.LBB103_401:
	s_or_b64 exec, exec, s[10:11]
	v_mov_b32_e32 v86, 0
	ds_read_b64 v[86:87], v86 offset:16
	s_waitcnt lgkmcnt(0)
	v_mul_f64 v[82:83], v[82:83], v[86:87]
	buffer_store_dword v83, off, s[0:3], 0 offset:20
	buffer_store_dword v82, off, s[0:3], 0 offset:16
.LBB103_402:
	s_or_b64 exec, exec, s[8:9]
	buffer_load_dword v82, off, s[0:3], 0 offset:24
	buffer_load_dword v83, off, s[0:3], 0 offset:28
	v_cmp_gt_u32_e32 vcc, 3, v0
	s_waitcnt vmcnt(0)
	ds_write_b64 v84, v[82:83]
	s_waitcnt lgkmcnt(0)
	; wave barrier
	s_waitcnt lgkmcnt(0)
	s_and_saveexec_b64 s[8:9], vcc
	s_cbranch_execz .LBB103_410
; %bb.403:
	s_and_b64 vcc, exec, s[4:5]
	s_cbranch_vccnz .LBB103_405
; %bb.404:
	buffer_load_dword v82, v85, s[0:3], 0 offen
	buffer_load_dword v83, v85, s[0:3], 0 offen offset:4
	ds_read_b64 v[86:87], v84
	s_waitcnt vmcnt(0) lgkmcnt(0)
	v_mul_f64 v[82:83], v[82:83], v[86:87]
	s_cbranch_execz .LBB103_406
	s_branch .LBB103_407
.LBB103_405:
                                        ; implicit-def: $vgpr82_vgpr83
.LBB103_406:
	ds_read_b64 v[82:83], v84
.LBB103_407:
	v_cmp_ne_u32_e32 vcc, 2, v0
	s_and_saveexec_b64 s[10:11], vcc
	s_cbranch_execz .LBB103_409
; %bb.408:
	buffer_load_dword v87, v85, s[0:3], 0 offen offset:12
	buffer_load_dword v88, off, s[0:3], 0 offset:16
	buffer_load_dword v86, v85, s[0:3], 0 offen offset:8
	buffer_load_dword v89, off, s[0:3], 0 offset:20
	v_mov_b32_e32 v92, 0
	ds_read_b64 v[90:91], v84 offset:8
	ds_read_b64 v[92:93], v92 offset:336
	s_waitcnt vmcnt(1) lgkmcnt(1)
	v_fmac_f64_e32 v[82:83], v[86:87], v[90:91]
	s_waitcnt vmcnt(0) lgkmcnt(0)
	v_fma_f64 v[86:87], v[88:89], v[92:93], v[82:83]
	v_cndmask_b32_e64 v83, v83, v87, s[6:7]
	v_cndmask_b32_e64 v82, v82, v86, s[6:7]
.LBB103_409:
	s_or_b64 exec, exec, s[10:11]
	v_mov_b32_e32 v86, 0
	ds_read_b64 v[86:87], v86 offset:24
	s_waitcnt lgkmcnt(0)
	v_mul_f64 v[82:83], v[82:83], v[86:87]
	buffer_store_dword v83, off, s[0:3], 0 offset:28
	buffer_store_dword v82, off, s[0:3], 0 offset:24
.LBB103_410:
	s_or_b64 exec, exec, s[8:9]
	buffer_load_dword v82, off, s[0:3], 0 offset:32
	buffer_load_dword v83, off, s[0:3], 0 offset:36
	v_cmp_gt_u32_e32 vcc, 4, v0
	s_waitcnt vmcnt(0)
	ds_write_b64 v84, v[82:83]
	s_waitcnt lgkmcnt(0)
	; wave barrier
	s_waitcnt lgkmcnt(0)
	s_and_saveexec_b64 s[6:7], vcc
	s_cbranch_execz .LBB103_420
; %bb.411:
	s_and_b64 vcc, exec, s[4:5]
	s_cbranch_vccnz .LBB103_413
; %bb.412:
	buffer_load_dword v82, v85, s[0:3], 0 offen
	buffer_load_dword v83, v85, s[0:3], 0 offen offset:4
	ds_read_b64 v[86:87], v84
	s_waitcnt vmcnt(0) lgkmcnt(0)
	v_mul_f64 v[82:83], v[82:83], v[86:87]
	s_cbranch_execz .LBB103_414
	s_branch .LBB103_415
.LBB103_413:
                                        ; implicit-def: $vgpr82_vgpr83
.LBB103_414:
	ds_read_b64 v[82:83], v84
.LBB103_415:
	v_cmp_ne_u32_e32 vcc, 3, v0
	s_and_saveexec_b64 s[8:9], vcc
	s_cbranch_execz .LBB103_419
; %bb.416:
	v_mov_b32_e32 v87, 0
	v_add_u32_e32 v86, 0x148, v1
	v_add3_u32 v87, v1, v87, 8
	s_mov_b64 s[10:11], 0
	v_mov_b32_e32 v88, v0
.LBB103_417:                            ; =>This Inner Loop Header: Depth=1
	buffer_load_dword v90, v87, s[0:3], 0 offen
	buffer_load_dword v91, v87, s[0:3], 0 offen offset:4
	ds_read_b64 v[92:93], v86
	v_add_u32_e32 v88, 1, v88
	v_cmp_lt_u32_e32 vcc, 2, v88
	v_add_u32_e32 v86, 8, v86
	v_add_u32_e32 v87, 8, v87
	s_or_b64 s[10:11], vcc, s[10:11]
	s_waitcnt vmcnt(0) lgkmcnt(0)
	v_fmac_f64_e32 v[82:83], v[90:91], v[92:93]
	s_andn2_b64 exec, exec, s[10:11]
	s_cbranch_execnz .LBB103_417
; %bb.418:
	s_or_b64 exec, exec, s[10:11]
.LBB103_419:
	s_or_b64 exec, exec, s[8:9]
	v_mov_b32_e32 v86, 0
	ds_read_b64 v[86:87], v86 offset:32
	s_waitcnt lgkmcnt(0)
	v_mul_f64 v[82:83], v[82:83], v[86:87]
	buffer_store_dword v83, off, s[0:3], 0 offset:36
	buffer_store_dword v82, off, s[0:3], 0 offset:32
.LBB103_420:
	s_or_b64 exec, exec, s[6:7]
	buffer_load_dword v82, off, s[0:3], 0 offset:40
	buffer_load_dword v83, off, s[0:3], 0 offset:44
	v_cmp_gt_u32_e32 vcc, 5, v0
	s_waitcnt vmcnt(0)
	ds_write_b64 v84, v[82:83]
	s_waitcnt lgkmcnt(0)
	; wave barrier
	s_waitcnt lgkmcnt(0)
	s_and_saveexec_b64 s[6:7], vcc
	s_cbranch_execz .LBB103_430
; %bb.421:
	s_and_b64 vcc, exec, s[4:5]
	s_cbranch_vccnz .LBB103_423
; %bb.422:
	buffer_load_dword v82, v85, s[0:3], 0 offen
	buffer_load_dword v83, v85, s[0:3], 0 offen offset:4
	ds_read_b64 v[86:87], v84
	s_waitcnt vmcnt(0) lgkmcnt(0)
	v_mul_f64 v[82:83], v[82:83], v[86:87]
	s_cbranch_execz .LBB103_424
	s_branch .LBB103_425
.LBB103_423:
                                        ; implicit-def: $vgpr82_vgpr83
.LBB103_424:
	ds_read_b64 v[82:83], v84
.LBB103_425:
	v_cmp_ne_u32_e32 vcc, 4, v0
	s_and_saveexec_b64 s[8:9], vcc
	s_cbranch_execz .LBB103_429
; %bb.426:
	v_mov_b32_e32 v87, 0
	v_add_u32_e32 v86, 0x148, v1
	v_add3_u32 v87, v1, v87, 8
	s_mov_b64 s[10:11], 0
	v_mov_b32_e32 v88, v0
.LBB103_427:                            ; =>This Inner Loop Header: Depth=1
	buffer_load_dword v90, v87, s[0:3], 0 offen
	buffer_load_dword v91, v87, s[0:3], 0 offen offset:4
	ds_read_b64 v[92:93], v86
	v_add_u32_e32 v88, 1, v88
	v_cmp_lt_u32_e32 vcc, 3, v88
	v_add_u32_e32 v86, 8, v86
	v_add_u32_e32 v87, 8, v87
	s_or_b64 s[10:11], vcc, s[10:11]
	s_waitcnt vmcnt(0) lgkmcnt(0)
	v_fmac_f64_e32 v[82:83], v[90:91], v[92:93]
	s_andn2_b64 exec, exec, s[10:11]
	s_cbranch_execnz .LBB103_427
; %bb.428:
	s_or_b64 exec, exec, s[10:11]
.LBB103_429:
	s_or_b64 exec, exec, s[8:9]
	v_mov_b32_e32 v86, 0
	ds_read_b64 v[86:87], v86 offset:40
	s_waitcnt lgkmcnt(0)
	v_mul_f64 v[82:83], v[82:83], v[86:87]
	buffer_store_dword v83, off, s[0:3], 0 offset:44
	buffer_store_dword v82, off, s[0:3], 0 offset:40
.LBB103_430:
	;; [unrolled: 60-line block ×34, first 2 shown]
	s_or_b64 exec, exec, s[6:7]
	buffer_load_dword v82, off, s[0:3], 0 offset:304
	buffer_load_dword v83, off, s[0:3], 0 offset:308
	v_cmp_gt_u32_e64 s[6:7], 38, v0
	s_waitcnt vmcnt(0)
	ds_write_b64 v84, v[82:83]
	s_waitcnt lgkmcnt(0)
	; wave barrier
	s_waitcnt lgkmcnt(0)
	s_and_saveexec_b64 s[8:9], s[6:7]
	s_cbranch_execz .LBB103_760
; %bb.751:
	s_and_b64 vcc, exec, s[4:5]
	s_cbranch_vccnz .LBB103_753
; %bb.752:
	buffer_load_dword v82, v85, s[0:3], 0 offen
	buffer_load_dword v83, v85, s[0:3], 0 offen offset:4
	ds_read_b64 v[86:87], v84
	s_waitcnt vmcnt(0) lgkmcnt(0)
	v_mul_f64 v[82:83], v[82:83], v[86:87]
	s_cbranch_execz .LBB103_754
	s_branch .LBB103_755
.LBB103_753:
                                        ; implicit-def: $vgpr82_vgpr83
.LBB103_754:
	ds_read_b64 v[82:83], v84
.LBB103_755:
	v_cmp_ne_u32_e32 vcc, 37, v0
	s_and_saveexec_b64 s[10:11], vcc
	s_cbranch_execz .LBB103_759
; %bb.756:
	v_mov_b32_e32 v87, 0
	v_add_u32_e32 v86, 0x148, v1
	v_add3_u32 v87, v1, v87, 8
	s_mov_b64 s[12:13], 0
	v_mov_b32_e32 v88, v0
.LBB103_757:                            ; =>This Inner Loop Header: Depth=1
	buffer_load_dword v90, v87, s[0:3], 0 offen
	buffer_load_dword v91, v87, s[0:3], 0 offen offset:4
	ds_read_b64 v[92:93], v86
	v_add_u32_e32 v88, 1, v88
	v_cmp_lt_u32_e32 vcc, 36, v88
	v_add_u32_e32 v86, 8, v86
	v_add_u32_e32 v87, 8, v87
	s_or_b64 s[12:13], vcc, s[12:13]
	s_waitcnt vmcnt(0) lgkmcnt(0)
	v_fmac_f64_e32 v[82:83], v[90:91], v[92:93]
	s_andn2_b64 exec, exec, s[12:13]
	s_cbranch_execnz .LBB103_757
; %bb.758:
	s_or_b64 exec, exec, s[12:13]
.LBB103_759:
	s_or_b64 exec, exec, s[10:11]
	v_mov_b32_e32 v86, 0
	ds_read_b64 v[86:87], v86 offset:304
	s_waitcnt lgkmcnt(0)
	v_mul_f64 v[82:83], v[82:83], v[86:87]
	buffer_store_dword v83, off, s[0:3], 0 offset:308
	buffer_store_dword v82, off, s[0:3], 0 offset:304
.LBB103_760:
	s_or_b64 exec, exec, s[8:9]
	buffer_load_dword v82, off, s[0:3], 0 offset:312
	buffer_load_dword v83, off, s[0:3], 0 offset:316
	v_cmp_ne_u32_e32 vcc, 39, v0
	s_waitcnt vmcnt(0)
	ds_write_b64 v84, v[82:83]
	s_waitcnt lgkmcnt(0)
	; wave barrier
	s_waitcnt lgkmcnt(0)
	s_and_saveexec_b64 s[8:9], vcc
	s_cbranch_execz .LBB103_770
; %bb.761:
	s_and_b64 vcc, exec, s[4:5]
	s_cbranch_vccnz .LBB103_763
; %bb.762:
	buffer_load_dword v82, v85, s[0:3], 0 offen
	buffer_load_dword v83, v85, s[0:3], 0 offen offset:4
	ds_read_b64 v[86:87], v84
	s_waitcnt vmcnt(0) lgkmcnt(0)
	v_mul_f64 v[82:83], v[82:83], v[86:87]
	s_cbranch_execz .LBB103_764
	s_branch .LBB103_765
.LBB103_763:
                                        ; implicit-def: $vgpr82_vgpr83
.LBB103_764:
	ds_read_b64 v[82:83], v84
.LBB103_765:
	s_and_saveexec_b64 s[4:5], s[6:7]
	s_cbranch_execz .LBB103_769
; %bb.766:
	v_mov_b32_e32 v85, 0
	v_add_u32_e32 v84, 0x148, v1
	v_add3_u32 v1, v1, v85, 8
	s_mov_b64 s[6:7], 0
.LBB103_767:                            ; =>This Inner Loop Header: Depth=1
	buffer_load_dword v86, v1, s[0:3], 0 offen
	buffer_load_dword v87, v1, s[0:3], 0 offen offset:4
	ds_read_b64 v[88:89], v84
	v_add_u32_e32 v0, 1, v0
	v_cmp_lt_u32_e32 vcc, 37, v0
	v_add_u32_e32 v84, 8, v84
	v_add_u32_e32 v1, 8, v1
	s_or_b64 s[6:7], vcc, s[6:7]
	s_waitcnt vmcnt(0) lgkmcnt(0)
	v_fmac_f64_e32 v[82:83], v[86:87], v[88:89]
	s_andn2_b64 exec, exec, s[6:7]
	s_cbranch_execnz .LBB103_767
; %bb.768:
	s_or_b64 exec, exec, s[6:7]
.LBB103_769:
	s_or_b64 exec, exec, s[4:5]
	v_mov_b32_e32 v0, 0
	ds_read_b64 v[0:1], v0 offset:312
	s_waitcnt lgkmcnt(0)
	v_mul_f64 v[0:1], v[82:83], v[0:1]
	buffer_store_dword v1, off, s[0:3], 0 offset:316
	buffer_store_dword v0, off, s[0:3], 0 offset:312
.LBB103_770:
	s_or_b64 exec, exec, s[8:9]
.LBB103_771:
	buffer_load_dword v0, off, s[0:3], 0
	buffer_load_dword v1, off, s[0:3], 0 offset:4
	buffer_load_dword v82, off, s[0:3], 0 offset:8
	;; [unrolled: 1-line block ×79, first 2 shown]
	s_waitcnt vmcnt(62)
	global_store_dwordx2 v[70:71], v[0:1], off
	global_store_dwordx2 v[72:73], v[82:83], off
	;; [unrolled: 1-line block ×8, first 2 shown]
	s_waitcnt vmcnt(62)
	global_store_dwordx2 v[14:15], v[102:103], off
	global_store_dwordx2 v[16:17], v[96:97], off
	;; [unrolled: 1-line block ×5, first 2 shown]
	s_waitcnt vmcnt(62)
	global_store_dwordx2 v[24:25], v[106:107], off
	global_store_dwordx2 v[26:27], v[108:109], off
	s_waitcnt vmcnt(62)
	global_store_dwordx2 v[28:29], v[110:111], off
	s_waitcnt vmcnt(62)
	;; [unrolled: 2-line block ×25, first 2 shown]
	global_store_dwordx2 v[80:81], v[158:159], off
.LBB103_772:
	s_endpgm
	.section	.rodata,"a",@progbits
	.p2align	6, 0x0
	.amdhsa_kernel _ZN9rocsolver6v33100L18trti2_kernel_smallILi40EdPKPdEEv13rocblas_fill_17rocblas_diagonal_T1_iil
		.amdhsa_group_segment_fixed_size 640
		.amdhsa_private_segment_fixed_size 336
		.amdhsa_kernarg_size 32
		.amdhsa_user_sgpr_count 8
		.amdhsa_user_sgpr_private_segment_buffer 1
		.amdhsa_user_sgpr_dispatch_ptr 0
		.amdhsa_user_sgpr_queue_ptr 0
		.amdhsa_user_sgpr_kernarg_segment_ptr 1
		.amdhsa_user_sgpr_dispatch_id 0
		.amdhsa_user_sgpr_flat_scratch_init 1
		.amdhsa_user_sgpr_kernarg_preload_length 0
		.amdhsa_user_sgpr_kernarg_preload_offset 0
		.amdhsa_user_sgpr_private_segment_size 0
		.amdhsa_uses_dynamic_stack 0
		.amdhsa_system_sgpr_private_segment_wavefront_offset 1
		.amdhsa_system_sgpr_workgroup_id_x 1
		.amdhsa_system_sgpr_workgroup_id_y 0
		.amdhsa_system_sgpr_workgroup_id_z 0
		.amdhsa_system_sgpr_workgroup_info 0
		.amdhsa_system_vgpr_workitem_id 0
		.amdhsa_next_free_vgpr 162
		.amdhsa_next_free_sgpr 16
		.amdhsa_accum_offset 164
		.amdhsa_reserve_vcc 1
		.amdhsa_reserve_flat_scratch 0
		.amdhsa_float_round_mode_32 0
		.amdhsa_float_round_mode_16_64 0
		.amdhsa_float_denorm_mode_32 3
		.amdhsa_float_denorm_mode_16_64 3
		.amdhsa_dx10_clamp 1
		.amdhsa_ieee_mode 1
		.amdhsa_fp16_overflow 0
		.amdhsa_tg_split 0
		.amdhsa_exception_fp_ieee_invalid_op 0
		.amdhsa_exception_fp_denorm_src 0
		.amdhsa_exception_fp_ieee_div_zero 0
		.amdhsa_exception_fp_ieee_overflow 0
		.amdhsa_exception_fp_ieee_underflow 0
		.amdhsa_exception_fp_ieee_inexact 0
		.amdhsa_exception_int_div_zero 0
	.end_amdhsa_kernel
	.section	.text._ZN9rocsolver6v33100L18trti2_kernel_smallILi40EdPKPdEEv13rocblas_fill_17rocblas_diagonal_T1_iil,"axG",@progbits,_ZN9rocsolver6v33100L18trti2_kernel_smallILi40EdPKPdEEv13rocblas_fill_17rocblas_diagonal_T1_iil,comdat
.Lfunc_end103:
	.size	_ZN9rocsolver6v33100L18trti2_kernel_smallILi40EdPKPdEEv13rocblas_fill_17rocblas_diagonal_T1_iil, .Lfunc_end103-_ZN9rocsolver6v33100L18trti2_kernel_smallILi40EdPKPdEEv13rocblas_fill_17rocblas_diagonal_T1_iil
                                        ; -- End function
	.section	.AMDGPU.csdata,"",@progbits
; Kernel info:
; codeLenInByte = 23184
; NumSgprs: 20
; NumVgprs: 162
; NumAgprs: 0
; TotalNumVgprs: 162
; ScratchSize: 336
; MemoryBound: 0
; FloatMode: 240
; IeeeMode: 1
; LDSByteSize: 640 bytes/workgroup (compile time only)
; SGPRBlocks: 2
; VGPRBlocks: 20
; NumSGPRsForWavesPerEU: 20
; NumVGPRsForWavesPerEU: 162
; AccumOffset: 164
; Occupancy: 3
; WaveLimiterHint : 1
; COMPUTE_PGM_RSRC2:SCRATCH_EN: 1
; COMPUTE_PGM_RSRC2:USER_SGPR: 8
; COMPUTE_PGM_RSRC2:TRAP_HANDLER: 0
; COMPUTE_PGM_RSRC2:TGID_X_EN: 1
; COMPUTE_PGM_RSRC2:TGID_Y_EN: 0
; COMPUTE_PGM_RSRC2:TGID_Z_EN: 0
; COMPUTE_PGM_RSRC2:TIDIG_COMP_CNT: 0
; COMPUTE_PGM_RSRC3_GFX90A:ACCUM_OFFSET: 40
; COMPUTE_PGM_RSRC3_GFX90A:TG_SPLIT: 0
	.section	.text._ZN9rocsolver6v33100L18trti2_kernel_smallILi41EdPKPdEEv13rocblas_fill_17rocblas_diagonal_T1_iil,"axG",@progbits,_ZN9rocsolver6v33100L18trti2_kernel_smallILi41EdPKPdEEv13rocblas_fill_17rocblas_diagonal_T1_iil,comdat
	.globl	_ZN9rocsolver6v33100L18trti2_kernel_smallILi41EdPKPdEEv13rocblas_fill_17rocblas_diagonal_T1_iil ; -- Begin function _ZN9rocsolver6v33100L18trti2_kernel_smallILi41EdPKPdEEv13rocblas_fill_17rocblas_diagonal_T1_iil
	.p2align	8
	.type	_ZN9rocsolver6v33100L18trti2_kernel_smallILi41EdPKPdEEv13rocblas_fill_17rocblas_diagonal_T1_iil,@function
_ZN9rocsolver6v33100L18trti2_kernel_smallILi41EdPKPdEEv13rocblas_fill_17rocblas_diagonal_T1_iil: ; @_ZN9rocsolver6v33100L18trti2_kernel_smallILi41EdPKPdEEv13rocblas_fill_17rocblas_diagonal_T1_iil
; %bb.0:
	s_add_u32 s0, s0, s9
	s_addc_u32 s1, s1, 0
	v_cmp_gt_u32_e32 vcc, 41, v0
	s_and_saveexec_b64 s[6:7], vcc
	s_cbranch_execz .LBB104_792
; %bb.1:
	s_load_dwordx2 s[6:7], s[4:5], 0x10
	s_load_dwordx4 s[12:15], s[4:5], 0x0
	s_ashr_i32 s9, s8, 31
	s_lshl_b64 s[4:5], s[8:9], 3
	s_waitcnt lgkmcnt(0)
	s_ashr_i32 s9, s6, 31
	s_add_u32 s4, s14, s4
	s_addc_u32 s5, s15, s5
	s_load_dwordx2 s[4:5], s[4:5], 0x0
	s_mov_b32 s8, s6
	s_lshl_b64 s[8:9], s[8:9], 3
	s_waitcnt lgkmcnt(0)
	s_add_u32 s4, s4, s8
	s_addc_u32 s5, s5, s9
	s_add_i32 s6, s7, s7
	v_add_u32_e32 v4, s6, v0
	v_ashrrev_i32_e32 v5, 31, v4
	v_lshlrev_b64 v[2:3], 3, v[4:5]
	v_add_u32_e32 v6, s7, v4
	v_mov_b32_e32 v1, s5
	v_add_co_u32_e32 v2, vcc, s4, v2
	v_ashrrev_i32_e32 v7, 31, v6
	v_addc_co_u32_e32 v3, vcc, v1, v3, vcc
	v_lshlrev_b64 v[4:5], 3, v[6:7]
	v_add_u32_e32 v8, s7, v6
	v_add_co_u32_e32 v4, vcc, s4, v4
	v_ashrrev_i32_e32 v9, 31, v8
	v_addc_co_u32_e32 v5, vcc, v1, v5, vcc
	v_lshlrev_b64 v[6:7], 3, v[8:9]
	v_add_u32_e32 v10, s7, v8
	;; [unrolled: 5-line block ×32, first 2 shown]
	v_add_co_u32_e32 v66, vcc, s4, v66
	v_ashrrev_i32_e32 v71, 31, v70
	v_addc_co_u32_e32 v67, vcc, v1, v67, vcc
	v_lshlrev_b64 v[68:69], 3, v[70:71]
	v_add_co_u32_e32 v68, vcc, s4, v68
	v_addc_co_u32_e32 v69, vcc, v1, v69, vcc
	v_lshlrev_b32_e32 v1, 3, v0
	v_add_u32_e32 v76, s7, v70
	v_mov_b32_e32 v70, s5
	v_add_co_u32_e32 v72, vcc, s4, v1
	s_ashr_i32 s9, s7, 31
	s_mov_b32 s8, s7
	v_addc_co_u32_e32 v73, vcc, 0, v70, vcc
	s_lshl_b64 s[8:9], s[8:9], 3
	v_ashrrev_i32_e32 v77, 31, v76
	v_mov_b32_e32 v70, s9
	v_add_co_u32_e32 v74, vcc, s8, v72
	v_addc_co_u32_e32 v75, vcc, v73, v70, vcc
	v_lshlrev_b64 v[70:71], 3, v[76:77]
	v_mov_b32_e32 v78, s5
	v_add_co_u32_e32 v70, vcc, s4, v70
	v_addc_co_u32_e32 v71, vcc, v78, v71, vcc
	v_add_u32_e32 v78, s7, v76
	v_ashrrev_i32_e32 v79, 31, v78
	v_lshlrev_b64 v[76:77], 3, v[78:79]
	v_mov_b32_e32 v80, s5
	v_add_co_u32_e32 v76, vcc, s4, v76
	v_addc_co_u32_e32 v77, vcc, v80, v77, vcc
	v_add_u32_e32 v80, s7, v78
	v_ashrrev_i32_e32 v81, 31, v80
	;; [unrolled: 6-line block ×3, first 2 shown]
	global_load_dwordx2 v[84:85], v1, s[4:5]
	global_load_dwordx2 v[86:87], v[74:75], off
	v_lshlrev_b64 v[80:81], 3, v[82:83]
	v_mov_b32_e32 v144, s5
	v_add_co_u32_e32 v80, vcc, s4, v80
	global_load_dwordx2 v[88:89], v[2:3], off
	global_load_dwordx2 v[90:91], v[4:5], off
	;; [unrolled: 1-line block ×28, first 2 shown]
	v_addc_co_u32_e32 v81, vcc, v144, v81, vcc
	global_load_dwordx2 v[144:145], v[58:59], off
	global_load_dwordx2 v[146:147], v[60:61], off
	;; [unrolled: 1-line block ×8, first 2 shown]
	v_add_u32_e32 v82, s7, v82
	v_ashrrev_i32_e32 v83, 31, v82
	v_lshlrev_b64 v[82:83], 3, v[82:83]
	v_mov_b32_e32 v160, s5
	v_add_co_u32_e32 v82, vcc, s4, v82
	v_addc_co_u32_e32 v83, vcc, v160, v83, vcc
	global_load_dwordx2 v[160:161], v[78:79], off
	global_load_dwordx2 v[162:163], v[80:81], off
	s_cmpk_lg_i32 s13, 0x84
	s_cselect_b64 s[8:9], -1, 0
	s_cmpk_eq_i32 s13, 0x84
	s_waitcnt vmcnt(39)
	buffer_store_dword v85, off, s[0:3], 0 offset:4
	buffer_store_dword v84, off, s[0:3], 0
	global_load_dwordx2 v[84:85], v[82:83], off
	s_waitcnt vmcnt(41)
	buffer_store_dword v87, off, s[0:3], 0 offset:12
	buffer_store_dword v86, off, s[0:3], 0 offset:8
	s_waitcnt vmcnt(42)
	buffer_store_dword v89, off, s[0:3], 0 offset:20
	buffer_store_dword v88, off, s[0:3], 0 offset:16
	s_waitcnt vmcnt(43)
	buffer_store_dword v91, off, s[0:3], 0 offset:28
	buffer_store_dword v90, off, s[0:3], 0 offset:24
	s_waitcnt vmcnt(44)
	buffer_store_dword v93, off, s[0:3], 0 offset:36
	buffer_store_dword v92, off, s[0:3], 0 offset:32
	s_waitcnt vmcnt(45)
	buffer_store_dword v95, off, s[0:3], 0 offset:44
	buffer_store_dword v94, off, s[0:3], 0 offset:40
	s_waitcnt vmcnt(46)
	buffer_store_dword v97, off, s[0:3], 0 offset:52
	buffer_store_dword v96, off, s[0:3], 0 offset:48
	s_waitcnt vmcnt(47)
	buffer_store_dword v99, off, s[0:3], 0 offset:60
	buffer_store_dword v98, off, s[0:3], 0 offset:56
	s_waitcnt vmcnt(48)
	buffer_store_dword v101, off, s[0:3], 0 offset:68
	buffer_store_dword v100, off, s[0:3], 0 offset:64
	s_waitcnt vmcnt(49)
	buffer_store_dword v102, off, s[0:3], 0 offset:72
	buffer_store_dword v103, off, s[0:3], 0 offset:76
	s_waitcnt vmcnt(50)
	buffer_store_dword v104, off, s[0:3], 0 offset:80
	buffer_store_dword v105, off, s[0:3], 0 offset:84
	s_waitcnt vmcnt(51)
	buffer_store_dword v106, off, s[0:3], 0 offset:88
	buffer_store_dword v107, off, s[0:3], 0 offset:92
	s_waitcnt vmcnt(52)
	buffer_store_dword v108, off, s[0:3], 0 offset:96
	buffer_store_dword v109, off, s[0:3], 0 offset:100
	s_waitcnt vmcnt(53)
	buffer_store_dword v110, off, s[0:3], 0 offset:104
	buffer_store_dword v111, off, s[0:3], 0 offset:108
	s_waitcnt vmcnt(54)
	buffer_store_dword v113, off, s[0:3], 0 offset:116
	buffer_store_dword v112, off, s[0:3], 0 offset:112
	s_waitcnt vmcnt(55)
	buffer_store_dword v114, off, s[0:3], 0 offset:120
	buffer_store_dword v115, off, s[0:3], 0 offset:124
	s_waitcnt vmcnt(56)
	buffer_store_dword v116, off, s[0:3], 0 offset:128
	buffer_store_dword v117, off, s[0:3], 0 offset:132
	s_waitcnt vmcnt(57)
	buffer_store_dword v118, off, s[0:3], 0 offset:136
	buffer_store_dword v119, off, s[0:3], 0 offset:140
	s_waitcnt vmcnt(58)
	buffer_store_dword v120, off, s[0:3], 0 offset:144
	buffer_store_dword v121, off, s[0:3], 0 offset:148
	s_waitcnt vmcnt(59)
	buffer_store_dword v123, off, s[0:3], 0 offset:156
	buffer_store_dword v122, off, s[0:3], 0 offset:152
	s_waitcnt vmcnt(60)
	buffer_store_dword v125, off, s[0:3], 0 offset:164
	buffer_store_dword v124, off, s[0:3], 0 offset:160
	s_waitcnt vmcnt(61)
	buffer_store_dword v126, off, s[0:3], 0 offset:168
	buffer_store_dword v127, off, s[0:3], 0 offset:172
	s_waitcnt vmcnt(62)
	buffer_store_dword v128, off, s[0:3], 0 offset:176
	buffer_store_dword v129, off, s[0:3], 0 offset:180
	s_waitcnt vmcnt(62)
	buffer_store_dword v130, off, s[0:3], 0 offset:184
	buffer_store_dword v131, off, s[0:3], 0 offset:188
	buffer_store_dword v132, off, s[0:3], 0 offset:192
	buffer_store_dword v133, off, s[0:3], 0 offset:196
	s_waitcnt vmcnt(62)
	buffer_store_dword v135, off, s[0:3], 0 offset:204
	buffer_store_dword v134, off, s[0:3], 0 offset:200
	;; [unrolled: 1-line block ×8, first 2 shown]
	s_waitcnt vmcnt(62)
	buffer_store_dword v142, off, s[0:3], 0 offset:232
	buffer_store_dword v143, off, s[0:3], 0 offset:236
	;; [unrolled: 1-line block ×16, first 2 shown]
	s_waitcnt vmcnt(62)
	buffer_store_dword v159, off, s[0:3], 0 offset:300
	buffer_store_dword v158, off, s[0:3], 0 offset:296
	;; [unrolled: 1-line block ×8, first 2 shown]
	v_mov_b32_e32 v84, 0
	v_mov_b32_e32 v125, 0
	;; [unrolled: 1-line block ×3, first 2 shown]
	s_cbranch_scc1 .LBB104_3
; %bb.2:
	v_lshl_add_u32 v94, v0, 3, v125
	buffer_load_dword v84, v94, s[0:3], 0 offen
	buffer_load_dword v85, v94, s[0:3], 0 offen offset:4
	s_waitcnt vmcnt(0)
	v_div_scale_f64 v[86:87], s[4:5], v[84:85], v[84:85], 1.0
	v_rcp_f64_e32 v[88:89], v[86:87]
	v_div_scale_f64 v[90:91], vcc, 1.0, v[84:85], 1.0
	v_fma_f64 v[92:93], -v[86:87], v[88:89], 1.0
	v_fmac_f64_e32 v[88:89], v[88:89], v[92:93]
	v_fma_f64 v[92:93], -v[86:87], v[88:89], 1.0
	v_fmac_f64_e32 v[88:89], v[88:89], v[92:93]
	v_mul_f64 v[92:93], v[90:91], v[88:89]
	v_fma_f64 v[86:87], -v[86:87], v[92:93], v[90:91]
	v_div_fmas_f64 v[86:87], v[86:87], v[88:89], v[92:93]
	v_div_fixup_f64 v[84:85], v[86:87], v[84:85], 1.0
	buffer_store_dword v84, v94, s[0:3], 0 offen
	buffer_store_dword v85, v94, s[0:3], 0 offen offset:4
	v_xor_b32_e32 v85, 0x80000000, v85
.LBB104_3:
	s_cmpk_eq_i32 s12, 0x79
	v_add_u32_e32 v86, 0x150, v1
	v_add_u32_e32 v87, 0, v1
	s_mov_b64 s[4:5], -1
	ds_write_b64 v1, v[84:85]
	s_cbranch_scc1 .LBB104_397
; %bb.4:
	buffer_load_dword v84, off, s[0:3], 0 offset:312
	buffer_load_dword v85, off, s[0:3], 0 offset:316
	v_cmp_eq_u32_e64 s[4:5], 40, v0
	s_waitcnt vmcnt(0)
	ds_write_b64 v86, v[84:85]
	s_waitcnt lgkmcnt(0)
	; wave barrier
	s_waitcnt lgkmcnt(0)
	s_and_saveexec_b64 s[6:7], s[4:5]
	s_cbranch_execz .LBB104_10
; %bb.5:
	s_and_b64 vcc, exec, s[8:9]
	s_cbranch_vccz .LBB104_7
; %bb.6:
	buffer_load_dword v84, v87, s[0:3], 0 offen
	buffer_load_dword v85, v87, s[0:3], 0 offen offset:4
	ds_read_b64 v[88:89], v86
	s_waitcnt vmcnt(0) lgkmcnt(0)
	v_mul_f64 v[84:85], v[84:85], v[88:89]
	s_cbranch_execz .LBB104_8
	s_branch .LBB104_9
.LBB104_7:
                                        ; implicit-def: $vgpr84_vgpr85
.LBB104_8:
	ds_read_b64 v[84:85], v86
.LBB104_9:
	v_mov_b32_e32 v88, 0
	ds_read_b64 v[88:89], v88 offset:312
	s_waitcnt lgkmcnt(0)
	v_mul_f64 v[84:85], v[84:85], v[88:89]
	buffer_store_dword v85, off, s[0:3], 0 offset:316
	buffer_store_dword v84, off, s[0:3], 0 offset:312
.LBB104_10:
	s_or_b64 exec, exec, s[6:7]
	buffer_load_dword v84, off, s[0:3], 0 offset:304
	buffer_load_dword v85, off, s[0:3], 0 offset:308
	v_or_b32_e32 v88, 8, v125
	v_add_u32_e32 v89, 16, v125
	v_add_u32_e32 v90, 24, v125
	;; [unrolled: 1-line block ×37, first 2 shown]
	v_cmp_lt_u32_e64 s[6:7], 38, v0
	s_waitcnt vmcnt(0)
	ds_write_b64 v86, v[84:85]
	s_waitcnt lgkmcnt(0)
	; wave barrier
	s_waitcnt lgkmcnt(0)
	s_and_saveexec_b64 s[10:11], s[6:7]
	s_cbranch_execz .LBB104_16
; %bb.11:
	s_andn2_b64 vcc, exec, s[8:9]
	s_cbranch_vccnz .LBB104_13
; %bb.12:
	buffer_load_dword v84, v87, s[0:3], 0 offen
	buffer_load_dword v85, v87, s[0:3], 0 offen offset:4
	ds_read_b64 v[126:127], v86
	s_waitcnt vmcnt(0) lgkmcnt(0)
	v_mul_f64 v[84:85], v[84:85], v[126:127]
	s_cbranch_execz .LBB104_14
	s_branch .LBB104_15
.LBB104_13:
                                        ; implicit-def: $vgpr84_vgpr85
.LBB104_14:
	ds_read_b64 v[84:85], v86
.LBB104_15:
	buffer_load_dword v130, off, s[0:3], 0 offset:312
	buffer_load_dword v131, off, s[0:3], 0 offset:316
	v_mov_b32_e32 v126, 0
	ds_read2_b64 v[126:129], v126 offset0:38 offset1:81
	s_waitcnt vmcnt(0) lgkmcnt(0)
	v_fma_f64 v[128:129], v[130:131], v[128:129], v[84:85]
	v_cndmask_b32_e64 v85, v85, v129, s[4:5]
	v_cndmask_b32_e64 v84, v84, v128, s[4:5]
	v_mul_f64 v[84:85], v[84:85], v[126:127]
	buffer_store_dword v85, off, s[0:3], 0 offset:308
	buffer_store_dword v84, off, s[0:3], 0 offset:304
.LBB104_16:
	s_or_b64 exec, exec, s[10:11]
	buffer_load_dword v84, off, s[0:3], 0 offset:296
	buffer_load_dword v85, off, s[0:3], 0 offset:300
	v_cmp_lt_u32_e64 s[4:5], 37, v0
	s_waitcnt vmcnt(0)
	ds_write_b64 v86, v[84:85]
	s_waitcnt lgkmcnt(0)
	; wave barrier
	s_waitcnt lgkmcnt(0)
	s_and_saveexec_b64 s[10:11], s[4:5]
	s_cbranch_execz .LBB104_26
; %bb.17:
	s_andn2_b64 vcc, exec, s[8:9]
	s_cbranch_vccnz .LBB104_19
; %bb.18:
	buffer_load_dword v84, v87, s[0:3], 0 offen
	buffer_load_dword v85, v87, s[0:3], 0 offen offset:4
	ds_read_b64 v[126:127], v86
	s_waitcnt vmcnt(0) lgkmcnt(0)
	v_mul_f64 v[84:85], v[84:85], v[126:127]
	s_cbranch_execz .LBB104_20
	s_branch .LBB104_21
.LBB104_19:
                                        ; implicit-def: $vgpr84_vgpr85
.LBB104_20:
	ds_read_b64 v[84:85], v86
.LBB104_21:
	s_and_saveexec_b64 s[12:13], s[6:7]
	s_cbranch_execz .LBB104_25
; %bb.22:
	v_subrev_u32_e32 v126, 38, v0
	s_movk_i32 s14, 0x280
	s_mov_b64 s[6:7], 0
.LBB104_23:                             ; =>This Inner Loop Header: Depth=1
	buffer_load_dword v128, v125, s[0:3], 0 offen
	buffer_load_dword v129, v125, s[0:3], 0 offen offset:4
	v_mov_b32_e32 v127, s14
	ds_read_b64 v[130:131], v127
	v_add_u32_e32 v126, -1, v126
	s_add_i32 s14, s14, 8
	v_cmp_eq_u32_e32 vcc, 0, v126
	v_add_u32_e32 v125, 8, v125
	s_or_b64 s[6:7], vcc, s[6:7]
	s_waitcnt vmcnt(0) lgkmcnt(0)
	v_fmac_f64_e32 v[84:85], v[128:129], v[130:131]
	s_andn2_b64 exec, exec, s[6:7]
	s_cbranch_execnz .LBB104_23
; %bb.24:
	s_or_b64 exec, exec, s[6:7]
.LBB104_25:
	s_or_b64 exec, exec, s[12:13]
	v_mov_b32_e32 v125, 0
	ds_read_b64 v[126:127], v125 offset:296
	s_waitcnt lgkmcnt(0)
	v_mul_f64 v[84:85], v[84:85], v[126:127]
	buffer_store_dword v85, off, s[0:3], 0 offset:300
	buffer_store_dword v84, off, s[0:3], 0 offset:296
.LBB104_26:
	s_or_b64 exec, exec, s[10:11]
	buffer_load_dword v84, off, s[0:3], 0 offset:288
	buffer_load_dword v85, off, s[0:3], 0 offset:292
	v_cmp_lt_u32_e64 s[6:7], 36, v0
	s_waitcnt vmcnt(0)
	ds_write_b64 v86, v[84:85]
	s_waitcnt lgkmcnt(0)
	; wave barrier
	s_waitcnt lgkmcnt(0)
	s_and_saveexec_b64 s[10:11], s[6:7]
	s_cbranch_execz .LBB104_36
; %bb.27:
	s_andn2_b64 vcc, exec, s[8:9]
	s_cbranch_vccnz .LBB104_29
; %bb.28:
	buffer_load_dword v84, v87, s[0:3], 0 offen
	buffer_load_dword v85, v87, s[0:3], 0 offen offset:4
	ds_read_b64 v[126:127], v86
	s_waitcnt vmcnt(0) lgkmcnt(0)
	v_mul_f64 v[84:85], v[84:85], v[126:127]
	s_cbranch_execz .LBB104_30
	s_branch .LBB104_31
.LBB104_29:
                                        ; implicit-def: $vgpr84_vgpr85
.LBB104_30:
	ds_read_b64 v[84:85], v86
.LBB104_31:
	s_and_saveexec_b64 s[12:13], s[4:5]
	s_cbranch_execz .LBB104_35
; %bb.32:
	v_subrev_u32_e32 v125, 37, v0
	s_movk_i32 s14, 0x278
	s_mov_b64 s[4:5], 0
.LBB104_33:                             ; =>This Inner Loop Header: Depth=1
	buffer_load_dword v126, v124, s[0:3], 0 offen
	buffer_load_dword v127, v124, s[0:3], 0 offen offset:4
	v_mov_b32_e32 v128, s14
	ds_read_b64 v[128:129], v128
	v_add_u32_e32 v125, -1, v125
	s_add_i32 s14, s14, 8
	v_cmp_eq_u32_e32 vcc, 0, v125
	v_add_u32_e32 v124, 8, v124
	s_or_b64 s[4:5], vcc, s[4:5]
	s_waitcnt vmcnt(0) lgkmcnt(0)
	v_fmac_f64_e32 v[84:85], v[126:127], v[128:129]
	s_andn2_b64 exec, exec, s[4:5]
	s_cbranch_execnz .LBB104_33
; %bb.34:
	s_or_b64 exec, exec, s[4:5]
.LBB104_35:
	s_or_b64 exec, exec, s[12:13]
	v_mov_b32_e32 v124, 0
	ds_read_b64 v[124:125], v124 offset:288
	s_waitcnt lgkmcnt(0)
	v_mul_f64 v[84:85], v[84:85], v[124:125]
	buffer_store_dword v85, off, s[0:3], 0 offset:292
	buffer_store_dword v84, off, s[0:3], 0 offset:288
.LBB104_36:
	;; [unrolled: 58-line block ×8, first 2 shown]
	s_or_b64 exec, exec, s[10:11]
	buffer_load_dword v84, off, s[0:3], 0 offset:232
	buffer_load_dword v85, off, s[0:3], 0 offset:236
	v_cmp_lt_u32_e64 s[4:5], 29, v0
	s_waitcnt vmcnt(0)
	ds_write_b64 v86, v[84:85]
	s_waitcnt lgkmcnt(0)
	; wave barrier
	s_waitcnt lgkmcnt(0)
	s_and_saveexec_b64 s[10:11], s[4:5]
	s_cbranch_execz .LBB104_106
; %bb.97:
	s_andn2_b64 vcc, exec, s[8:9]
	s_cbranch_vccnz .LBB104_99
; %bb.98:
	buffer_load_dword v84, v87, s[0:3], 0 offen
	buffer_load_dword v85, v87, s[0:3], 0 offen offset:4
	ds_read_b64 v[118:119], v86
	s_waitcnt vmcnt(0) lgkmcnt(0)
	v_mul_f64 v[84:85], v[84:85], v[118:119]
	s_cbranch_execz .LBB104_100
	s_branch .LBB104_101
.LBB104_99:
                                        ; implicit-def: $vgpr84_vgpr85
.LBB104_100:
	ds_read_b64 v[84:85], v86
.LBB104_101:
	s_and_saveexec_b64 s[12:13], s[6:7]
	s_cbranch_execz .LBB104_105
; %bb.102:
	v_subrev_u32_e32 v118, 30, v0
	s_movk_i32 s14, 0x240
	s_mov_b64 s[6:7], 0
.LBB104_103:                            ; =>This Inner Loop Header: Depth=1
	buffer_load_dword v120, v117, s[0:3], 0 offen
	buffer_load_dword v121, v117, s[0:3], 0 offen offset:4
	v_mov_b32_e32 v119, s14
	ds_read_b64 v[122:123], v119
	v_add_u32_e32 v118, -1, v118
	s_add_i32 s14, s14, 8
	v_cmp_eq_u32_e32 vcc, 0, v118
	v_add_u32_e32 v117, 8, v117
	s_or_b64 s[6:7], vcc, s[6:7]
	s_waitcnt vmcnt(0) lgkmcnt(0)
	v_fmac_f64_e32 v[84:85], v[120:121], v[122:123]
	s_andn2_b64 exec, exec, s[6:7]
	s_cbranch_execnz .LBB104_103
; %bb.104:
	s_or_b64 exec, exec, s[6:7]
.LBB104_105:
	s_or_b64 exec, exec, s[12:13]
	v_mov_b32_e32 v117, 0
	ds_read_b64 v[118:119], v117 offset:232
	s_waitcnt lgkmcnt(0)
	v_mul_f64 v[84:85], v[84:85], v[118:119]
	buffer_store_dword v85, off, s[0:3], 0 offset:236
	buffer_store_dword v84, off, s[0:3], 0 offset:232
.LBB104_106:
	s_or_b64 exec, exec, s[10:11]
	buffer_load_dword v84, off, s[0:3], 0 offset:224
	buffer_load_dword v85, off, s[0:3], 0 offset:228
	v_cmp_lt_u32_e64 s[6:7], 28, v0
	s_waitcnt vmcnt(0)
	ds_write_b64 v86, v[84:85]
	s_waitcnt lgkmcnt(0)
	; wave barrier
	s_waitcnt lgkmcnt(0)
	s_and_saveexec_b64 s[10:11], s[6:7]
	s_cbranch_execz .LBB104_116
; %bb.107:
	s_andn2_b64 vcc, exec, s[8:9]
	s_cbranch_vccnz .LBB104_109
; %bb.108:
	buffer_load_dword v84, v87, s[0:3], 0 offen
	buffer_load_dword v85, v87, s[0:3], 0 offen offset:4
	ds_read_b64 v[118:119], v86
	s_waitcnt vmcnt(0) lgkmcnt(0)
	v_mul_f64 v[84:85], v[84:85], v[118:119]
	s_cbranch_execz .LBB104_110
	s_branch .LBB104_111
.LBB104_109:
                                        ; implicit-def: $vgpr84_vgpr85
.LBB104_110:
	ds_read_b64 v[84:85], v86
.LBB104_111:
	s_and_saveexec_b64 s[12:13], s[4:5]
	s_cbranch_execz .LBB104_115
; %bb.112:
	v_subrev_u32_e32 v117, 29, v0
	s_movk_i32 s14, 0x238
	s_mov_b64 s[4:5], 0
.LBB104_113:                            ; =>This Inner Loop Header: Depth=1
	buffer_load_dword v118, v116, s[0:3], 0 offen
	buffer_load_dword v119, v116, s[0:3], 0 offen offset:4
	v_mov_b32_e32 v120, s14
	ds_read_b64 v[120:121], v120
	v_add_u32_e32 v117, -1, v117
	s_add_i32 s14, s14, 8
	v_cmp_eq_u32_e32 vcc, 0, v117
	v_add_u32_e32 v116, 8, v116
	s_or_b64 s[4:5], vcc, s[4:5]
	s_waitcnt vmcnt(0) lgkmcnt(0)
	v_fmac_f64_e32 v[84:85], v[118:119], v[120:121]
	s_andn2_b64 exec, exec, s[4:5]
	s_cbranch_execnz .LBB104_113
; %bb.114:
	s_or_b64 exec, exec, s[4:5]
.LBB104_115:
	s_or_b64 exec, exec, s[12:13]
	v_mov_b32_e32 v116, 0
	ds_read_b64 v[116:117], v116 offset:224
	s_waitcnt lgkmcnt(0)
	v_mul_f64 v[84:85], v[84:85], v[116:117]
	buffer_store_dword v85, off, s[0:3], 0 offset:228
	buffer_store_dword v84, off, s[0:3], 0 offset:224
.LBB104_116:
	;; [unrolled: 58-line block ×14, first 2 shown]
	s_or_b64 exec, exec, s[10:11]
	buffer_load_dword v84, off, s[0:3], 0 offset:120
	buffer_load_dword v85, off, s[0:3], 0 offset:124
	v_cmp_lt_u32_e64 s[4:5], 15, v0
	s_waitcnt vmcnt(0)
	ds_write_b64 v86, v[84:85]
	s_waitcnt lgkmcnt(0)
	; wave barrier
	s_waitcnt lgkmcnt(0)
	s_and_saveexec_b64 s[10:11], s[4:5]
	s_cbranch_execz .LBB104_246
; %bb.237:
	s_andn2_b64 vcc, exec, s[8:9]
	s_cbranch_vccnz .LBB104_239
; %bb.238:
	buffer_load_dword v84, v87, s[0:3], 0 offen
	buffer_load_dword v85, v87, s[0:3], 0 offen offset:4
	ds_read_b64 v[104:105], v86
	s_waitcnt vmcnt(0) lgkmcnt(0)
	v_mul_f64 v[84:85], v[84:85], v[104:105]
	s_cbranch_execz .LBB104_240
	s_branch .LBB104_241
.LBB104_239:
                                        ; implicit-def: $vgpr84_vgpr85
.LBB104_240:
	ds_read_b64 v[84:85], v86
.LBB104_241:
	s_and_saveexec_b64 s[12:13], s[6:7]
	s_cbranch_execz .LBB104_245
; %bb.242:
	v_add_u32_e32 v104, -16, v0
	s_movk_i32 s14, 0x1d0
	s_mov_b64 s[6:7], 0
.LBB104_243:                            ; =>This Inner Loop Header: Depth=1
	buffer_load_dword v106, v103, s[0:3], 0 offen
	buffer_load_dword v107, v103, s[0:3], 0 offen offset:4
	v_mov_b32_e32 v105, s14
	ds_read_b64 v[108:109], v105
	v_add_u32_e32 v104, -1, v104
	s_add_i32 s14, s14, 8
	v_cmp_eq_u32_e32 vcc, 0, v104
	v_add_u32_e32 v103, 8, v103
	s_or_b64 s[6:7], vcc, s[6:7]
	s_waitcnt vmcnt(0) lgkmcnt(0)
	v_fmac_f64_e32 v[84:85], v[106:107], v[108:109]
	s_andn2_b64 exec, exec, s[6:7]
	s_cbranch_execnz .LBB104_243
; %bb.244:
	s_or_b64 exec, exec, s[6:7]
.LBB104_245:
	s_or_b64 exec, exec, s[12:13]
	v_mov_b32_e32 v103, 0
	ds_read_b64 v[104:105], v103 offset:120
	s_waitcnt lgkmcnt(0)
	v_mul_f64 v[84:85], v[84:85], v[104:105]
	buffer_store_dword v85, off, s[0:3], 0 offset:124
	buffer_store_dword v84, off, s[0:3], 0 offset:120
.LBB104_246:
	s_or_b64 exec, exec, s[10:11]
	buffer_load_dword v84, off, s[0:3], 0 offset:112
	buffer_load_dword v85, off, s[0:3], 0 offset:116
	v_cmp_lt_u32_e64 s[6:7], 14, v0
	s_waitcnt vmcnt(0)
	ds_write_b64 v86, v[84:85]
	s_waitcnt lgkmcnt(0)
	; wave barrier
	s_waitcnt lgkmcnt(0)
	s_and_saveexec_b64 s[10:11], s[6:7]
	s_cbranch_execz .LBB104_256
; %bb.247:
	s_andn2_b64 vcc, exec, s[8:9]
	s_cbranch_vccnz .LBB104_249
; %bb.248:
	buffer_load_dword v84, v87, s[0:3], 0 offen
	buffer_load_dword v85, v87, s[0:3], 0 offen offset:4
	ds_read_b64 v[104:105], v86
	s_waitcnt vmcnt(0) lgkmcnt(0)
	v_mul_f64 v[84:85], v[84:85], v[104:105]
	s_cbranch_execz .LBB104_250
	s_branch .LBB104_251
.LBB104_249:
                                        ; implicit-def: $vgpr84_vgpr85
.LBB104_250:
	ds_read_b64 v[84:85], v86
.LBB104_251:
	s_and_saveexec_b64 s[12:13], s[4:5]
	s_cbranch_execz .LBB104_255
; %bb.252:
	v_add_u32_e32 v103, -15, v0
	s_movk_i32 s14, 0x1c8
	s_mov_b64 s[4:5], 0
.LBB104_253:                            ; =>This Inner Loop Header: Depth=1
	buffer_load_dword v104, v102, s[0:3], 0 offen
	buffer_load_dword v105, v102, s[0:3], 0 offen offset:4
	v_mov_b32_e32 v106, s14
	ds_read_b64 v[106:107], v106
	v_add_u32_e32 v103, -1, v103
	s_add_i32 s14, s14, 8
	v_cmp_eq_u32_e32 vcc, 0, v103
	v_add_u32_e32 v102, 8, v102
	s_or_b64 s[4:5], vcc, s[4:5]
	s_waitcnt vmcnt(0) lgkmcnt(0)
	v_fmac_f64_e32 v[84:85], v[104:105], v[106:107]
	s_andn2_b64 exec, exec, s[4:5]
	s_cbranch_execnz .LBB104_253
; %bb.254:
	s_or_b64 exec, exec, s[4:5]
.LBB104_255:
	s_or_b64 exec, exec, s[12:13]
	v_mov_b32_e32 v102, 0
	ds_read_b64 v[102:103], v102 offset:112
	s_waitcnt lgkmcnt(0)
	v_mul_f64 v[84:85], v[84:85], v[102:103]
	buffer_store_dword v85, off, s[0:3], 0 offset:116
	buffer_store_dword v84, off, s[0:3], 0 offset:112
.LBB104_256:
	;; [unrolled: 58-line block ×15, first 2 shown]
	s_or_b64 exec, exec, s[10:11]
	buffer_load_dword v84, off, s[0:3], 0
	buffer_load_dword v85, off, s[0:3], 0 offset:4
	v_cmp_ne_u32_e32 vcc, 0, v0
	s_waitcnt vmcnt(0)
	ds_write_b64 v86, v[84:85]
	s_waitcnt lgkmcnt(0)
	; wave barrier
	s_waitcnt lgkmcnt(0)
	s_and_saveexec_b64 s[6:7], vcc
	s_cbranch_execz .LBB104_396
; %bb.387:
	s_andn2_b64 vcc, exec, s[8:9]
	s_cbranch_vccnz .LBB104_389
; %bb.388:
	buffer_load_dword v84, v87, s[0:3], 0 offen
	buffer_load_dword v85, v87, s[0:3], 0 offen offset:4
	ds_read_b64 v[90:91], v86
	s_waitcnt vmcnt(0) lgkmcnt(0)
	v_mul_f64 v[84:85], v[84:85], v[90:91]
	s_cbranch_execz .LBB104_390
	s_branch .LBB104_391
.LBB104_389:
                                        ; implicit-def: $vgpr84_vgpr85
.LBB104_390:
	ds_read_b64 v[84:85], v86
.LBB104_391:
	s_and_saveexec_b64 s[10:11], s[4:5]
	s_cbranch_execz .LBB104_395
; %bb.392:
	v_add_u32_e32 v89, -1, v0
	s_movk_i32 s12, 0x158
	s_mov_b64 s[4:5], 0
.LBB104_393:                            ; =>This Inner Loop Header: Depth=1
	buffer_load_dword v90, v88, s[0:3], 0 offen
	buffer_load_dword v91, v88, s[0:3], 0 offen offset:4
	v_mov_b32_e32 v92, s12
	ds_read_b64 v[92:93], v92
	v_add_u32_e32 v89, -1, v89
	s_add_i32 s12, s12, 8
	v_cmp_eq_u32_e32 vcc, 0, v89
	v_add_u32_e32 v88, 8, v88
	s_or_b64 s[4:5], vcc, s[4:5]
	s_waitcnt vmcnt(0) lgkmcnt(0)
	v_fmac_f64_e32 v[84:85], v[90:91], v[92:93]
	s_andn2_b64 exec, exec, s[4:5]
	s_cbranch_execnz .LBB104_393
; %bb.394:
	s_or_b64 exec, exec, s[4:5]
.LBB104_395:
	s_or_b64 exec, exec, s[10:11]
	v_mov_b32_e32 v88, 0
	ds_read_b64 v[88:89], v88
	s_waitcnt lgkmcnt(0)
	v_mul_f64 v[84:85], v[84:85], v[88:89]
	buffer_store_dword v85, off, s[0:3], 0 offset:4
	buffer_store_dword v84, off, s[0:3], 0
.LBB104_396:
	s_or_b64 exec, exec, s[6:7]
	s_mov_b64 s[4:5], 0
.LBB104_397:
	s_and_b64 vcc, exec, s[4:5]
	s_cbranch_vccz .LBB104_791
; %bb.398:
	buffer_load_dword v84, off, s[0:3], 0 offset:8
	buffer_load_dword v85, off, s[0:3], 0 offset:12
	v_cmp_eq_u32_e64 s[6:7], 0, v0
	s_waitcnt vmcnt(0)
	ds_write_b64 v86, v[84:85]
	s_waitcnt lgkmcnt(0)
	; wave barrier
	s_waitcnt lgkmcnt(0)
	s_and_saveexec_b64 s[4:5], s[6:7]
	s_cbranch_execz .LBB104_404
; %bb.399:
	s_and_b64 vcc, exec, s[8:9]
	s_cbranch_vccz .LBB104_401
; %bb.400:
	buffer_load_dword v84, v87, s[0:3], 0 offen
	buffer_load_dword v85, v87, s[0:3], 0 offen offset:4
	ds_read_b64 v[88:89], v86
	s_waitcnt vmcnt(0) lgkmcnt(0)
	v_mul_f64 v[84:85], v[84:85], v[88:89]
	s_cbranch_execz .LBB104_402
	s_branch .LBB104_403
.LBB104_401:
                                        ; implicit-def: $vgpr84_vgpr85
.LBB104_402:
	ds_read_b64 v[84:85], v86
.LBB104_403:
	v_mov_b32_e32 v88, 0
	ds_read_b64 v[88:89], v88 offset:8
	s_waitcnt lgkmcnt(0)
	v_mul_f64 v[84:85], v[84:85], v[88:89]
	buffer_store_dword v85, off, s[0:3], 0 offset:12
	buffer_store_dword v84, off, s[0:3], 0 offset:8
.LBB104_404:
	s_or_b64 exec, exec, s[4:5]
	buffer_load_dword v84, off, s[0:3], 0 offset:16
	buffer_load_dword v85, off, s[0:3], 0 offset:20
	v_cndmask_b32_e64 v88, 0, 1, s[8:9]
	v_cmp_gt_u32_e32 vcc, 2, v0
	v_cmp_ne_u32_e64 s[4:5], 1, v88
	s_waitcnt vmcnt(0)
	ds_write_b64 v86, v[84:85]
	s_waitcnt lgkmcnt(0)
	; wave barrier
	s_waitcnt lgkmcnt(0)
	s_and_saveexec_b64 s[8:9], vcc
	s_cbranch_execz .LBB104_412
; %bb.405:
	s_and_b64 vcc, exec, s[4:5]
	s_cbranch_vccnz .LBB104_407
; %bb.406:
	buffer_load_dword v84, v87, s[0:3], 0 offen
	buffer_load_dword v85, v87, s[0:3], 0 offen offset:4
	ds_read_b64 v[88:89], v86
	s_waitcnt vmcnt(0) lgkmcnt(0)
	v_mul_f64 v[84:85], v[84:85], v[88:89]
	s_cbranch_execz .LBB104_408
	s_branch .LBB104_409
.LBB104_407:
                                        ; implicit-def: $vgpr84_vgpr85
.LBB104_408:
	ds_read_b64 v[84:85], v86
.LBB104_409:
	s_and_saveexec_b64 s[10:11], s[6:7]
	s_cbranch_execz .LBB104_411
; %bb.410:
	buffer_load_dword v88, v87, s[0:3], 0 offen offset:8
	buffer_load_dword v89, v87, s[0:3], 0 offen offset:12
	ds_read_b64 v[90:91], v86 offset:8
	s_waitcnt vmcnt(0) lgkmcnt(0)
	v_fmac_f64_e32 v[84:85], v[88:89], v[90:91]
.LBB104_411:
	s_or_b64 exec, exec, s[10:11]
	v_mov_b32_e32 v88, 0
	ds_read_b64 v[88:89], v88 offset:16
	s_waitcnt lgkmcnt(0)
	v_mul_f64 v[84:85], v[84:85], v[88:89]
	buffer_store_dword v85, off, s[0:3], 0 offset:20
	buffer_store_dword v84, off, s[0:3], 0 offset:16
.LBB104_412:
	s_or_b64 exec, exec, s[8:9]
	buffer_load_dword v84, off, s[0:3], 0 offset:24
	buffer_load_dword v85, off, s[0:3], 0 offset:28
	v_cmp_gt_u32_e32 vcc, 3, v0
	s_waitcnt vmcnt(0)
	ds_write_b64 v86, v[84:85]
	s_waitcnt lgkmcnt(0)
	; wave barrier
	s_waitcnt lgkmcnt(0)
	s_and_saveexec_b64 s[8:9], vcc
	s_cbranch_execz .LBB104_420
; %bb.413:
	s_and_b64 vcc, exec, s[4:5]
	s_cbranch_vccnz .LBB104_415
; %bb.414:
	buffer_load_dword v84, v87, s[0:3], 0 offen
	buffer_load_dword v85, v87, s[0:3], 0 offen offset:4
	ds_read_b64 v[88:89], v86
	s_waitcnt vmcnt(0) lgkmcnt(0)
	v_mul_f64 v[84:85], v[84:85], v[88:89]
	s_cbranch_execz .LBB104_416
	s_branch .LBB104_417
.LBB104_415:
                                        ; implicit-def: $vgpr84_vgpr85
.LBB104_416:
	ds_read_b64 v[84:85], v86
.LBB104_417:
	v_cmp_ne_u32_e32 vcc, 2, v0
	s_and_saveexec_b64 s[10:11], vcc
	s_cbranch_execz .LBB104_419
; %bb.418:
	buffer_load_dword v89, v87, s[0:3], 0 offen offset:12
	buffer_load_dword v90, off, s[0:3], 0 offset:16
	buffer_load_dword v88, v87, s[0:3], 0 offen offset:8
	buffer_load_dword v91, off, s[0:3], 0 offset:20
	v_mov_b32_e32 v94, 0
	ds_read_b64 v[92:93], v86 offset:8
	ds_read_b64 v[94:95], v94 offset:352
	s_waitcnt vmcnt(1) lgkmcnt(1)
	v_fmac_f64_e32 v[84:85], v[88:89], v[92:93]
	s_waitcnt vmcnt(0) lgkmcnt(0)
	v_fma_f64 v[88:89], v[90:91], v[94:95], v[84:85]
	v_cndmask_b32_e64 v85, v85, v89, s[6:7]
	v_cndmask_b32_e64 v84, v84, v88, s[6:7]
.LBB104_419:
	s_or_b64 exec, exec, s[10:11]
	v_mov_b32_e32 v88, 0
	ds_read_b64 v[88:89], v88 offset:24
	s_waitcnt lgkmcnt(0)
	v_mul_f64 v[84:85], v[84:85], v[88:89]
	buffer_store_dword v85, off, s[0:3], 0 offset:28
	buffer_store_dword v84, off, s[0:3], 0 offset:24
.LBB104_420:
	s_or_b64 exec, exec, s[8:9]
	buffer_load_dword v84, off, s[0:3], 0 offset:32
	buffer_load_dword v85, off, s[0:3], 0 offset:36
	v_cmp_gt_u32_e32 vcc, 4, v0
	s_waitcnt vmcnt(0)
	ds_write_b64 v86, v[84:85]
	s_waitcnt lgkmcnt(0)
	; wave barrier
	s_waitcnt lgkmcnt(0)
	s_and_saveexec_b64 s[6:7], vcc
	s_cbranch_execz .LBB104_430
; %bb.421:
	s_and_b64 vcc, exec, s[4:5]
	s_cbranch_vccnz .LBB104_423
; %bb.422:
	buffer_load_dword v84, v87, s[0:3], 0 offen
	buffer_load_dword v85, v87, s[0:3], 0 offen offset:4
	ds_read_b64 v[88:89], v86
	s_waitcnt vmcnt(0) lgkmcnt(0)
	v_mul_f64 v[84:85], v[84:85], v[88:89]
	s_cbranch_execz .LBB104_424
	s_branch .LBB104_425
.LBB104_423:
                                        ; implicit-def: $vgpr84_vgpr85
.LBB104_424:
	ds_read_b64 v[84:85], v86
.LBB104_425:
	v_cmp_ne_u32_e32 vcc, 3, v0
	s_and_saveexec_b64 s[8:9], vcc
	s_cbranch_execz .LBB104_429
; %bb.426:
	v_mov_b32_e32 v89, 0
	v_add_u32_e32 v88, 0x158, v1
	v_add3_u32 v89, v1, v89, 8
	s_mov_b64 s[10:11], 0
	v_mov_b32_e32 v90, v0
.LBB104_427:                            ; =>This Inner Loop Header: Depth=1
	buffer_load_dword v92, v89, s[0:3], 0 offen
	buffer_load_dword v93, v89, s[0:3], 0 offen offset:4
	ds_read_b64 v[94:95], v88
	v_add_u32_e32 v90, 1, v90
	v_cmp_lt_u32_e32 vcc, 2, v90
	v_add_u32_e32 v88, 8, v88
	v_add_u32_e32 v89, 8, v89
	s_or_b64 s[10:11], vcc, s[10:11]
	s_waitcnt vmcnt(0) lgkmcnt(0)
	v_fmac_f64_e32 v[84:85], v[92:93], v[94:95]
	s_andn2_b64 exec, exec, s[10:11]
	s_cbranch_execnz .LBB104_427
; %bb.428:
	s_or_b64 exec, exec, s[10:11]
.LBB104_429:
	s_or_b64 exec, exec, s[8:9]
	v_mov_b32_e32 v88, 0
	ds_read_b64 v[88:89], v88 offset:32
	s_waitcnt lgkmcnt(0)
	v_mul_f64 v[84:85], v[84:85], v[88:89]
	buffer_store_dword v85, off, s[0:3], 0 offset:36
	buffer_store_dword v84, off, s[0:3], 0 offset:32
.LBB104_430:
	s_or_b64 exec, exec, s[6:7]
	buffer_load_dword v84, off, s[0:3], 0 offset:40
	buffer_load_dword v85, off, s[0:3], 0 offset:44
	v_cmp_gt_u32_e32 vcc, 5, v0
	s_waitcnt vmcnt(0)
	ds_write_b64 v86, v[84:85]
	s_waitcnt lgkmcnt(0)
	; wave barrier
	s_waitcnt lgkmcnt(0)
	s_and_saveexec_b64 s[6:7], vcc
	s_cbranch_execz .LBB104_440
; %bb.431:
	s_and_b64 vcc, exec, s[4:5]
	s_cbranch_vccnz .LBB104_433
; %bb.432:
	buffer_load_dword v84, v87, s[0:3], 0 offen
	buffer_load_dword v85, v87, s[0:3], 0 offen offset:4
	ds_read_b64 v[88:89], v86
	s_waitcnt vmcnt(0) lgkmcnt(0)
	v_mul_f64 v[84:85], v[84:85], v[88:89]
	s_cbranch_execz .LBB104_434
	s_branch .LBB104_435
.LBB104_433:
                                        ; implicit-def: $vgpr84_vgpr85
.LBB104_434:
	ds_read_b64 v[84:85], v86
.LBB104_435:
	v_cmp_ne_u32_e32 vcc, 4, v0
	s_and_saveexec_b64 s[8:9], vcc
	s_cbranch_execz .LBB104_439
; %bb.436:
	v_mov_b32_e32 v89, 0
	v_add_u32_e32 v88, 0x158, v1
	v_add3_u32 v89, v1, v89, 8
	s_mov_b64 s[10:11], 0
	v_mov_b32_e32 v90, v0
.LBB104_437:                            ; =>This Inner Loop Header: Depth=1
	buffer_load_dword v92, v89, s[0:3], 0 offen
	buffer_load_dword v93, v89, s[0:3], 0 offen offset:4
	ds_read_b64 v[94:95], v88
	v_add_u32_e32 v90, 1, v90
	v_cmp_lt_u32_e32 vcc, 3, v90
	v_add_u32_e32 v88, 8, v88
	v_add_u32_e32 v89, 8, v89
	s_or_b64 s[10:11], vcc, s[10:11]
	s_waitcnt vmcnt(0) lgkmcnt(0)
	v_fmac_f64_e32 v[84:85], v[92:93], v[94:95]
	s_andn2_b64 exec, exec, s[10:11]
	s_cbranch_execnz .LBB104_437
; %bb.438:
	s_or_b64 exec, exec, s[10:11]
.LBB104_439:
	s_or_b64 exec, exec, s[8:9]
	v_mov_b32_e32 v88, 0
	ds_read_b64 v[88:89], v88 offset:40
	s_waitcnt lgkmcnt(0)
	v_mul_f64 v[84:85], v[84:85], v[88:89]
	buffer_store_dword v85, off, s[0:3], 0 offset:44
	buffer_store_dword v84, off, s[0:3], 0 offset:40
.LBB104_440:
	;; [unrolled: 60-line block ×35, first 2 shown]
	s_or_b64 exec, exec, s[6:7]
	buffer_load_dword v84, off, s[0:3], 0 offset:312
	buffer_load_dword v85, off, s[0:3], 0 offset:316
	v_cmp_gt_u32_e64 s[6:7], 39, v0
	s_waitcnt vmcnt(0)
	ds_write_b64 v86, v[84:85]
	s_waitcnt lgkmcnt(0)
	; wave barrier
	s_waitcnt lgkmcnt(0)
	s_and_saveexec_b64 s[8:9], s[6:7]
	s_cbranch_execz .LBB104_780
; %bb.771:
	s_and_b64 vcc, exec, s[4:5]
	s_cbranch_vccnz .LBB104_773
; %bb.772:
	buffer_load_dword v84, v87, s[0:3], 0 offen
	buffer_load_dword v85, v87, s[0:3], 0 offen offset:4
	ds_read_b64 v[88:89], v86
	s_waitcnt vmcnt(0) lgkmcnt(0)
	v_mul_f64 v[84:85], v[84:85], v[88:89]
	s_cbranch_execz .LBB104_774
	s_branch .LBB104_775
.LBB104_773:
                                        ; implicit-def: $vgpr84_vgpr85
.LBB104_774:
	ds_read_b64 v[84:85], v86
.LBB104_775:
	v_cmp_ne_u32_e32 vcc, 38, v0
	s_and_saveexec_b64 s[10:11], vcc
	s_cbranch_execz .LBB104_779
; %bb.776:
	v_mov_b32_e32 v89, 0
	v_add_u32_e32 v88, 0x158, v1
	v_add3_u32 v89, v1, v89, 8
	s_mov_b64 s[12:13], 0
	v_mov_b32_e32 v90, v0
.LBB104_777:                            ; =>This Inner Loop Header: Depth=1
	buffer_load_dword v92, v89, s[0:3], 0 offen
	buffer_load_dword v93, v89, s[0:3], 0 offen offset:4
	ds_read_b64 v[94:95], v88
	v_add_u32_e32 v90, 1, v90
	v_cmp_lt_u32_e32 vcc, 37, v90
	v_add_u32_e32 v88, 8, v88
	v_add_u32_e32 v89, 8, v89
	s_or_b64 s[12:13], vcc, s[12:13]
	s_waitcnt vmcnt(0) lgkmcnt(0)
	v_fmac_f64_e32 v[84:85], v[92:93], v[94:95]
	s_andn2_b64 exec, exec, s[12:13]
	s_cbranch_execnz .LBB104_777
; %bb.778:
	s_or_b64 exec, exec, s[12:13]
.LBB104_779:
	s_or_b64 exec, exec, s[10:11]
	v_mov_b32_e32 v88, 0
	ds_read_b64 v[88:89], v88 offset:312
	s_waitcnt lgkmcnt(0)
	v_mul_f64 v[84:85], v[84:85], v[88:89]
	buffer_store_dword v85, off, s[0:3], 0 offset:316
	buffer_store_dword v84, off, s[0:3], 0 offset:312
.LBB104_780:
	s_or_b64 exec, exec, s[8:9]
	buffer_load_dword v84, off, s[0:3], 0 offset:320
	buffer_load_dword v85, off, s[0:3], 0 offset:324
	v_cmp_ne_u32_e32 vcc, 40, v0
	s_waitcnt vmcnt(0)
	ds_write_b64 v86, v[84:85]
	s_waitcnt lgkmcnt(0)
	; wave barrier
	s_waitcnt lgkmcnt(0)
	s_and_saveexec_b64 s[8:9], vcc
	s_cbranch_execz .LBB104_790
; %bb.781:
	s_and_b64 vcc, exec, s[4:5]
	s_cbranch_vccnz .LBB104_783
; %bb.782:
	buffer_load_dword v84, v87, s[0:3], 0 offen
	buffer_load_dword v85, v87, s[0:3], 0 offen offset:4
	ds_read_b64 v[88:89], v86
	s_waitcnt vmcnt(0) lgkmcnt(0)
	v_mul_f64 v[84:85], v[84:85], v[88:89]
	s_cbranch_execz .LBB104_784
	s_branch .LBB104_785
.LBB104_783:
                                        ; implicit-def: $vgpr84_vgpr85
.LBB104_784:
	ds_read_b64 v[84:85], v86
.LBB104_785:
	s_and_saveexec_b64 s[4:5], s[6:7]
	s_cbranch_execz .LBB104_789
; %bb.786:
	v_mov_b32_e32 v87, 0
	v_add_u32_e32 v86, 0x158, v1
	v_add3_u32 v1, v1, v87, 8
	s_mov_b64 s[6:7], 0
.LBB104_787:                            ; =>This Inner Loop Header: Depth=1
	buffer_load_dword v88, v1, s[0:3], 0 offen
	buffer_load_dword v89, v1, s[0:3], 0 offen offset:4
	ds_read_b64 v[90:91], v86
	v_add_u32_e32 v0, 1, v0
	v_cmp_lt_u32_e32 vcc, 38, v0
	v_add_u32_e32 v86, 8, v86
	v_add_u32_e32 v1, 8, v1
	s_or_b64 s[6:7], vcc, s[6:7]
	s_waitcnt vmcnt(0) lgkmcnt(0)
	v_fmac_f64_e32 v[84:85], v[88:89], v[90:91]
	s_andn2_b64 exec, exec, s[6:7]
	s_cbranch_execnz .LBB104_787
; %bb.788:
	s_or_b64 exec, exec, s[6:7]
.LBB104_789:
	s_or_b64 exec, exec, s[4:5]
	v_mov_b32_e32 v0, 0
	ds_read_b64 v[0:1], v0 offset:320
	s_waitcnt lgkmcnt(0)
	v_mul_f64 v[0:1], v[84:85], v[0:1]
	buffer_store_dword v1, off, s[0:3], 0 offset:324
	buffer_store_dword v0, off, s[0:3], 0 offset:320
.LBB104_790:
	s_or_b64 exec, exec, s[8:9]
.LBB104_791:
	buffer_load_dword v0, off, s[0:3], 0
	buffer_load_dword v1, off, s[0:3], 0 offset:4
	buffer_load_dword v84, off, s[0:3], 0 offset:8
	;; [unrolled: 1-line block ×81, first 2 shown]
	s_waitcnt vmcnt(62)
	global_store_dwordx2 v[72:73], v[0:1], off
	global_store_dwordx2 v[74:75], v[84:85], off
	;; [unrolled: 1-line block ×8, first 2 shown]
	s_waitcnt vmcnt(62)
	global_store_dwordx2 v[14:15], v[104:105], off
	global_store_dwordx2 v[16:17], v[98:99], off
	;; [unrolled: 1-line block ×6, first 2 shown]
	s_waitcnt vmcnt(62)
	global_store_dwordx2 v[26:27], v[110:111], off
	global_store_dwordx2 v[28:29], v[112:113], off
	;; [unrolled: 1-line block ×3, first 2 shown]
	s_waitcnt vmcnt(62)
	global_store_dwordx2 v[32:33], v[116:117], off
	s_waitcnt vmcnt(62)
	global_store_dwordx2 v[34:35], v[118:119], off
	;; [unrolled: 2-line block ×24, first 2 shown]
.LBB104_792:
	s_endpgm
	.section	.rodata,"a",@progbits
	.p2align	6, 0x0
	.amdhsa_kernel _ZN9rocsolver6v33100L18trti2_kernel_smallILi41EdPKPdEEv13rocblas_fill_17rocblas_diagonal_T1_iil
		.amdhsa_group_segment_fixed_size 664
		.amdhsa_private_segment_fixed_size 336
		.amdhsa_kernarg_size 32
		.amdhsa_user_sgpr_count 8
		.amdhsa_user_sgpr_private_segment_buffer 1
		.amdhsa_user_sgpr_dispatch_ptr 0
		.amdhsa_user_sgpr_queue_ptr 0
		.amdhsa_user_sgpr_kernarg_segment_ptr 1
		.amdhsa_user_sgpr_dispatch_id 0
		.amdhsa_user_sgpr_flat_scratch_init 1
		.amdhsa_user_sgpr_kernarg_preload_length 0
		.amdhsa_user_sgpr_kernarg_preload_offset 0
		.amdhsa_user_sgpr_private_segment_size 0
		.amdhsa_uses_dynamic_stack 0
		.amdhsa_system_sgpr_private_segment_wavefront_offset 1
		.amdhsa_system_sgpr_workgroup_id_x 1
		.amdhsa_system_sgpr_workgroup_id_y 0
		.amdhsa_system_sgpr_workgroup_id_z 0
		.amdhsa_system_sgpr_workgroup_info 0
		.amdhsa_system_vgpr_workitem_id 0
		.amdhsa_next_free_vgpr 164
		.amdhsa_next_free_sgpr 16
		.amdhsa_accum_offset 164
		.amdhsa_reserve_vcc 1
		.amdhsa_reserve_flat_scratch 0
		.amdhsa_float_round_mode_32 0
		.amdhsa_float_round_mode_16_64 0
		.amdhsa_float_denorm_mode_32 3
		.amdhsa_float_denorm_mode_16_64 3
		.amdhsa_dx10_clamp 1
		.amdhsa_ieee_mode 1
		.amdhsa_fp16_overflow 0
		.amdhsa_tg_split 0
		.amdhsa_exception_fp_ieee_invalid_op 0
		.amdhsa_exception_fp_denorm_src 0
		.amdhsa_exception_fp_ieee_div_zero 0
		.amdhsa_exception_fp_ieee_overflow 0
		.amdhsa_exception_fp_ieee_underflow 0
		.amdhsa_exception_fp_ieee_inexact 0
		.amdhsa_exception_int_div_zero 0
	.end_amdhsa_kernel
	.section	.text._ZN9rocsolver6v33100L18trti2_kernel_smallILi41EdPKPdEEv13rocblas_fill_17rocblas_diagonal_T1_iil,"axG",@progbits,_ZN9rocsolver6v33100L18trti2_kernel_smallILi41EdPKPdEEv13rocblas_fill_17rocblas_diagonal_T1_iil,comdat
.Lfunc_end104:
	.size	_ZN9rocsolver6v33100L18trti2_kernel_smallILi41EdPKPdEEv13rocblas_fill_17rocblas_diagonal_T1_iil, .Lfunc_end104-_ZN9rocsolver6v33100L18trti2_kernel_smallILi41EdPKPdEEv13rocblas_fill_17rocblas_diagonal_T1_iil
                                        ; -- End function
	.section	.AMDGPU.csdata,"",@progbits
; Kernel info:
; codeLenInByte = 23768
; NumSgprs: 20
; NumVgprs: 164
; NumAgprs: 0
; TotalNumVgprs: 164
; ScratchSize: 336
; MemoryBound: 0
; FloatMode: 240
; IeeeMode: 1
; LDSByteSize: 664 bytes/workgroup (compile time only)
; SGPRBlocks: 2
; VGPRBlocks: 20
; NumSGPRsForWavesPerEU: 20
; NumVGPRsForWavesPerEU: 164
; AccumOffset: 164
; Occupancy: 3
; WaveLimiterHint : 1
; COMPUTE_PGM_RSRC2:SCRATCH_EN: 1
; COMPUTE_PGM_RSRC2:USER_SGPR: 8
; COMPUTE_PGM_RSRC2:TRAP_HANDLER: 0
; COMPUTE_PGM_RSRC2:TGID_X_EN: 1
; COMPUTE_PGM_RSRC2:TGID_Y_EN: 0
; COMPUTE_PGM_RSRC2:TGID_Z_EN: 0
; COMPUTE_PGM_RSRC2:TIDIG_COMP_CNT: 0
; COMPUTE_PGM_RSRC3_GFX90A:ACCUM_OFFSET: 40
; COMPUTE_PGM_RSRC3_GFX90A:TG_SPLIT: 0
	.section	.text._ZN9rocsolver6v33100L18trti2_kernel_smallILi42EdPKPdEEv13rocblas_fill_17rocblas_diagonal_T1_iil,"axG",@progbits,_ZN9rocsolver6v33100L18trti2_kernel_smallILi42EdPKPdEEv13rocblas_fill_17rocblas_diagonal_T1_iil,comdat
	.globl	_ZN9rocsolver6v33100L18trti2_kernel_smallILi42EdPKPdEEv13rocblas_fill_17rocblas_diagonal_T1_iil ; -- Begin function _ZN9rocsolver6v33100L18trti2_kernel_smallILi42EdPKPdEEv13rocblas_fill_17rocblas_diagonal_T1_iil
	.p2align	8
	.type	_ZN9rocsolver6v33100L18trti2_kernel_smallILi42EdPKPdEEv13rocblas_fill_17rocblas_diagonal_T1_iil,@function
_ZN9rocsolver6v33100L18trti2_kernel_smallILi42EdPKPdEEv13rocblas_fill_17rocblas_diagonal_T1_iil: ; @_ZN9rocsolver6v33100L18trti2_kernel_smallILi42EdPKPdEEv13rocblas_fill_17rocblas_diagonal_T1_iil
; %bb.0:
	s_add_u32 s0, s0, s9
	s_addc_u32 s1, s1, 0
	v_cmp_gt_u32_e32 vcc, 42, v0
	s_and_saveexec_b64 s[6:7], vcc
	s_cbranch_execz .LBB105_812
; %bb.1:
	s_load_dwordx2 s[6:7], s[4:5], 0x10
	s_load_dwordx4 s[12:15], s[4:5], 0x0
	s_ashr_i32 s9, s8, 31
	s_lshl_b64 s[4:5], s[8:9], 3
	s_waitcnt lgkmcnt(0)
	s_ashr_i32 s9, s6, 31
	s_add_u32 s4, s14, s4
	s_addc_u32 s5, s15, s5
	s_load_dwordx2 s[4:5], s[4:5], 0x0
	s_mov_b32 s8, s6
	s_lshl_b64 s[8:9], s[8:9], 3
	s_waitcnt lgkmcnt(0)
	s_add_u32 s4, s4, s8
	s_addc_u32 s5, s5, s9
	s_add_i32 s6, s7, s7
	v_add_u32_e32 v4, s6, v0
	v_ashrrev_i32_e32 v5, 31, v4
	v_lshlrev_b64 v[2:3], 3, v[4:5]
	v_add_u32_e32 v6, s7, v4
	v_mov_b32_e32 v1, s5
	v_add_co_u32_e32 v2, vcc, s4, v2
	v_ashrrev_i32_e32 v7, 31, v6
	v_addc_co_u32_e32 v3, vcc, v1, v3, vcc
	v_lshlrev_b64 v[4:5], 3, v[6:7]
	v_add_u32_e32 v8, s7, v6
	v_add_co_u32_e32 v4, vcc, s4, v4
	v_ashrrev_i32_e32 v9, 31, v8
	v_addc_co_u32_e32 v5, vcc, v1, v5, vcc
	v_lshlrev_b64 v[6:7], 3, v[8:9]
	v_add_u32_e32 v10, s7, v8
	v_add_co_u32_e32 v6, vcc, s4, v6
	v_ashrrev_i32_e32 v11, 31, v10
	v_addc_co_u32_e32 v7, vcc, v1, v7, vcc
	v_lshlrev_b64 v[8:9], 3, v[10:11]
	v_add_u32_e32 v12, s7, v10
	v_add_co_u32_e32 v8, vcc, s4, v8
	v_ashrrev_i32_e32 v13, 31, v12
	v_addc_co_u32_e32 v9, vcc, v1, v9, vcc
	v_lshlrev_b64 v[10:11], 3, v[12:13]
	v_add_u32_e32 v14, s7, v12
	v_add_co_u32_e32 v10, vcc, s4, v10
	v_ashrrev_i32_e32 v15, 31, v14
	v_addc_co_u32_e32 v11, vcc, v1, v11, vcc
	v_lshlrev_b64 v[12:13], 3, v[14:15]
	v_add_u32_e32 v16, s7, v14
	v_add_co_u32_e32 v12, vcc, s4, v12
	v_ashrrev_i32_e32 v17, 31, v16
	v_addc_co_u32_e32 v13, vcc, v1, v13, vcc
	v_lshlrev_b64 v[14:15], 3, v[16:17]
	v_add_u32_e32 v18, s7, v16
	v_add_co_u32_e32 v14, vcc, s4, v14
	v_ashrrev_i32_e32 v19, 31, v18
	v_addc_co_u32_e32 v15, vcc, v1, v15, vcc
	v_lshlrev_b64 v[16:17], 3, v[18:19]
	v_add_u32_e32 v20, s7, v18
	v_add_co_u32_e32 v16, vcc, s4, v16
	v_ashrrev_i32_e32 v21, 31, v20
	v_addc_co_u32_e32 v17, vcc, v1, v17, vcc
	v_lshlrev_b64 v[18:19], 3, v[20:21]
	v_add_u32_e32 v22, s7, v20
	v_add_co_u32_e32 v18, vcc, s4, v18
	v_ashrrev_i32_e32 v23, 31, v22
	v_addc_co_u32_e32 v19, vcc, v1, v19, vcc
	v_lshlrev_b64 v[20:21], 3, v[22:23]
	v_add_u32_e32 v24, s7, v22
	v_add_co_u32_e32 v20, vcc, s4, v20
	v_ashrrev_i32_e32 v25, 31, v24
	v_addc_co_u32_e32 v21, vcc, v1, v21, vcc
	v_lshlrev_b64 v[22:23], 3, v[24:25]
	v_add_u32_e32 v26, s7, v24
	v_add_co_u32_e32 v22, vcc, s4, v22
	v_ashrrev_i32_e32 v27, 31, v26
	v_addc_co_u32_e32 v23, vcc, v1, v23, vcc
	v_lshlrev_b64 v[24:25], 3, v[26:27]
	v_add_u32_e32 v28, s7, v26
	v_add_co_u32_e32 v24, vcc, s4, v24
	v_ashrrev_i32_e32 v29, 31, v28
	v_addc_co_u32_e32 v25, vcc, v1, v25, vcc
	v_lshlrev_b64 v[26:27], 3, v[28:29]
	v_add_u32_e32 v30, s7, v28
	v_add_co_u32_e32 v26, vcc, s4, v26
	v_ashrrev_i32_e32 v31, 31, v30
	v_addc_co_u32_e32 v27, vcc, v1, v27, vcc
	v_lshlrev_b64 v[28:29], 3, v[30:31]
	v_add_u32_e32 v32, s7, v30
	v_add_co_u32_e32 v28, vcc, s4, v28
	v_ashrrev_i32_e32 v33, 31, v32
	v_addc_co_u32_e32 v29, vcc, v1, v29, vcc
	v_lshlrev_b64 v[30:31], 3, v[32:33]
	v_add_u32_e32 v34, s7, v32
	v_add_co_u32_e32 v30, vcc, s4, v30
	v_ashrrev_i32_e32 v35, 31, v34
	v_addc_co_u32_e32 v31, vcc, v1, v31, vcc
	v_lshlrev_b64 v[32:33], 3, v[34:35]
	v_add_u32_e32 v36, s7, v34
	v_add_co_u32_e32 v32, vcc, s4, v32
	v_ashrrev_i32_e32 v37, 31, v36
	v_addc_co_u32_e32 v33, vcc, v1, v33, vcc
	v_lshlrev_b64 v[34:35], 3, v[36:37]
	v_add_u32_e32 v38, s7, v36
	v_add_co_u32_e32 v34, vcc, s4, v34
	v_ashrrev_i32_e32 v39, 31, v38
	v_addc_co_u32_e32 v35, vcc, v1, v35, vcc
	v_lshlrev_b64 v[36:37], 3, v[38:39]
	v_add_u32_e32 v40, s7, v38
	v_add_co_u32_e32 v36, vcc, s4, v36
	v_ashrrev_i32_e32 v41, 31, v40
	v_addc_co_u32_e32 v37, vcc, v1, v37, vcc
	v_lshlrev_b64 v[38:39], 3, v[40:41]
	v_add_u32_e32 v42, s7, v40
	v_add_co_u32_e32 v38, vcc, s4, v38
	v_ashrrev_i32_e32 v43, 31, v42
	v_addc_co_u32_e32 v39, vcc, v1, v39, vcc
	v_lshlrev_b64 v[40:41], 3, v[42:43]
	v_add_u32_e32 v44, s7, v42
	v_add_co_u32_e32 v40, vcc, s4, v40
	v_ashrrev_i32_e32 v45, 31, v44
	v_addc_co_u32_e32 v41, vcc, v1, v41, vcc
	v_lshlrev_b64 v[42:43], 3, v[44:45]
	v_add_u32_e32 v46, s7, v44
	v_add_co_u32_e32 v42, vcc, s4, v42
	v_ashrrev_i32_e32 v47, 31, v46
	v_addc_co_u32_e32 v43, vcc, v1, v43, vcc
	v_lshlrev_b64 v[44:45], 3, v[46:47]
	v_add_u32_e32 v48, s7, v46
	v_add_co_u32_e32 v44, vcc, s4, v44
	v_ashrrev_i32_e32 v49, 31, v48
	v_addc_co_u32_e32 v45, vcc, v1, v45, vcc
	v_lshlrev_b64 v[46:47], 3, v[48:49]
	v_add_u32_e32 v50, s7, v48
	v_add_co_u32_e32 v46, vcc, s4, v46
	v_ashrrev_i32_e32 v51, 31, v50
	v_addc_co_u32_e32 v47, vcc, v1, v47, vcc
	v_lshlrev_b64 v[48:49], 3, v[50:51]
	v_add_u32_e32 v52, s7, v50
	v_add_co_u32_e32 v48, vcc, s4, v48
	v_ashrrev_i32_e32 v53, 31, v52
	v_addc_co_u32_e32 v49, vcc, v1, v49, vcc
	v_lshlrev_b64 v[50:51], 3, v[52:53]
	v_add_u32_e32 v54, s7, v52
	v_add_co_u32_e32 v50, vcc, s4, v50
	v_ashrrev_i32_e32 v55, 31, v54
	v_addc_co_u32_e32 v51, vcc, v1, v51, vcc
	v_lshlrev_b64 v[52:53], 3, v[54:55]
	v_add_u32_e32 v56, s7, v54
	v_add_co_u32_e32 v52, vcc, s4, v52
	v_ashrrev_i32_e32 v57, 31, v56
	v_addc_co_u32_e32 v53, vcc, v1, v53, vcc
	v_lshlrev_b64 v[54:55], 3, v[56:57]
	v_add_u32_e32 v58, s7, v56
	v_add_co_u32_e32 v54, vcc, s4, v54
	v_ashrrev_i32_e32 v59, 31, v58
	v_addc_co_u32_e32 v55, vcc, v1, v55, vcc
	v_lshlrev_b64 v[56:57], 3, v[58:59]
	v_add_u32_e32 v60, s7, v58
	v_add_co_u32_e32 v56, vcc, s4, v56
	v_ashrrev_i32_e32 v61, 31, v60
	v_addc_co_u32_e32 v57, vcc, v1, v57, vcc
	v_lshlrev_b64 v[58:59], 3, v[60:61]
	v_add_u32_e32 v62, s7, v60
	v_add_co_u32_e32 v58, vcc, s4, v58
	v_ashrrev_i32_e32 v63, 31, v62
	v_addc_co_u32_e32 v59, vcc, v1, v59, vcc
	v_lshlrev_b64 v[60:61], 3, v[62:63]
	v_add_u32_e32 v64, s7, v62
	v_add_co_u32_e32 v60, vcc, s4, v60
	v_ashrrev_i32_e32 v65, 31, v64
	v_addc_co_u32_e32 v61, vcc, v1, v61, vcc
	v_lshlrev_b64 v[62:63], 3, v[64:65]
	v_add_u32_e32 v66, s7, v64
	v_add_co_u32_e32 v62, vcc, s4, v62
	v_ashrrev_i32_e32 v67, 31, v66
	v_addc_co_u32_e32 v63, vcc, v1, v63, vcc
	v_lshlrev_b64 v[64:65], 3, v[66:67]
	v_add_u32_e32 v68, s7, v66
	v_add_co_u32_e32 v64, vcc, s4, v64
	v_ashrrev_i32_e32 v69, 31, v68
	v_addc_co_u32_e32 v65, vcc, v1, v65, vcc
	v_lshlrev_b64 v[66:67], 3, v[68:69]
	v_add_u32_e32 v70, s7, v68
	v_add_co_u32_e32 v66, vcc, s4, v66
	v_ashrrev_i32_e32 v71, 31, v70
	v_addc_co_u32_e32 v67, vcc, v1, v67, vcc
	v_lshlrev_b64 v[68:69], 3, v[70:71]
	v_add_co_u32_e32 v68, vcc, s4, v68
	v_add_u32_e32 v72, s7, v70
	v_addc_co_u32_e32 v69, vcc, v1, v69, vcc
	v_ashrrev_i32_e32 v73, 31, v72
	v_lshlrev_b32_e32 v1, 3, v0
	v_lshlrev_b64 v[70:71], 3, v[72:73]
	v_mov_b32_e32 v73, s5
	v_add_co_u32_e32 v76, vcc, s4, v1
	s_ashr_i32 s9, s7, 31
	s_mov_b32 s8, s7
	v_addc_co_u32_e32 v77, vcc, 0, v73, vcc
	s_lshl_b64 s[8:9], s[8:9], 3
	v_mov_b32_e32 v73, s9
	v_add_co_u32_e32 v78, vcc, s8, v76
	v_addc_co_u32_e32 v79, vcc, v77, v73, vcc
	v_mov_b32_e32 v74, s5
	v_add_co_u32_e32 v70, vcc, s4, v70
	v_addc_co_u32_e32 v71, vcc, v74, v71, vcc
	v_add_u32_e32 v74, s7, v72
	v_ashrrev_i32_e32 v75, 31, v74
	v_lshlrev_b64 v[72:73], 3, v[74:75]
	v_mov_b32_e32 v80, s5
	v_add_co_u32_e32 v72, vcc, s4, v72
	global_load_dwordx2 v[86:87], v1, s[4:5]
	global_load_dwordx2 v[90:91], v[2:3], off
	global_load_dwordx2 v[92:93], v[4:5], off
	;; [unrolled: 1-line block ×3, first 2 shown]
	v_addc_co_u32_e32 v73, vcc, v80, v73, vcc
	v_add_u32_e32 v80, s7, v74
	v_ashrrev_i32_e32 v81, 31, v80
	v_lshlrev_b64 v[74:75], 3, v[80:81]
	v_mov_b32_e32 v82, s5
	v_add_co_u32_e32 v74, vcc, s4, v74
	global_load_dwordx2 v[88:89], v[78:79], off
	v_addc_co_u32_e32 v75, vcc, v82, v75, vcc
	v_add_u32_e32 v82, s7, v80
	v_ashrrev_i32_e32 v83, 31, v82
	v_lshlrev_b64 v[80:81], 3, v[82:83]
	v_mov_b32_e32 v84, s5
	v_add_co_u32_e32 v80, vcc, s4, v80
	v_addc_co_u32_e32 v81, vcc, v84, v81, vcc
	v_add_u32_e32 v84, s7, v82
	v_ashrrev_i32_e32 v85, 31, v84
	v_lshlrev_b64 v[82:83], 3, v[84:85]
	v_add_u32_e32 v84, s7, v84
	v_mov_b32_e32 v136, s5
	v_add_co_u32_e32 v82, vcc, s4, v82
	v_ashrrev_i32_e32 v85, 31, v84
	v_addc_co_u32_e32 v83, vcc, v136, v83, vcc
	v_lshlrev_b64 v[84:85], 3, v[84:85]
	v_mov_b32_e32 v152, s5
	v_add_co_u32_e32 v84, vcc, s4, v84
	global_load_dwordx2 v[96:97], v[8:9], off
	global_load_dwordx2 v[98:99], v[10:11], off
	global_load_dwordx2 v[100:101], v[12:13], off
	global_load_dwordx2 v[102:103], v[14:15], off
	global_load_dwordx2 v[104:105], v[16:17], off
	global_load_dwordx2 v[106:107], v[18:19], off
	global_load_dwordx2 v[108:109], v[20:21], off
	global_load_dwordx2 v[110:111], v[22:23], off
	global_load_dwordx2 v[112:113], v[24:25], off
	global_load_dwordx2 v[114:115], v[26:27], off
	global_load_dwordx2 v[116:117], v[28:29], off
	global_load_dwordx2 v[118:119], v[30:31], off
	global_load_dwordx2 v[120:121], v[32:33], off
	global_load_dwordx2 v[122:123], v[34:35], off
	global_load_dwordx2 v[124:125], v[36:37], off
	global_load_dwordx2 v[126:127], v[38:39], off
	global_load_dwordx2 v[128:129], v[40:41], off
	global_load_dwordx2 v[130:131], v[42:43], off
	global_load_dwordx2 v[132:133], v[44:45], off
	global_load_dwordx2 v[134:135], v[46:47], off
	global_load_dwordx2 v[136:137], v[48:49], off
	global_load_dwordx2 v[138:139], v[50:51], off
	global_load_dwordx2 v[140:141], v[52:53], off
	global_load_dwordx2 v[142:143], v[54:55], off
	global_load_dwordx2 v[144:145], v[56:57], off
	global_load_dwordx2 v[146:147], v[58:59], off
	global_load_dwordx2 v[148:149], v[60:61], off
	global_load_dwordx2 v[150:151], v[62:63], off
	v_addc_co_u32_e32 v85, vcc, v152, v85, vcc
	global_load_dwordx2 v[152:153], v[64:65], off
	global_load_dwordx2 v[154:155], v[84:85], off
	;; [unrolled: 1-line block ×6, first 2 shown]
	s_cmpk_lg_i32 s13, 0x84
	s_cselect_b64 s[8:9], -1, 0
	s_cmpk_eq_i32 s13, 0x84
	s_waitcnt vmcnt(38)
	buffer_store_dword v87, off, s[0:3], 0 offset:4
	buffer_store_dword v86, off, s[0:3], 0
	global_load_dwordx2 v[86:87], v[70:71], off
	s_waitcnt vmcnt(40)
	buffer_store_dword v91, off, s[0:3], 0 offset:20
	buffer_store_dword v90, off, s[0:3], 0 offset:16
	global_load_dwordx2 v[90:91], v[82:83], off
	s_waitcnt vmcnt(40)
	buffer_store_dword v89, off, s[0:3], 0 offset:12
	buffer_store_dword v88, off, s[0:3], 0 offset:8
	global_load_dwordx2 v[88:89], v[74:75], off
	s_nop 0
	buffer_store_dword v93, off, s[0:3], 0 offset:28
	buffer_store_dword v92, off, s[0:3], 0 offset:24
	;; [unrolled: 1-line block ×4, first 2 shown]
	s_waitcnt vmcnt(46)
	buffer_store_dword v97, off, s[0:3], 0 offset:44
	buffer_store_dword v96, off, s[0:3], 0 offset:40
	s_waitcnt vmcnt(47)
	buffer_store_dword v99, off, s[0:3], 0 offset:52
	buffer_store_dword v98, off, s[0:3], 0 offset:48
	;; [unrolled: 3-line block ×18, first 2 shown]
	buffer_store_dword v132, off, s[0:3], 0 offset:184
	buffer_store_dword v133, off, s[0:3], 0 offset:188
	s_waitcnt vmcnt(62)
	buffer_store_dword v134, off, s[0:3], 0 offset:192
	buffer_store_dword v135, off, s[0:3], 0 offset:196
	;; [unrolled: 1-line block ×8, first 2 shown]
	s_waitcnt vmcnt(62)
	buffer_store_dword v142, off, s[0:3], 0 offset:224
	buffer_store_dword v143, off, s[0:3], 0 offset:228
	;; [unrolled: 1-line block ×14, first 2 shown]
	s_waitcnt vmcnt(62)
	buffer_store_dword v158, off, s[0:3], 0 offset:280
	buffer_store_dword v159, off, s[0:3], 0 offset:284
	buffer_store_dword v86, off, s[0:3], 0 offset:288
	buffer_store_dword v87, off, s[0:3], 0 offset:292
	buffer_store_dword v161, off, s[0:3], 0 offset:300
	buffer_store_dword v160, off, s[0:3], 0 offset:296
	buffer_store_dword v89, off, s[0:3], 0 offset:308
	buffer_store_dword v88, off, s[0:3], 0 offset:304
	buffer_store_dword v162, off, s[0:3], 0 offset:312
	buffer_store_dword v163, off, s[0:3], 0 offset:316
	buffer_store_dword v90, off, s[0:3], 0 offset:320
	buffer_store_dword v91, off, s[0:3], 0 offset:324
	buffer_store_dword v154, off, s[0:3], 0 offset:328
	buffer_store_dword v155, off, s[0:3], 0 offset:332
	v_mov_b32_e32 v86, 0
	v_mov_b32_e32 v128, 0
	;; [unrolled: 1-line block ×3, first 2 shown]
	s_cbranch_scc1 .LBB105_3
; %bb.2:
	v_lshl_add_u32 v96, v0, 3, v128
	buffer_load_dword v86, v96, s[0:3], 0 offen
	buffer_load_dword v87, v96, s[0:3], 0 offen offset:4
	s_waitcnt vmcnt(0)
	v_div_scale_f64 v[88:89], s[4:5], v[86:87], v[86:87], 1.0
	v_rcp_f64_e32 v[90:91], v[88:89]
	v_div_scale_f64 v[92:93], vcc, 1.0, v[86:87], 1.0
	v_fma_f64 v[94:95], -v[88:89], v[90:91], 1.0
	v_fmac_f64_e32 v[90:91], v[90:91], v[94:95]
	v_fma_f64 v[94:95], -v[88:89], v[90:91], 1.0
	v_fmac_f64_e32 v[90:91], v[90:91], v[94:95]
	v_mul_f64 v[94:95], v[92:93], v[90:91]
	v_fma_f64 v[88:89], -v[88:89], v[94:95], v[92:93]
	v_div_fmas_f64 v[88:89], v[88:89], v[90:91], v[94:95]
	v_div_fixup_f64 v[86:87], v[88:89], v[86:87], 1.0
	buffer_store_dword v86, v96, s[0:3], 0 offen
	buffer_store_dword v87, v96, s[0:3], 0 offen offset:4
	v_xor_b32_e32 v87, 0x80000000, v87
.LBB105_3:
	s_cmpk_eq_i32 s12, 0x79
	v_add_u32_e32 v88, 0x150, v1
	v_add_u32_e32 v89, 0, v1
	s_mov_b64 s[4:5], -1
	ds_write_b64 v1, v[86:87]
	s_cbranch_scc1 .LBB105_407
; %bb.4:
	buffer_load_dword v86, off, s[0:3], 0 offset:320
	buffer_load_dword v87, off, s[0:3], 0 offset:324
	v_cmp_eq_u32_e64 s[4:5], 41, v0
	s_waitcnt vmcnt(0)
	ds_write_b64 v88, v[86:87]
	s_waitcnt lgkmcnt(0)
	; wave barrier
	s_waitcnt lgkmcnt(0)
	s_and_saveexec_b64 s[6:7], s[4:5]
	s_cbranch_execz .LBB105_10
; %bb.5:
	s_and_b64 vcc, exec, s[8:9]
	s_cbranch_vccz .LBB105_7
; %bb.6:
	buffer_load_dword v86, v89, s[0:3], 0 offen
	buffer_load_dword v87, v89, s[0:3], 0 offen offset:4
	ds_read_b64 v[90:91], v88
	s_waitcnt vmcnt(0) lgkmcnt(0)
	v_mul_f64 v[86:87], v[86:87], v[90:91]
	s_cbranch_execz .LBB105_8
	s_branch .LBB105_9
.LBB105_7:
                                        ; implicit-def: $vgpr86_vgpr87
.LBB105_8:
	ds_read_b64 v[86:87], v88
.LBB105_9:
	v_mov_b32_e32 v90, 0
	ds_read_b64 v[90:91], v90 offset:320
	s_waitcnt lgkmcnt(0)
	v_mul_f64 v[86:87], v[86:87], v[90:91]
	buffer_store_dword v87, off, s[0:3], 0 offset:324
	buffer_store_dword v86, off, s[0:3], 0 offset:320
.LBB105_10:
	s_or_b64 exec, exec, s[6:7]
	buffer_load_dword v86, off, s[0:3], 0 offset:312
	buffer_load_dword v87, off, s[0:3], 0 offset:316
	v_or_b32_e32 v90, 8, v128
	v_add_u32_e32 v91, 16, v128
	v_add_u32_e32 v92, 24, v128
	;; [unrolled: 1-line block ×38, first 2 shown]
	v_cmp_lt_u32_e64 s[6:7], 39, v0
	s_waitcnt vmcnt(0)
	ds_write_b64 v88, v[86:87]
	s_waitcnt lgkmcnt(0)
	; wave barrier
	s_waitcnt lgkmcnt(0)
	s_and_saveexec_b64 s[10:11], s[6:7]
	s_cbranch_execz .LBB105_16
; %bb.11:
	s_andn2_b64 vcc, exec, s[8:9]
	s_cbranch_vccnz .LBB105_13
; %bb.12:
	buffer_load_dword v86, v89, s[0:3], 0 offen
	buffer_load_dword v87, v89, s[0:3], 0 offen offset:4
	ds_read_b64 v[130:131], v88
	s_waitcnt vmcnt(0) lgkmcnt(0)
	v_mul_f64 v[86:87], v[86:87], v[130:131]
	s_cbranch_execz .LBB105_14
	s_branch .LBB105_15
.LBB105_13:
                                        ; implicit-def: $vgpr86_vgpr87
.LBB105_14:
	ds_read_b64 v[86:87], v88
.LBB105_15:
	buffer_load_dword v134, off, s[0:3], 0 offset:320
	buffer_load_dword v135, off, s[0:3], 0 offset:324
	v_mov_b32_e32 v129, 0
	ds_read2_b64 v[130:133], v129 offset0:39 offset1:82
	s_waitcnt vmcnt(0) lgkmcnt(0)
	v_fma_f64 v[132:133], v[134:135], v[132:133], v[86:87]
	v_cndmask_b32_e64 v87, v87, v133, s[4:5]
	v_cndmask_b32_e64 v86, v86, v132, s[4:5]
	v_mul_f64 v[86:87], v[86:87], v[130:131]
	buffer_store_dword v87, off, s[0:3], 0 offset:316
	buffer_store_dword v86, off, s[0:3], 0 offset:312
.LBB105_16:
	s_or_b64 exec, exec, s[10:11]
	buffer_load_dword v86, off, s[0:3], 0 offset:304
	buffer_load_dword v87, off, s[0:3], 0 offset:308
	v_cmp_lt_u32_e64 s[4:5], 38, v0
	s_waitcnt vmcnt(0)
	ds_write_b64 v88, v[86:87]
	s_waitcnt lgkmcnt(0)
	; wave barrier
	s_waitcnt lgkmcnt(0)
	s_and_saveexec_b64 s[10:11], s[4:5]
	s_cbranch_execz .LBB105_26
; %bb.17:
	s_andn2_b64 vcc, exec, s[8:9]
	s_cbranch_vccnz .LBB105_19
; %bb.18:
	buffer_load_dword v86, v89, s[0:3], 0 offen
	buffer_load_dword v87, v89, s[0:3], 0 offen offset:4
	ds_read_b64 v[130:131], v88
	s_waitcnt vmcnt(0) lgkmcnt(0)
	v_mul_f64 v[86:87], v[86:87], v[130:131]
	s_cbranch_execz .LBB105_20
	s_branch .LBB105_21
.LBB105_19:
                                        ; implicit-def: $vgpr86_vgpr87
.LBB105_20:
	ds_read_b64 v[86:87], v88
.LBB105_21:
	s_and_saveexec_b64 s[12:13], s[6:7]
	s_cbranch_execz .LBB105_25
; %bb.22:
	v_subrev_u32_e32 v129, 39, v0
	s_movk_i32 s14, 0x288
	s_mov_b64 s[6:7], 0
.LBB105_23:                             ; =>This Inner Loop Header: Depth=1
	buffer_load_dword v130, v128, s[0:3], 0 offen
	buffer_load_dword v131, v128, s[0:3], 0 offen offset:4
	v_mov_b32_e32 v132, s14
	ds_read_b64 v[132:133], v132
	v_add_u32_e32 v129, -1, v129
	s_add_i32 s14, s14, 8
	v_cmp_eq_u32_e32 vcc, 0, v129
	v_add_u32_e32 v128, 8, v128
	s_or_b64 s[6:7], vcc, s[6:7]
	s_waitcnt vmcnt(0) lgkmcnt(0)
	v_fmac_f64_e32 v[86:87], v[130:131], v[132:133]
	s_andn2_b64 exec, exec, s[6:7]
	s_cbranch_execnz .LBB105_23
; %bb.24:
	s_or_b64 exec, exec, s[6:7]
.LBB105_25:
	s_or_b64 exec, exec, s[12:13]
	v_mov_b32_e32 v128, 0
	ds_read_b64 v[128:129], v128 offset:304
	s_waitcnt lgkmcnt(0)
	v_mul_f64 v[86:87], v[86:87], v[128:129]
	buffer_store_dword v87, off, s[0:3], 0 offset:308
	buffer_store_dword v86, off, s[0:3], 0 offset:304
.LBB105_26:
	s_or_b64 exec, exec, s[10:11]
	buffer_load_dword v86, off, s[0:3], 0 offset:296
	buffer_load_dword v87, off, s[0:3], 0 offset:300
	v_cmp_lt_u32_e64 s[6:7], 37, v0
	s_waitcnt vmcnt(0)
	ds_write_b64 v88, v[86:87]
	s_waitcnt lgkmcnt(0)
	; wave barrier
	s_waitcnt lgkmcnt(0)
	s_and_saveexec_b64 s[10:11], s[6:7]
	s_cbranch_execz .LBB105_36
; %bb.27:
	s_andn2_b64 vcc, exec, s[8:9]
	s_cbranch_vccnz .LBB105_29
; %bb.28:
	buffer_load_dword v86, v89, s[0:3], 0 offen
	buffer_load_dword v87, v89, s[0:3], 0 offen offset:4
	ds_read_b64 v[128:129], v88
	s_waitcnt vmcnt(0) lgkmcnt(0)
	v_mul_f64 v[86:87], v[86:87], v[128:129]
	s_cbranch_execz .LBB105_30
	s_branch .LBB105_31
.LBB105_29:
                                        ; implicit-def: $vgpr86_vgpr87
.LBB105_30:
	ds_read_b64 v[86:87], v88
.LBB105_31:
	s_and_saveexec_b64 s[12:13], s[4:5]
	s_cbranch_execz .LBB105_35
; %bb.32:
	v_subrev_u32_e32 v128, 38, v0
	s_movk_i32 s14, 0x280
	s_mov_b64 s[4:5], 0
.LBB105_33:                             ; =>This Inner Loop Header: Depth=1
	buffer_load_dword v130, v127, s[0:3], 0 offen
	buffer_load_dword v131, v127, s[0:3], 0 offen offset:4
	v_mov_b32_e32 v129, s14
	ds_read_b64 v[132:133], v129
	v_add_u32_e32 v128, -1, v128
	s_add_i32 s14, s14, 8
	v_cmp_eq_u32_e32 vcc, 0, v128
	v_add_u32_e32 v127, 8, v127
	s_or_b64 s[4:5], vcc, s[4:5]
	s_waitcnt vmcnt(0) lgkmcnt(0)
	v_fmac_f64_e32 v[86:87], v[130:131], v[132:133]
	s_andn2_b64 exec, exec, s[4:5]
	s_cbranch_execnz .LBB105_33
; %bb.34:
	s_or_b64 exec, exec, s[4:5]
.LBB105_35:
	s_or_b64 exec, exec, s[12:13]
	v_mov_b32_e32 v127, 0
	ds_read_b64 v[128:129], v127 offset:296
	s_waitcnt lgkmcnt(0)
	v_mul_f64 v[86:87], v[86:87], v[128:129]
	buffer_store_dword v87, off, s[0:3], 0 offset:300
	buffer_store_dword v86, off, s[0:3], 0 offset:296
.LBB105_36:
	;; [unrolled: 58-line block ×8, first 2 shown]
	s_or_b64 exec, exec, s[10:11]
	buffer_load_dword v86, off, s[0:3], 0 offset:240
	buffer_load_dword v87, off, s[0:3], 0 offset:244
	v_cmp_lt_u32_e64 s[4:5], 30, v0
	s_waitcnt vmcnt(0)
	ds_write_b64 v88, v[86:87]
	s_waitcnt lgkmcnt(0)
	; wave barrier
	s_waitcnt lgkmcnt(0)
	s_and_saveexec_b64 s[10:11], s[4:5]
	s_cbranch_execz .LBB105_106
; %bb.97:
	s_andn2_b64 vcc, exec, s[8:9]
	s_cbranch_vccnz .LBB105_99
; %bb.98:
	buffer_load_dword v86, v89, s[0:3], 0 offen
	buffer_load_dword v87, v89, s[0:3], 0 offen offset:4
	ds_read_b64 v[122:123], v88
	s_waitcnt vmcnt(0) lgkmcnt(0)
	v_mul_f64 v[86:87], v[86:87], v[122:123]
	s_cbranch_execz .LBB105_100
	s_branch .LBB105_101
.LBB105_99:
                                        ; implicit-def: $vgpr86_vgpr87
.LBB105_100:
	ds_read_b64 v[86:87], v88
.LBB105_101:
	s_and_saveexec_b64 s[12:13], s[6:7]
	s_cbranch_execz .LBB105_105
; %bb.102:
	v_subrev_u32_e32 v121, 31, v0
	s_movk_i32 s14, 0x248
	s_mov_b64 s[6:7], 0
.LBB105_103:                            ; =>This Inner Loop Header: Depth=1
	buffer_load_dword v122, v120, s[0:3], 0 offen
	buffer_load_dword v123, v120, s[0:3], 0 offen offset:4
	v_mov_b32_e32 v124, s14
	ds_read_b64 v[124:125], v124
	v_add_u32_e32 v121, -1, v121
	s_add_i32 s14, s14, 8
	v_cmp_eq_u32_e32 vcc, 0, v121
	v_add_u32_e32 v120, 8, v120
	s_or_b64 s[6:7], vcc, s[6:7]
	s_waitcnt vmcnt(0) lgkmcnt(0)
	v_fmac_f64_e32 v[86:87], v[122:123], v[124:125]
	s_andn2_b64 exec, exec, s[6:7]
	s_cbranch_execnz .LBB105_103
; %bb.104:
	s_or_b64 exec, exec, s[6:7]
.LBB105_105:
	s_or_b64 exec, exec, s[12:13]
	v_mov_b32_e32 v120, 0
	ds_read_b64 v[120:121], v120 offset:240
	s_waitcnt lgkmcnt(0)
	v_mul_f64 v[86:87], v[86:87], v[120:121]
	buffer_store_dword v87, off, s[0:3], 0 offset:244
	buffer_store_dword v86, off, s[0:3], 0 offset:240
.LBB105_106:
	s_or_b64 exec, exec, s[10:11]
	buffer_load_dword v86, off, s[0:3], 0 offset:232
	buffer_load_dword v87, off, s[0:3], 0 offset:236
	v_cmp_lt_u32_e64 s[6:7], 29, v0
	s_waitcnt vmcnt(0)
	ds_write_b64 v88, v[86:87]
	s_waitcnt lgkmcnt(0)
	; wave barrier
	s_waitcnt lgkmcnt(0)
	s_and_saveexec_b64 s[10:11], s[6:7]
	s_cbranch_execz .LBB105_116
; %bb.107:
	s_andn2_b64 vcc, exec, s[8:9]
	s_cbranch_vccnz .LBB105_109
; %bb.108:
	buffer_load_dword v86, v89, s[0:3], 0 offen
	buffer_load_dword v87, v89, s[0:3], 0 offen offset:4
	ds_read_b64 v[120:121], v88
	s_waitcnt vmcnt(0) lgkmcnt(0)
	v_mul_f64 v[86:87], v[86:87], v[120:121]
	s_cbranch_execz .LBB105_110
	s_branch .LBB105_111
.LBB105_109:
                                        ; implicit-def: $vgpr86_vgpr87
.LBB105_110:
	ds_read_b64 v[86:87], v88
.LBB105_111:
	s_and_saveexec_b64 s[12:13], s[4:5]
	s_cbranch_execz .LBB105_115
; %bb.112:
	v_subrev_u32_e32 v120, 30, v0
	s_movk_i32 s14, 0x240
	s_mov_b64 s[4:5], 0
.LBB105_113:                            ; =>This Inner Loop Header: Depth=1
	buffer_load_dword v122, v119, s[0:3], 0 offen
	buffer_load_dword v123, v119, s[0:3], 0 offen offset:4
	v_mov_b32_e32 v121, s14
	ds_read_b64 v[124:125], v121
	v_add_u32_e32 v120, -1, v120
	s_add_i32 s14, s14, 8
	v_cmp_eq_u32_e32 vcc, 0, v120
	v_add_u32_e32 v119, 8, v119
	s_or_b64 s[4:5], vcc, s[4:5]
	s_waitcnt vmcnt(0) lgkmcnt(0)
	v_fmac_f64_e32 v[86:87], v[122:123], v[124:125]
	s_andn2_b64 exec, exec, s[4:5]
	s_cbranch_execnz .LBB105_113
; %bb.114:
	s_or_b64 exec, exec, s[4:5]
.LBB105_115:
	s_or_b64 exec, exec, s[12:13]
	v_mov_b32_e32 v119, 0
	ds_read_b64 v[120:121], v119 offset:232
	s_waitcnt lgkmcnt(0)
	v_mul_f64 v[86:87], v[86:87], v[120:121]
	buffer_store_dword v87, off, s[0:3], 0 offset:236
	buffer_store_dword v86, off, s[0:3], 0 offset:232
.LBB105_116:
	;; [unrolled: 58-line block ×15, first 2 shown]
	s_or_b64 exec, exec, s[10:11]
	buffer_load_dword v86, off, s[0:3], 0 offset:120
	buffer_load_dword v87, off, s[0:3], 0 offset:124
	v_cmp_lt_u32_e64 s[6:7], 15, v0
	s_waitcnt vmcnt(0)
	ds_write_b64 v88, v[86:87]
	s_waitcnt lgkmcnt(0)
	; wave barrier
	s_waitcnt lgkmcnt(0)
	s_and_saveexec_b64 s[10:11], s[6:7]
	s_cbranch_execz .LBB105_256
; %bb.247:
	s_andn2_b64 vcc, exec, s[8:9]
	s_cbranch_vccnz .LBB105_249
; %bb.248:
	buffer_load_dword v86, v89, s[0:3], 0 offen
	buffer_load_dword v87, v89, s[0:3], 0 offen offset:4
	ds_read_b64 v[106:107], v88
	s_waitcnt vmcnt(0) lgkmcnt(0)
	v_mul_f64 v[86:87], v[86:87], v[106:107]
	s_cbranch_execz .LBB105_250
	s_branch .LBB105_251
.LBB105_249:
                                        ; implicit-def: $vgpr86_vgpr87
.LBB105_250:
	ds_read_b64 v[86:87], v88
.LBB105_251:
	s_and_saveexec_b64 s[12:13], s[4:5]
	s_cbranch_execz .LBB105_255
; %bb.252:
	v_add_u32_e32 v106, -16, v0
	s_movk_i32 s14, 0x1d0
	s_mov_b64 s[4:5], 0
.LBB105_253:                            ; =>This Inner Loop Header: Depth=1
	buffer_load_dword v108, v105, s[0:3], 0 offen
	buffer_load_dword v109, v105, s[0:3], 0 offen offset:4
	v_mov_b32_e32 v107, s14
	ds_read_b64 v[110:111], v107
	v_add_u32_e32 v106, -1, v106
	s_add_i32 s14, s14, 8
	v_cmp_eq_u32_e32 vcc, 0, v106
	v_add_u32_e32 v105, 8, v105
	s_or_b64 s[4:5], vcc, s[4:5]
	s_waitcnt vmcnt(0) lgkmcnt(0)
	v_fmac_f64_e32 v[86:87], v[108:109], v[110:111]
	s_andn2_b64 exec, exec, s[4:5]
	s_cbranch_execnz .LBB105_253
; %bb.254:
	s_or_b64 exec, exec, s[4:5]
.LBB105_255:
	s_or_b64 exec, exec, s[12:13]
	v_mov_b32_e32 v105, 0
	ds_read_b64 v[106:107], v105 offset:120
	s_waitcnt lgkmcnt(0)
	v_mul_f64 v[86:87], v[86:87], v[106:107]
	buffer_store_dword v87, off, s[0:3], 0 offset:124
	buffer_store_dword v86, off, s[0:3], 0 offset:120
.LBB105_256:
	s_or_b64 exec, exec, s[10:11]
	buffer_load_dword v86, off, s[0:3], 0 offset:112
	buffer_load_dword v87, off, s[0:3], 0 offset:116
	v_cmp_lt_u32_e64 s[4:5], 14, v0
	s_waitcnt vmcnt(0)
	ds_write_b64 v88, v[86:87]
	s_waitcnt lgkmcnt(0)
	; wave barrier
	s_waitcnt lgkmcnt(0)
	s_and_saveexec_b64 s[10:11], s[4:5]
	s_cbranch_execz .LBB105_266
; %bb.257:
	s_andn2_b64 vcc, exec, s[8:9]
	s_cbranch_vccnz .LBB105_259
; %bb.258:
	buffer_load_dword v86, v89, s[0:3], 0 offen
	buffer_load_dword v87, v89, s[0:3], 0 offen offset:4
	ds_read_b64 v[106:107], v88
	s_waitcnt vmcnt(0) lgkmcnt(0)
	v_mul_f64 v[86:87], v[86:87], v[106:107]
	s_cbranch_execz .LBB105_260
	s_branch .LBB105_261
.LBB105_259:
                                        ; implicit-def: $vgpr86_vgpr87
.LBB105_260:
	ds_read_b64 v[86:87], v88
.LBB105_261:
	s_and_saveexec_b64 s[12:13], s[6:7]
	s_cbranch_execz .LBB105_265
; %bb.262:
	v_add_u32_e32 v105, -15, v0
	s_movk_i32 s14, 0x1c8
	s_mov_b64 s[6:7], 0
.LBB105_263:                            ; =>This Inner Loop Header: Depth=1
	buffer_load_dword v106, v104, s[0:3], 0 offen
	buffer_load_dword v107, v104, s[0:3], 0 offen offset:4
	v_mov_b32_e32 v108, s14
	ds_read_b64 v[108:109], v108
	v_add_u32_e32 v105, -1, v105
	s_add_i32 s14, s14, 8
	v_cmp_eq_u32_e32 vcc, 0, v105
	v_add_u32_e32 v104, 8, v104
	s_or_b64 s[6:7], vcc, s[6:7]
	s_waitcnt vmcnt(0) lgkmcnt(0)
	v_fmac_f64_e32 v[86:87], v[106:107], v[108:109]
	s_andn2_b64 exec, exec, s[6:7]
	s_cbranch_execnz .LBB105_263
; %bb.264:
	s_or_b64 exec, exec, s[6:7]
.LBB105_265:
	s_or_b64 exec, exec, s[12:13]
	v_mov_b32_e32 v104, 0
	ds_read_b64 v[104:105], v104 offset:112
	s_waitcnt lgkmcnt(0)
	v_mul_f64 v[86:87], v[86:87], v[104:105]
	buffer_store_dword v87, off, s[0:3], 0 offset:116
	buffer_store_dword v86, off, s[0:3], 0 offset:112
.LBB105_266:
	;; [unrolled: 58-line block ×15, first 2 shown]
	s_or_b64 exec, exec, s[10:11]
	buffer_load_dword v86, off, s[0:3], 0
	buffer_load_dword v87, off, s[0:3], 0 offset:4
	v_cmp_ne_u32_e32 vcc, 0, v0
	s_waitcnt vmcnt(0)
	ds_write_b64 v88, v[86:87]
	s_waitcnt lgkmcnt(0)
	; wave barrier
	s_waitcnt lgkmcnt(0)
	s_and_saveexec_b64 s[4:5], vcc
	s_cbranch_execz .LBB105_406
; %bb.397:
	s_andn2_b64 vcc, exec, s[8:9]
	s_cbranch_vccnz .LBB105_399
; %bb.398:
	buffer_load_dword v86, v89, s[0:3], 0 offen
	buffer_load_dword v87, v89, s[0:3], 0 offen offset:4
	ds_read_b64 v[92:93], v88
	s_waitcnt vmcnt(0) lgkmcnt(0)
	v_mul_f64 v[86:87], v[86:87], v[92:93]
	s_cbranch_execz .LBB105_400
	s_branch .LBB105_401
.LBB105_399:
                                        ; implicit-def: $vgpr86_vgpr87
.LBB105_400:
	ds_read_b64 v[86:87], v88
.LBB105_401:
	s_and_saveexec_b64 s[10:11], s[6:7]
	s_cbranch_execz .LBB105_405
; %bb.402:
	v_add_u32_e32 v91, -1, v0
	s_movk_i32 s12, 0x158
	s_mov_b64 s[6:7], 0
.LBB105_403:                            ; =>This Inner Loop Header: Depth=1
	buffer_load_dword v92, v90, s[0:3], 0 offen
	buffer_load_dword v93, v90, s[0:3], 0 offen offset:4
	v_mov_b32_e32 v94, s12
	ds_read_b64 v[94:95], v94
	v_add_u32_e32 v91, -1, v91
	s_add_i32 s12, s12, 8
	v_cmp_eq_u32_e32 vcc, 0, v91
	v_add_u32_e32 v90, 8, v90
	s_or_b64 s[6:7], vcc, s[6:7]
	s_waitcnt vmcnt(0) lgkmcnt(0)
	v_fmac_f64_e32 v[86:87], v[92:93], v[94:95]
	s_andn2_b64 exec, exec, s[6:7]
	s_cbranch_execnz .LBB105_403
; %bb.404:
	s_or_b64 exec, exec, s[6:7]
.LBB105_405:
	s_or_b64 exec, exec, s[10:11]
	v_mov_b32_e32 v90, 0
	ds_read_b64 v[90:91], v90
	s_waitcnt lgkmcnt(0)
	v_mul_f64 v[86:87], v[86:87], v[90:91]
	buffer_store_dword v87, off, s[0:3], 0 offset:4
	buffer_store_dword v86, off, s[0:3], 0
.LBB105_406:
	s_or_b64 exec, exec, s[4:5]
	s_mov_b64 s[4:5], 0
.LBB105_407:
	s_and_b64 vcc, exec, s[4:5]
	s_cbranch_vccz .LBB105_811
; %bb.408:
	buffer_load_dword v86, off, s[0:3], 0 offset:8
	buffer_load_dword v87, off, s[0:3], 0 offset:12
	v_cmp_eq_u32_e64 s[6:7], 0, v0
	s_waitcnt vmcnt(0)
	ds_write_b64 v88, v[86:87]
	s_waitcnt lgkmcnt(0)
	; wave barrier
	s_waitcnt lgkmcnt(0)
	s_and_saveexec_b64 s[4:5], s[6:7]
	s_cbranch_execz .LBB105_414
; %bb.409:
	s_and_b64 vcc, exec, s[8:9]
	s_cbranch_vccz .LBB105_411
; %bb.410:
	buffer_load_dword v86, v89, s[0:3], 0 offen
	buffer_load_dword v87, v89, s[0:3], 0 offen offset:4
	ds_read_b64 v[90:91], v88
	s_waitcnt vmcnt(0) lgkmcnt(0)
	v_mul_f64 v[86:87], v[86:87], v[90:91]
	s_cbranch_execz .LBB105_412
	s_branch .LBB105_413
.LBB105_411:
                                        ; implicit-def: $vgpr86_vgpr87
.LBB105_412:
	ds_read_b64 v[86:87], v88
.LBB105_413:
	v_mov_b32_e32 v90, 0
	ds_read_b64 v[90:91], v90 offset:8
	s_waitcnt lgkmcnt(0)
	v_mul_f64 v[86:87], v[86:87], v[90:91]
	buffer_store_dword v87, off, s[0:3], 0 offset:12
	buffer_store_dword v86, off, s[0:3], 0 offset:8
.LBB105_414:
	s_or_b64 exec, exec, s[4:5]
	buffer_load_dword v86, off, s[0:3], 0 offset:16
	buffer_load_dword v87, off, s[0:3], 0 offset:20
	v_cndmask_b32_e64 v90, 0, 1, s[8:9]
	v_cmp_gt_u32_e32 vcc, 2, v0
	v_cmp_ne_u32_e64 s[4:5], 1, v90
	s_waitcnt vmcnt(0)
	ds_write_b64 v88, v[86:87]
	s_waitcnt lgkmcnt(0)
	; wave barrier
	s_waitcnt lgkmcnt(0)
	s_and_saveexec_b64 s[8:9], vcc
	s_cbranch_execz .LBB105_422
; %bb.415:
	s_and_b64 vcc, exec, s[4:5]
	s_cbranch_vccnz .LBB105_417
; %bb.416:
	buffer_load_dword v86, v89, s[0:3], 0 offen
	buffer_load_dword v87, v89, s[0:3], 0 offen offset:4
	ds_read_b64 v[90:91], v88
	s_waitcnt vmcnt(0) lgkmcnt(0)
	v_mul_f64 v[86:87], v[86:87], v[90:91]
	s_cbranch_execz .LBB105_418
	s_branch .LBB105_419
.LBB105_417:
                                        ; implicit-def: $vgpr86_vgpr87
.LBB105_418:
	ds_read_b64 v[86:87], v88
.LBB105_419:
	s_and_saveexec_b64 s[10:11], s[6:7]
	s_cbranch_execz .LBB105_421
; %bb.420:
	buffer_load_dword v90, v89, s[0:3], 0 offen offset:8
	buffer_load_dword v91, v89, s[0:3], 0 offen offset:12
	ds_read_b64 v[92:93], v88 offset:8
	s_waitcnt vmcnt(0) lgkmcnt(0)
	v_fmac_f64_e32 v[86:87], v[90:91], v[92:93]
.LBB105_421:
	s_or_b64 exec, exec, s[10:11]
	v_mov_b32_e32 v90, 0
	ds_read_b64 v[90:91], v90 offset:16
	s_waitcnt lgkmcnt(0)
	v_mul_f64 v[86:87], v[86:87], v[90:91]
	buffer_store_dword v87, off, s[0:3], 0 offset:20
	buffer_store_dword v86, off, s[0:3], 0 offset:16
.LBB105_422:
	s_or_b64 exec, exec, s[8:9]
	buffer_load_dword v86, off, s[0:3], 0 offset:24
	buffer_load_dword v87, off, s[0:3], 0 offset:28
	v_cmp_gt_u32_e32 vcc, 3, v0
	s_waitcnt vmcnt(0)
	ds_write_b64 v88, v[86:87]
	s_waitcnt lgkmcnt(0)
	; wave barrier
	s_waitcnt lgkmcnt(0)
	s_and_saveexec_b64 s[8:9], vcc
	s_cbranch_execz .LBB105_430
; %bb.423:
	s_and_b64 vcc, exec, s[4:5]
	s_cbranch_vccnz .LBB105_425
; %bb.424:
	buffer_load_dword v86, v89, s[0:3], 0 offen
	buffer_load_dword v87, v89, s[0:3], 0 offen offset:4
	ds_read_b64 v[90:91], v88
	s_waitcnt vmcnt(0) lgkmcnt(0)
	v_mul_f64 v[86:87], v[86:87], v[90:91]
	s_cbranch_execz .LBB105_426
	s_branch .LBB105_427
.LBB105_425:
                                        ; implicit-def: $vgpr86_vgpr87
.LBB105_426:
	ds_read_b64 v[86:87], v88
.LBB105_427:
	v_cmp_ne_u32_e32 vcc, 2, v0
	s_and_saveexec_b64 s[10:11], vcc
	s_cbranch_execz .LBB105_429
; %bb.428:
	buffer_load_dword v91, v89, s[0:3], 0 offen offset:12
	buffer_load_dword v92, off, s[0:3], 0 offset:16
	buffer_load_dword v90, v89, s[0:3], 0 offen offset:8
	buffer_load_dword v93, off, s[0:3], 0 offset:20
	v_mov_b32_e32 v96, 0
	ds_read_b64 v[94:95], v88 offset:8
	ds_read_b64 v[96:97], v96 offset:352
	s_waitcnt vmcnt(1) lgkmcnt(1)
	v_fmac_f64_e32 v[86:87], v[90:91], v[94:95]
	s_waitcnt vmcnt(0) lgkmcnt(0)
	v_fma_f64 v[90:91], v[92:93], v[96:97], v[86:87]
	v_cndmask_b32_e64 v87, v87, v91, s[6:7]
	v_cndmask_b32_e64 v86, v86, v90, s[6:7]
.LBB105_429:
	s_or_b64 exec, exec, s[10:11]
	v_mov_b32_e32 v90, 0
	ds_read_b64 v[90:91], v90 offset:24
	s_waitcnt lgkmcnt(0)
	v_mul_f64 v[86:87], v[86:87], v[90:91]
	buffer_store_dword v87, off, s[0:3], 0 offset:28
	buffer_store_dword v86, off, s[0:3], 0 offset:24
.LBB105_430:
	s_or_b64 exec, exec, s[8:9]
	buffer_load_dword v86, off, s[0:3], 0 offset:32
	buffer_load_dword v87, off, s[0:3], 0 offset:36
	v_cmp_gt_u32_e32 vcc, 4, v0
	s_waitcnt vmcnt(0)
	ds_write_b64 v88, v[86:87]
	s_waitcnt lgkmcnt(0)
	; wave barrier
	s_waitcnt lgkmcnt(0)
	s_and_saveexec_b64 s[6:7], vcc
	s_cbranch_execz .LBB105_440
; %bb.431:
	s_and_b64 vcc, exec, s[4:5]
	s_cbranch_vccnz .LBB105_433
; %bb.432:
	buffer_load_dword v86, v89, s[0:3], 0 offen
	buffer_load_dword v87, v89, s[0:3], 0 offen offset:4
	ds_read_b64 v[90:91], v88
	s_waitcnt vmcnt(0) lgkmcnt(0)
	v_mul_f64 v[86:87], v[86:87], v[90:91]
	s_cbranch_execz .LBB105_434
	s_branch .LBB105_435
.LBB105_433:
                                        ; implicit-def: $vgpr86_vgpr87
.LBB105_434:
	ds_read_b64 v[86:87], v88
.LBB105_435:
	v_cmp_ne_u32_e32 vcc, 3, v0
	s_and_saveexec_b64 s[8:9], vcc
	s_cbranch_execz .LBB105_439
; %bb.436:
	v_mov_b32_e32 v91, 0
	v_add_u32_e32 v90, 0x158, v1
	v_add3_u32 v91, v1, v91, 8
	s_mov_b64 s[10:11], 0
	v_mov_b32_e32 v92, v0
.LBB105_437:                            ; =>This Inner Loop Header: Depth=1
	buffer_load_dword v94, v91, s[0:3], 0 offen
	buffer_load_dword v95, v91, s[0:3], 0 offen offset:4
	ds_read_b64 v[96:97], v90
	v_add_u32_e32 v92, 1, v92
	v_cmp_lt_u32_e32 vcc, 2, v92
	v_add_u32_e32 v90, 8, v90
	v_add_u32_e32 v91, 8, v91
	s_or_b64 s[10:11], vcc, s[10:11]
	s_waitcnt vmcnt(0) lgkmcnt(0)
	v_fmac_f64_e32 v[86:87], v[94:95], v[96:97]
	s_andn2_b64 exec, exec, s[10:11]
	s_cbranch_execnz .LBB105_437
; %bb.438:
	s_or_b64 exec, exec, s[10:11]
.LBB105_439:
	s_or_b64 exec, exec, s[8:9]
	v_mov_b32_e32 v90, 0
	ds_read_b64 v[90:91], v90 offset:32
	s_waitcnt lgkmcnt(0)
	v_mul_f64 v[86:87], v[86:87], v[90:91]
	buffer_store_dword v87, off, s[0:3], 0 offset:36
	buffer_store_dword v86, off, s[0:3], 0 offset:32
.LBB105_440:
	s_or_b64 exec, exec, s[6:7]
	buffer_load_dword v86, off, s[0:3], 0 offset:40
	buffer_load_dword v87, off, s[0:3], 0 offset:44
	v_cmp_gt_u32_e32 vcc, 5, v0
	s_waitcnt vmcnt(0)
	ds_write_b64 v88, v[86:87]
	s_waitcnt lgkmcnt(0)
	; wave barrier
	s_waitcnt lgkmcnt(0)
	s_and_saveexec_b64 s[6:7], vcc
	s_cbranch_execz .LBB105_450
; %bb.441:
	s_and_b64 vcc, exec, s[4:5]
	s_cbranch_vccnz .LBB105_443
; %bb.442:
	buffer_load_dword v86, v89, s[0:3], 0 offen
	buffer_load_dword v87, v89, s[0:3], 0 offen offset:4
	ds_read_b64 v[90:91], v88
	s_waitcnt vmcnt(0) lgkmcnt(0)
	v_mul_f64 v[86:87], v[86:87], v[90:91]
	s_cbranch_execz .LBB105_444
	s_branch .LBB105_445
.LBB105_443:
                                        ; implicit-def: $vgpr86_vgpr87
.LBB105_444:
	ds_read_b64 v[86:87], v88
.LBB105_445:
	v_cmp_ne_u32_e32 vcc, 4, v0
	s_and_saveexec_b64 s[8:9], vcc
	s_cbranch_execz .LBB105_449
; %bb.446:
	v_mov_b32_e32 v91, 0
	v_add_u32_e32 v90, 0x158, v1
	v_add3_u32 v91, v1, v91, 8
	s_mov_b64 s[10:11], 0
	v_mov_b32_e32 v92, v0
.LBB105_447:                            ; =>This Inner Loop Header: Depth=1
	buffer_load_dword v94, v91, s[0:3], 0 offen
	buffer_load_dword v95, v91, s[0:3], 0 offen offset:4
	ds_read_b64 v[96:97], v90
	v_add_u32_e32 v92, 1, v92
	v_cmp_lt_u32_e32 vcc, 3, v92
	v_add_u32_e32 v90, 8, v90
	v_add_u32_e32 v91, 8, v91
	s_or_b64 s[10:11], vcc, s[10:11]
	s_waitcnt vmcnt(0) lgkmcnt(0)
	v_fmac_f64_e32 v[86:87], v[94:95], v[96:97]
	s_andn2_b64 exec, exec, s[10:11]
	s_cbranch_execnz .LBB105_447
; %bb.448:
	s_or_b64 exec, exec, s[10:11]
.LBB105_449:
	s_or_b64 exec, exec, s[8:9]
	v_mov_b32_e32 v90, 0
	ds_read_b64 v[90:91], v90 offset:40
	s_waitcnt lgkmcnt(0)
	v_mul_f64 v[86:87], v[86:87], v[90:91]
	buffer_store_dword v87, off, s[0:3], 0 offset:44
	buffer_store_dword v86, off, s[0:3], 0 offset:40
.LBB105_450:
	;; [unrolled: 60-line block ×36, first 2 shown]
	s_or_b64 exec, exec, s[6:7]
	buffer_load_dword v86, off, s[0:3], 0 offset:320
	buffer_load_dword v87, off, s[0:3], 0 offset:324
	v_cmp_gt_u32_e64 s[6:7], 40, v0
	s_waitcnt vmcnt(0)
	ds_write_b64 v88, v[86:87]
	s_waitcnt lgkmcnt(0)
	; wave barrier
	s_waitcnt lgkmcnt(0)
	s_and_saveexec_b64 s[8:9], s[6:7]
	s_cbranch_execz .LBB105_800
; %bb.791:
	s_and_b64 vcc, exec, s[4:5]
	s_cbranch_vccnz .LBB105_793
; %bb.792:
	buffer_load_dword v86, v89, s[0:3], 0 offen
	buffer_load_dword v87, v89, s[0:3], 0 offen offset:4
	ds_read_b64 v[90:91], v88
	s_waitcnt vmcnt(0) lgkmcnt(0)
	v_mul_f64 v[86:87], v[86:87], v[90:91]
	s_cbranch_execz .LBB105_794
	s_branch .LBB105_795
.LBB105_793:
                                        ; implicit-def: $vgpr86_vgpr87
.LBB105_794:
	ds_read_b64 v[86:87], v88
.LBB105_795:
	v_cmp_ne_u32_e32 vcc, 39, v0
	s_and_saveexec_b64 s[10:11], vcc
	s_cbranch_execz .LBB105_799
; %bb.796:
	v_mov_b32_e32 v91, 0
	v_add_u32_e32 v90, 0x158, v1
	v_add3_u32 v91, v1, v91, 8
	s_mov_b64 s[12:13], 0
	v_mov_b32_e32 v92, v0
.LBB105_797:                            ; =>This Inner Loop Header: Depth=1
	buffer_load_dword v94, v91, s[0:3], 0 offen
	buffer_load_dword v95, v91, s[0:3], 0 offen offset:4
	ds_read_b64 v[96:97], v90
	v_add_u32_e32 v92, 1, v92
	v_cmp_lt_u32_e32 vcc, 38, v92
	v_add_u32_e32 v90, 8, v90
	v_add_u32_e32 v91, 8, v91
	s_or_b64 s[12:13], vcc, s[12:13]
	s_waitcnt vmcnt(0) lgkmcnt(0)
	v_fmac_f64_e32 v[86:87], v[94:95], v[96:97]
	s_andn2_b64 exec, exec, s[12:13]
	s_cbranch_execnz .LBB105_797
; %bb.798:
	s_or_b64 exec, exec, s[12:13]
.LBB105_799:
	s_or_b64 exec, exec, s[10:11]
	v_mov_b32_e32 v90, 0
	ds_read_b64 v[90:91], v90 offset:320
	s_waitcnt lgkmcnt(0)
	v_mul_f64 v[86:87], v[86:87], v[90:91]
	buffer_store_dword v87, off, s[0:3], 0 offset:324
	buffer_store_dword v86, off, s[0:3], 0 offset:320
.LBB105_800:
	s_or_b64 exec, exec, s[8:9]
	buffer_load_dword v86, off, s[0:3], 0 offset:328
	buffer_load_dword v87, off, s[0:3], 0 offset:332
	v_cmp_ne_u32_e32 vcc, 41, v0
	s_waitcnt vmcnt(0)
	ds_write_b64 v88, v[86:87]
	s_waitcnt lgkmcnt(0)
	; wave barrier
	s_waitcnt lgkmcnt(0)
	s_and_saveexec_b64 s[8:9], vcc
	s_cbranch_execz .LBB105_810
; %bb.801:
	s_and_b64 vcc, exec, s[4:5]
	s_cbranch_vccnz .LBB105_803
; %bb.802:
	buffer_load_dword v86, v89, s[0:3], 0 offen
	buffer_load_dword v87, v89, s[0:3], 0 offen offset:4
	ds_read_b64 v[90:91], v88
	s_waitcnt vmcnt(0) lgkmcnt(0)
	v_mul_f64 v[86:87], v[86:87], v[90:91]
	s_cbranch_execz .LBB105_804
	s_branch .LBB105_805
.LBB105_803:
                                        ; implicit-def: $vgpr86_vgpr87
.LBB105_804:
	ds_read_b64 v[86:87], v88
.LBB105_805:
	s_and_saveexec_b64 s[4:5], s[6:7]
	s_cbranch_execz .LBB105_809
; %bb.806:
	v_mov_b32_e32 v89, 0
	v_add_u32_e32 v88, 0x158, v1
	v_add3_u32 v1, v1, v89, 8
	s_mov_b64 s[6:7], 0
.LBB105_807:                            ; =>This Inner Loop Header: Depth=1
	buffer_load_dword v90, v1, s[0:3], 0 offen
	buffer_load_dword v91, v1, s[0:3], 0 offen offset:4
	ds_read_b64 v[92:93], v88
	v_add_u32_e32 v0, 1, v0
	v_cmp_lt_u32_e32 vcc, 39, v0
	v_add_u32_e32 v88, 8, v88
	v_add_u32_e32 v1, 8, v1
	s_or_b64 s[6:7], vcc, s[6:7]
	s_waitcnt vmcnt(0) lgkmcnt(0)
	v_fmac_f64_e32 v[86:87], v[90:91], v[92:93]
	s_andn2_b64 exec, exec, s[6:7]
	s_cbranch_execnz .LBB105_807
; %bb.808:
	s_or_b64 exec, exec, s[6:7]
.LBB105_809:
	s_or_b64 exec, exec, s[4:5]
	v_mov_b32_e32 v0, 0
	ds_read_b64 v[0:1], v0 offset:328
	s_waitcnt lgkmcnt(0)
	v_mul_f64 v[0:1], v[86:87], v[0:1]
	buffer_store_dword v1, off, s[0:3], 0 offset:332
	buffer_store_dword v0, off, s[0:3], 0 offset:328
.LBB105_810:
	s_or_b64 exec, exec, s[8:9]
.LBB105_811:
	buffer_load_dword v0, off, s[0:3], 0
	buffer_load_dword v1, off, s[0:3], 0 offset:4
	buffer_load_dword v86, off, s[0:3], 0 offset:8
	;; [unrolled: 1-line block ×83, first 2 shown]
	s_waitcnt vmcnt(62)
	global_store_dwordx2 v[76:77], v[0:1], off
	global_store_dwordx2 v[78:79], v[86:87], off
	;; [unrolled: 1-line block ×8, first 2 shown]
	s_waitcnt vmcnt(62)
	global_store_dwordx2 v[14:15], v[106:107], off
	global_store_dwordx2 v[16:17], v[100:101], off
	;; [unrolled: 1-line block ×7, first 2 shown]
	s_waitcnt vmcnt(62)
	global_store_dwordx2 v[28:29], v[114:115], off
	global_store_dwordx2 v[30:31], v[116:117], off
	;; [unrolled: 1-line block ×3, first 2 shown]
	s_waitcnt vmcnt(62)
	global_store_dwordx2 v[34:35], v[120:121], off
	global_store_dwordx2 v[36:37], v[122:123], off
	s_waitcnt vmcnt(62)
	global_store_dwordx2 v[38:39], v[124:125], off
	s_waitcnt vmcnt(61)
	;; [unrolled: 2-line block ×22, first 2 shown]
	global_store_dwordx2 v[84:85], v[166:167], off
.LBB105_812:
	s_endpgm
	.section	.rodata,"a",@progbits
	.p2align	6, 0x0
	.amdhsa_kernel _ZN9rocsolver6v33100L18trti2_kernel_smallILi42EdPKPdEEv13rocblas_fill_17rocblas_diagonal_T1_iil
		.amdhsa_group_segment_fixed_size 672
		.amdhsa_private_segment_fixed_size 352
		.amdhsa_kernarg_size 32
		.amdhsa_user_sgpr_count 8
		.amdhsa_user_sgpr_private_segment_buffer 1
		.amdhsa_user_sgpr_dispatch_ptr 0
		.amdhsa_user_sgpr_queue_ptr 0
		.amdhsa_user_sgpr_kernarg_segment_ptr 1
		.amdhsa_user_sgpr_dispatch_id 0
		.amdhsa_user_sgpr_flat_scratch_init 1
		.amdhsa_user_sgpr_kernarg_preload_length 0
		.amdhsa_user_sgpr_kernarg_preload_offset 0
		.amdhsa_user_sgpr_private_segment_size 0
		.amdhsa_uses_dynamic_stack 0
		.amdhsa_system_sgpr_private_segment_wavefront_offset 1
		.amdhsa_system_sgpr_workgroup_id_x 1
		.amdhsa_system_sgpr_workgroup_id_y 0
		.amdhsa_system_sgpr_workgroup_id_z 0
		.amdhsa_system_sgpr_workgroup_info 0
		.amdhsa_system_vgpr_workitem_id 0
		.amdhsa_next_free_vgpr 168
		.amdhsa_next_free_sgpr 16
		.amdhsa_accum_offset 168
		.amdhsa_reserve_vcc 1
		.amdhsa_reserve_flat_scratch 0
		.amdhsa_float_round_mode_32 0
		.amdhsa_float_round_mode_16_64 0
		.amdhsa_float_denorm_mode_32 3
		.amdhsa_float_denorm_mode_16_64 3
		.amdhsa_dx10_clamp 1
		.amdhsa_ieee_mode 1
		.amdhsa_fp16_overflow 0
		.amdhsa_tg_split 0
		.amdhsa_exception_fp_ieee_invalid_op 0
		.amdhsa_exception_fp_denorm_src 0
		.amdhsa_exception_fp_ieee_div_zero 0
		.amdhsa_exception_fp_ieee_overflow 0
		.amdhsa_exception_fp_ieee_underflow 0
		.amdhsa_exception_fp_ieee_inexact 0
		.amdhsa_exception_int_div_zero 0
	.end_amdhsa_kernel
	.section	.text._ZN9rocsolver6v33100L18trti2_kernel_smallILi42EdPKPdEEv13rocblas_fill_17rocblas_diagonal_T1_iil,"axG",@progbits,_ZN9rocsolver6v33100L18trti2_kernel_smallILi42EdPKPdEEv13rocblas_fill_17rocblas_diagonal_T1_iil,comdat
.Lfunc_end105:
	.size	_ZN9rocsolver6v33100L18trti2_kernel_smallILi42EdPKPdEEv13rocblas_fill_17rocblas_diagonal_T1_iil, .Lfunc_end105-_ZN9rocsolver6v33100L18trti2_kernel_smallILi42EdPKPdEEv13rocblas_fill_17rocblas_diagonal_T1_iil
                                        ; -- End function
	.section	.AMDGPU.csdata,"",@progbits
; Kernel info:
; codeLenInByte = 24348
; NumSgprs: 20
; NumVgprs: 168
; NumAgprs: 0
; TotalNumVgprs: 168
; ScratchSize: 352
; MemoryBound: 0
; FloatMode: 240
; IeeeMode: 1
; LDSByteSize: 672 bytes/workgroup (compile time only)
; SGPRBlocks: 2
; VGPRBlocks: 20
; NumSGPRsForWavesPerEU: 20
; NumVGPRsForWavesPerEU: 168
; AccumOffset: 168
; Occupancy: 3
; WaveLimiterHint : 1
; COMPUTE_PGM_RSRC2:SCRATCH_EN: 1
; COMPUTE_PGM_RSRC2:USER_SGPR: 8
; COMPUTE_PGM_RSRC2:TRAP_HANDLER: 0
; COMPUTE_PGM_RSRC2:TGID_X_EN: 1
; COMPUTE_PGM_RSRC2:TGID_Y_EN: 0
; COMPUTE_PGM_RSRC2:TGID_Z_EN: 0
; COMPUTE_PGM_RSRC2:TIDIG_COMP_CNT: 0
; COMPUTE_PGM_RSRC3_GFX90A:ACCUM_OFFSET: 41
; COMPUTE_PGM_RSRC3_GFX90A:TG_SPLIT: 0
	.section	.text._ZN9rocsolver6v33100L18trti2_kernel_smallILi43EdPKPdEEv13rocblas_fill_17rocblas_diagonal_T1_iil,"axG",@progbits,_ZN9rocsolver6v33100L18trti2_kernel_smallILi43EdPKPdEEv13rocblas_fill_17rocblas_diagonal_T1_iil,comdat
	.globl	_ZN9rocsolver6v33100L18trti2_kernel_smallILi43EdPKPdEEv13rocblas_fill_17rocblas_diagonal_T1_iil ; -- Begin function _ZN9rocsolver6v33100L18trti2_kernel_smallILi43EdPKPdEEv13rocblas_fill_17rocblas_diagonal_T1_iil
	.p2align	8
	.type	_ZN9rocsolver6v33100L18trti2_kernel_smallILi43EdPKPdEEv13rocblas_fill_17rocblas_diagonal_T1_iil,@function
_ZN9rocsolver6v33100L18trti2_kernel_smallILi43EdPKPdEEv13rocblas_fill_17rocblas_diagonal_T1_iil: ; @_ZN9rocsolver6v33100L18trti2_kernel_smallILi43EdPKPdEEv13rocblas_fill_17rocblas_diagonal_T1_iil
; %bb.0:
	s_add_u32 s0, s0, s9
	s_addc_u32 s1, s1, 0
	v_cmp_gt_u32_e32 vcc, 43, v0
	s_and_saveexec_b64 s[6:7], vcc
	s_cbranch_execz .LBB106_832
; %bb.1:
	s_load_dwordx2 s[6:7], s[4:5], 0x10
	s_load_dwordx4 s[12:15], s[4:5], 0x0
	s_ashr_i32 s9, s8, 31
	s_lshl_b64 s[4:5], s[8:9], 3
	s_waitcnt lgkmcnt(0)
	s_ashr_i32 s9, s6, 31
	s_add_u32 s4, s14, s4
	s_addc_u32 s5, s15, s5
	s_load_dwordx2 s[4:5], s[4:5], 0x0
	s_mov_b32 s8, s6
	s_lshl_b64 s[8:9], s[8:9], 3
	s_waitcnt lgkmcnt(0)
	s_add_u32 s4, s4, s8
	s_addc_u32 s5, s5, s9
	s_add_i32 s6, s7, s7
	v_add_u32_e32 v4, s6, v0
	v_ashrrev_i32_e32 v5, 31, v4
	v_lshlrev_b64 v[2:3], 3, v[4:5]
	v_add_u32_e32 v6, s7, v4
	v_mov_b32_e32 v1, s5
	v_add_co_u32_e32 v2, vcc, s4, v2
	v_ashrrev_i32_e32 v7, 31, v6
	v_addc_co_u32_e32 v3, vcc, v1, v3, vcc
	v_lshlrev_b64 v[4:5], 3, v[6:7]
	v_add_u32_e32 v8, s7, v6
	v_add_co_u32_e32 v4, vcc, s4, v4
	v_ashrrev_i32_e32 v9, 31, v8
	v_addc_co_u32_e32 v5, vcc, v1, v5, vcc
	v_lshlrev_b64 v[6:7], 3, v[8:9]
	v_add_u32_e32 v10, s7, v8
	;; [unrolled: 5-line block ×5, first 2 shown]
	v_add_co_u32_e32 v14, vcc, s4, v14
	v_ashrrev_i32_e32 v13, 31, v12
	v_addc_co_u32_e32 v15, vcc, v1, v15, vcc
	v_lshlrev_b64 v[16:17], 3, v[12:13]
	v_add_co_u32_e32 v20, vcc, s4, v16
	v_add_u32_e32 v16, s7, v12
	v_addc_co_u32_e32 v21, vcc, v1, v17, vcc
	v_ashrrev_i32_e32 v17, 31, v16
	v_lshlrev_b64 v[12:13], 3, v[16:17]
	v_add_u32_e32 v18, s7, v16
	v_add_co_u32_e32 v12, vcc, s4, v12
	v_ashrrev_i32_e32 v19, 31, v18
	v_addc_co_u32_e32 v13, vcc, v1, v13, vcc
	v_lshlrev_b64 v[16:17], 3, v[18:19]
	v_add_u32_e32 v22, s7, v18
	v_add_co_u32_e32 v16, vcc, s4, v16
	v_ashrrev_i32_e32 v23, 31, v22
	v_addc_co_u32_e32 v17, vcc, v1, v17, vcc
	;; [unrolled: 5-line block ×27, first 2 shown]
	v_lshlrev_b64 v[70:71], 3, v[72:73]
	v_add_co_u32_e32 v70, vcc, s4, v70
	v_addc_co_u32_e32 v71, vcc, v1, v71, vcc
	v_add_u32_e32 v74, s7, v72
	v_lshlrev_b32_e32 v1, 3, v0
	v_ashrrev_i32_e32 v75, 31, v74
	global_load_dwordx2 v[88:89], v1, s[4:5]
	v_lshlrev_b64 v[72:73], 3, v[74:75]
	v_mov_b32_e32 v75, s5
	v_add_co_u32_e32 v84, vcc, s4, v1
	s_ashr_i32 s9, s7, 31
	s_mov_b32 s8, s7
	v_addc_co_u32_e32 v85, vcc, 0, v75, vcc
	s_lshl_b64 s[8:9], s[8:9], 3
	v_mov_b32_e32 v75, s9
	v_add_co_u32_e32 v86, vcc, s8, v84
	v_addc_co_u32_e32 v87, vcc, v85, v75, vcc
	global_load_dwordx2 v[90:91], v[86:87], off
	global_load_dwordx2 v[92:93], v[2:3], off
	v_mov_b32_e32 v76, s5
	v_add_co_u32_e32 v72, vcc, s4, v72
	v_addc_co_u32_e32 v73, vcc, v76, v73, vcc
	v_add_u32_e32 v76, s7, v74
	v_ashrrev_i32_e32 v77, 31, v76
	v_lshlrev_b64 v[74:75], 3, v[76:77]
	v_mov_b32_e32 v78, s5
	v_add_co_u32_e32 v74, vcc, s4, v74
	global_load_dwordx2 v[94:95], v[4:5], off
	global_load_dwordx2 v[96:97], v[6:7], off
	;; [unrolled: 1-line block ×4, first 2 shown]
	v_addc_co_u32_e32 v75, vcc, v78, v75, vcc
	v_add_u32_e32 v78, s7, v76
	v_ashrrev_i32_e32 v79, 31, v78
	v_lshlrev_b64 v[76:77], 3, v[78:79]
	v_mov_b32_e32 v80, s5
	v_add_co_u32_e32 v76, vcc, s4, v76
	v_addc_co_u32_e32 v77, vcc, v80, v77, vcc
	v_add_u32_e32 v80, s7, v78
	v_ashrrev_i32_e32 v81, 31, v80
	v_lshlrev_b64 v[78:79], 3, v[80:81]
	v_add_u32_e32 v80, s7, v80
	v_mov_b32_e32 v82, s5
	v_add_co_u32_e32 v78, vcc, s4, v78
	v_ashrrev_i32_e32 v81, 31, v80
	v_addc_co_u32_e32 v79, vcc, v82, v79, vcc
	v_lshlrev_b64 v[82:83], 3, v[80:81]
	v_add_u32_e32 v80, s7, v80
	v_mov_b32_e32 v132, s5
	v_add_co_u32_e32 v82, vcc, s4, v82
	v_ashrrev_i32_e32 v81, 31, v80
	v_addc_co_u32_e32 v83, vcc, v132, v83, vcc
	v_lshlrev_b64 v[80:81], 3, v[80:81]
	v_mov_b32_e32 v148, s5
	v_add_co_u32_e32 v80, vcc, s4, v80
	global_load_dwordx2 v[102:103], v[14:15], off
	global_load_dwordx2 v[104:105], v[20:21], off
	;; [unrolled: 1-line block ×23, first 2 shown]
	v_addc_co_u32_e32 v81, vcc, v148, v81, vcc
	global_load_dwordx2 v[148:149], v[58:59], off
	global_load_dwordx2 v[150:151], v[80:81], off
	;; [unrolled: 1-line block ×8, first 2 shown]
	s_cmpk_lg_i32 s13, 0x84
	s_waitcnt vmcnt(37)
	buffer_store_dword v89, off, s[0:3], 0 offset:4
	buffer_store_dword v88, off, s[0:3], 0
	global_load_dwordx2 v[88:89], v[64:65], off
	s_cselect_b64 s[8:9], -1, 0
	s_cmpk_eq_i32 s13, 0x84
	s_waitcnt vmcnt(39)
	buffer_store_dword v91, off, s[0:3], 0 offset:12
	buffer_store_dword v90, off, s[0:3], 0 offset:8
	global_load_dwordx2 v[90:91], v[68:69], off
	s_waitcnt vmcnt(41)
	buffer_store_dword v93, off, s[0:3], 0 offset:20
	buffer_store_dword v92, off, s[0:3], 0 offset:16
	global_load_dwordx2 v[92:93], v[72:73], off
	s_waitcnt vmcnt(43)
	buffer_store_dword v95, off, s[0:3], 0 offset:28
	buffer_store_dword v94, off, s[0:3], 0 offset:24
	global_load_dwordx2 v[94:95], v[76:77], off
	s_waitcnt vmcnt(45)
	buffer_store_dword v97, off, s[0:3], 0 offset:36
	buffer_store_dword v96, off, s[0:3], 0 offset:32
	global_load_dwordx2 v[96:97], v[82:83], off
	s_waitcnt vmcnt(47)
	buffer_store_dword v99, off, s[0:3], 0 offset:44
	buffer_store_dword v98, off, s[0:3], 0 offset:40
	s_waitcnt vmcnt(48)
	buffer_store_dword v101, off, s[0:3], 0 offset:52
	buffer_store_dword v100, off, s[0:3], 0 offset:48
	;; [unrolled: 3-line block ×17, first 2 shown]
	buffer_store_dword v132, off, s[0:3], 0 offset:176
	buffer_store_dword v133, off, s[0:3], 0 offset:180
	s_waitcnt vmcnt(62)
	buffer_store_dword v134, off, s[0:3], 0 offset:184
	buffer_store_dword v135, off, s[0:3], 0 offset:188
	buffer_store_dword v136, off, s[0:3], 0 offset:192
	buffer_store_dword v137, off, s[0:3], 0 offset:196
	buffer_store_dword v139, off, s[0:3], 0 offset:204
	buffer_store_dword v138, off, s[0:3], 0 offset:200
	buffer_store_dword v141, off, s[0:3], 0 offset:212
	buffer_store_dword v140, off, s[0:3], 0 offset:208
	s_waitcnt vmcnt(62)
	buffer_store_dword v142, off, s[0:3], 0 offset:216
	buffer_store_dword v143, off, s[0:3], 0 offset:220
	buffer_store_dword v144, off, s[0:3], 0 offset:224
	buffer_store_dword v145, off, s[0:3], 0 offset:228
	buffer_store_dword v146, off, s[0:3], 0 offset:232
	buffer_store_dword v147, off, s[0:3], 0 offset:236
	buffer_store_dword v148, off, s[0:3], 0 offset:240
	buffer_store_dword v149, off, s[0:3], 0 offset:244
	buffer_store_dword v153, off, s[0:3], 0 offset:252
	buffer_store_dword v152, off, s[0:3], 0 offset:248
	buffer_store_dword v155, off, s[0:3], 0 offset:260
	buffer_store_dword v154, off, s[0:3], 0 offset:256
	s_waitcnt vmcnt(62)
	buffer_store_dword v88, off, s[0:3], 0 offset:264
	buffer_store_dword v89, off, s[0:3], 0 offset:268
	buffer_store_dword v156, off, s[0:3], 0 offset:272
	buffer_store_dword v157, off, s[0:3], 0 offset:276
	;; [unrolled: 13-line block ×3, first 2 shown]
	buffer_store_dword v96, off, s[0:3], 0 offset:328
	buffer_store_dword v97, off, s[0:3], 0 offset:332
	;; [unrolled: 1-line block ×4, first 2 shown]
	v_mov_b32_e32 v88, 0
	v_mov_b32_e32 v131, 0
	;; [unrolled: 1-line block ×3, first 2 shown]
	s_cbranch_scc1 .LBB106_3
; %bb.2:
	v_lshl_add_u32 v98, v0, 3, v131
	buffer_load_dword v88, v98, s[0:3], 0 offen
	buffer_load_dword v89, v98, s[0:3], 0 offen offset:4
	s_waitcnt vmcnt(0)
	v_div_scale_f64 v[90:91], s[4:5], v[88:89], v[88:89], 1.0
	v_rcp_f64_e32 v[92:93], v[90:91]
	v_div_scale_f64 v[94:95], vcc, 1.0, v[88:89], 1.0
	v_fma_f64 v[96:97], -v[90:91], v[92:93], 1.0
	v_fmac_f64_e32 v[92:93], v[92:93], v[96:97]
	v_fma_f64 v[96:97], -v[90:91], v[92:93], 1.0
	v_fmac_f64_e32 v[92:93], v[92:93], v[96:97]
	v_mul_f64 v[96:97], v[94:95], v[92:93]
	v_fma_f64 v[90:91], -v[90:91], v[96:97], v[94:95]
	v_div_fmas_f64 v[90:91], v[90:91], v[92:93], v[96:97]
	v_div_fixup_f64 v[88:89], v[90:91], v[88:89], 1.0
	buffer_store_dword v88, v98, s[0:3], 0 offen
	buffer_store_dword v89, v98, s[0:3], 0 offen offset:4
	v_xor_b32_e32 v89, 0x80000000, v89
.LBB106_3:
	s_cmpk_eq_i32 s12, 0x79
	v_add_u32_e32 v90, 0x160, v1
	v_add_u32_e32 v91, 0, v1
	s_mov_b64 s[4:5], -1
	ds_write_b64 v1, v[88:89]
	s_cbranch_scc1 .LBB106_417
; %bb.4:
	buffer_load_dword v88, off, s[0:3], 0 offset:328
	buffer_load_dword v89, off, s[0:3], 0 offset:332
	v_cmp_eq_u32_e64 s[4:5], 42, v0
	s_waitcnt vmcnt(0)
	ds_write_b64 v90, v[88:89]
	s_waitcnt lgkmcnt(0)
	; wave barrier
	s_waitcnt lgkmcnt(0)
	s_and_saveexec_b64 s[6:7], s[4:5]
	s_cbranch_execz .LBB106_10
; %bb.5:
	s_and_b64 vcc, exec, s[8:9]
	s_cbranch_vccz .LBB106_7
; %bb.6:
	buffer_load_dword v88, v91, s[0:3], 0 offen
	buffer_load_dword v89, v91, s[0:3], 0 offen offset:4
	ds_read_b64 v[92:93], v90
	s_waitcnt vmcnt(0) lgkmcnt(0)
	v_mul_f64 v[88:89], v[88:89], v[92:93]
	s_cbranch_execz .LBB106_8
	s_branch .LBB106_9
.LBB106_7:
                                        ; implicit-def: $vgpr88_vgpr89
.LBB106_8:
	ds_read_b64 v[88:89], v90
.LBB106_9:
	v_mov_b32_e32 v92, 0
	ds_read_b64 v[92:93], v92 offset:328
	s_waitcnt lgkmcnt(0)
	v_mul_f64 v[88:89], v[88:89], v[92:93]
	buffer_store_dword v89, off, s[0:3], 0 offset:332
	buffer_store_dword v88, off, s[0:3], 0 offset:328
.LBB106_10:
	s_or_b64 exec, exec, s[6:7]
	buffer_load_dword v88, off, s[0:3], 0 offset:320
	buffer_load_dword v89, off, s[0:3], 0 offset:324
	v_or_b32_e32 v92, 8, v131
	v_add_u32_e32 v93, 16, v131
	v_add_u32_e32 v94, 24, v131
	;; [unrolled: 1-line block ×39, first 2 shown]
	v_cmp_lt_u32_e64 s[6:7], 40, v0
	s_waitcnt vmcnt(0)
	ds_write_b64 v90, v[88:89]
	s_waitcnt lgkmcnt(0)
	; wave barrier
	s_waitcnt lgkmcnt(0)
	s_and_saveexec_b64 s[10:11], s[6:7]
	s_cbranch_execz .LBB106_16
; %bb.11:
	s_andn2_b64 vcc, exec, s[8:9]
	s_cbranch_vccnz .LBB106_13
; %bb.12:
	buffer_load_dword v88, v91, s[0:3], 0 offen
	buffer_load_dword v89, v91, s[0:3], 0 offen offset:4
	ds_read_b64 v[132:133], v90
	s_waitcnt vmcnt(0) lgkmcnt(0)
	v_mul_f64 v[88:89], v[88:89], v[132:133]
	s_cbranch_execz .LBB106_14
	s_branch .LBB106_15
.LBB106_13:
                                        ; implicit-def: $vgpr88_vgpr89
.LBB106_14:
	ds_read_b64 v[88:89], v90
.LBB106_15:
	buffer_load_dword v136, off, s[0:3], 0 offset:328
	buffer_load_dword v137, off, s[0:3], 0 offset:332
	v_mov_b32_e32 v132, 0
	ds_read2_b64 v[132:135], v132 offset0:40 offset1:85
	s_waitcnt vmcnt(0) lgkmcnt(0)
	v_fma_f64 v[134:135], v[136:137], v[134:135], v[88:89]
	v_cndmask_b32_e64 v89, v89, v135, s[4:5]
	v_cndmask_b32_e64 v88, v88, v134, s[4:5]
	v_mul_f64 v[88:89], v[88:89], v[132:133]
	buffer_store_dword v89, off, s[0:3], 0 offset:324
	buffer_store_dword v88, off, s[0:3], 0 offset:320
.LBB106_16:
	s_or_b64 exec, exec, s[10:11]
	buffer_load_dword v88, off, s[0:3], 0 offset:312
	buffer_load_dword v89, off, s[0:3], 0 offset:316
	v_cmp_lt_u32_e64 s[4:5], 39, v0
	s_waitcnt vmcnt(0)
	ds_write_b64 v90, v[88:89]
	s_waitcnt lgkmcnt(0)
	; wave barrier
	s_waitcnt lgkmcnt(0)
	s_and_saveexec_b64 s[10:11], s[4:5]
	s_cbranch_execz .LBB106_26
; %bb.17:
	s_andn2_b64 vcc, exec, s[8:9]
	s_cbranch_vccnz .LBB106_19
; %bb.18:
	buffer_load_dword v88, v91, s[0:3], 0 offen
	buffer_load_dword v89, v91, s[0:3], 0 offen offset:4
	ds_read_b64 v[132:133], v90
	s_waitcnt vmcnt(0) lgkmcnt(0)
	v_mul_f64 v[88:89], v[88:89], v[132:133]
	s_cbranch_execz .LBB106_20
	s_branch .LBB106_21
.LBB106_19:
                                        ; implicit-def: $vgpr88_vgpr89
.LBB106_20:
	ds_read_b64 v[88:89], v90
.LBB106_21:
	s_and_saveexec_b64 s[12:13], s[6:7]
	s_cbranch_execz .LBB106_25
; %bb.22:
	v_subrev_u32_e32 v132, 40, v0
	s_movk_i32 s14, 0x2a0
	s_mov_b64 s[6:7], 0
.LBB106_23:                             ; =>This Inner Loop Header: Depth=1
	buffer_load_dword v134, v131, s[0:3], 0 offen
	buffer_load_dword v135, v131, s[0:3], 0 offen offset:4
	v_mov_b32_e32 v133, s14
	ds_read_b64 v[136:137], v133
	v_add_u32_e32 v132, -1, v132
	s_add_i32 s14, s14, 8
	v_cmp_eq_u32_e32 vcc, 0, v132
	v_add_u32_e32 v131, 8, v131
	s_or_b64 s[6:7], vcc, s[6:7]
	s_waitcnt vmcnt(0) lgkmcnt(0)
	v_fmac_f64_e32 v[88:89], v[134:135], v[136:137]
	s_andn2_b64 exec, exec, s[6:7]
	s_cbranch_execnz .LBB106_23
; %bb.24:
	s_or_b64 exec, exec, s[6:7]
.LBB106_25:
	s_or_b64 exec, exec, s[12:13]
	v_mov_b32_e32 v131, 0
	ds_read_b64 v[132:133], v131 offset:312
	s_waitcnt lgkmcnt(0)
	v_mul_f64 v[88:89], v[88:89], v[132:133]
	buffer_store_dword v89, off, s[0:3], 0 offset:316
	buffer_store_dword v88, off, s[0:3], 0 offset:312
.LBB106_26:
	s_or_b64 exec, exec, s[10:11]
	buffer_load_dword v88, off, s[0:3], 0 offset:304
	buffer_load_dword v89, off, s[0:3], 0 offset:308
	v_cmp_lt_u32_e64 s[6:7], 38, v0
	s_waitcnt vmcnt(0)
	ds_write_b64 v90, v[88:89]
	s_waitcnt lgkmcnt(0)
	; wave barrier
	s_waitcnt lgkmcnt(0)
	s_and_saveexec_b64 s[10:11], s[6:7]
	s_cbranch_execz .LBB106_36
; %bb.27:
	s_andn2_b64 vcc, exec, s[8:9]
	s_cbranch_vccnz .LBB106_29
; %bb.28:
	buffer_load_dword v88, v91, s[0:3], 0 offen
	buffer_load_dword v89, v91, s[0:3], 0 offen offset:4
	ds_read_b64 v[132:133], v90
	s_waitcnt vmcnt(0) lgkmcnt(0)
	v_mul_f64 v[88:89], v[88:89], v[132:133]
	s_cbranch_execz .LBB106_30
	s_branch .LBB106_31
.LBB106_29:
                                        ; implicit-def: $vgpr88_vgpr89
.LBB106_30:
	ds_read_b64 v[88:89], v90
.LBB106_31:
	s_and_saveexec_b64 s[12:13], s[4:5]
	s_cbranch_execz .LBB106_35
; %bb.32:
	v_subrev_u32_e32 v131, 39, v0
	s_movk_i32 s14, 0x298
	s_mov_b64 s[4:5], 0
.LBB106_33:                             ; =>This Inner Loop Header: Depth=1
	buffer_load_dword v132, v130, s[0:3], 0 offen
	buffer_load_dword v133, v130, s[0:3], 0 offen offset:4
	v_mov_b32_e32 v134, s14
	ds_read_b64 v[134:135], v134
	v_add_u32_e32 v131, -1, v131
	s_add_i32 s14, s14, 8
	v_cmp_eq_u32_e32 vcc, 0, v131
	v_add_u32_e32 v130, 8, v130
	s_or_b64 s[4:5], vcc, s[4:5]
	s_waitcnt vmcnt(0) lgkmcnt(0)
	v_fmac_f64_e32 v[88:89], v[132:133], v[134:135]
	s_andn2_b64 exec, exec, s[4:5]
	s_cbranch_execnz .LBB106_33
; %bb.34:
	s_or_b64 exec, exec, s[4:5]
.LBB106_35:
	s_or_b64 exec, exec, s[12:13]
	v_mov_b32_e32 v130, 0
	ds_read_b64 v[130:131], v130 offset:304
	s_waitcnt lgkmcnt(0)
	v_mul_f64 v[88:89], v[88:89], v[130:131]
	buffer_store_dword v89, off, s[0:3], 0 offset:308
	buffer_store_dword v88, off, s[0:3], 0 offset:304
.LBB106_36:
	;; [unrolled: 58-line block ×8, first 2 shown]
	s_or_b64 exec, exec, s[10:11]
	buffer_load_dword v88, off, s[0:3], 0 offset:248
	buffer_load_dword v89, off, s[0:3], 0 offset:252
	v_cmp_lt_u32_e64 s[4:5], 31, v0
	s_waitcnt vmcnt(0)
	ds_write_b64 v90, v[88:89]
	s_waitcnt lgkmcnt(0)
	; wave barrier
	s_waitcnt lgkmcnt(0)
	s_and_saveexec_b64 s[10:11], s[4:5]
	s_cbranch_execz .LBB106_106
; %bb.97:
	s_andn2_b64 vcc, exec, s[8:9]
	s_cbranch_vccnz .LBB106_99
; %bb.98:
	buffer_load_dword v88, v91, s[0:3], 0 offen
	buffer_load_dword v89, v91, s[0:3], 0 offen offset:4
	ds_read_b64 v[124:125], v90
	s_waitcnt vmcnt(0) lgkmcnt(0)
	v_mul_f64 v[88:89], v[88:89], v[124:125]
	s_cbranch_execz .LBB106_100
	s_branch .LBB106_101
.LBB106_99:
                                        ; implicit-def: $vgpr88_vgpr89
.LBB106_100:
	ds_read_b64 v[88:89], v90
.LBB106_101:
	s_and_saveexec_b64 s[12:13], s[6:7]
	s_cbranch_execz .LBB106_105
; %bb.102:
	v_subrev_u32_e32 v124, 32, v0
	s_movk_i32 s14, 0x260
	s_mov_b64 s[6:7], 0
.LBB106_103:                            ; =>This Inner Loop Header: Depth=1
	buffer_load_dword v126, v123, s[0:3], 0 offen
	buffer_load_dword v127, v123, s[0:3], 0 offen offset:4
	v_mov_b32_e32 v125, s14
	ds_read_b64 v[128:129], v125
	v_add_u32_e32 v124, -1, v124
	s_add_i32 s14, s14, 8
	v_cmp_eq_u32_e32 vcc, 0, v124
	v_add_u32_e32 v123, 8, v123
	s_or_b64 s[6:7], vcc, s[6:7]
	s_waitcnt vmcnt(0) lgkmcnt(0)
	v_fmac_f64_e32 v[88:89], v[126:127], v[128:129]
	s_andn2_b64 exec, exec, s[6:7]
	s_cbranch_execnz .LBB106_103
; %bb.104:
	s_or_b64 exec, exec, s[6:7]
.LBB106_105:
	s_or_b64 exec, exec, s[12:13]
	v_mov_b32_e32 v123, 0
	ds_read_b64 v[124:125], v123 offset:248
	s_waitcnt lgkmcnt(0)
	v_mul_f64 v[88:89], v[88:89], v[124:125]
	buffer_store_dword v89, off, s[0:3], 0 offset:252
	buffer_store_dword v88, off, s[0:3], 0 offset:248
.LBB106_106:
	s_or_b64 exec, exec, s[10:11]
	buffer_load_dword v88, off, s[0:3], 0 offset:240
	buffer_load_dword v89, off, s[0:3], 0 offset:244
	v_cmp_lt_u32_e64 s[6:7], 30, v0
	s_waitcnt vmcnt(0)
	ds_write_b64 v90, v[88:89]
	s_waitcnt lgkmcnt(0)
	; wave barrier
	s_waitcnt lgkmcnt(0)
	s_and_saveexec_b64 s[10:11], s[6:7]
	s_cbranch_execz .LBB106_116
; %bb.107:
	s_andn2_b64 vcc, exec, s[8:9]
	s_cbranch_vccnz .LBB106_109
; %bb.108:
	buffer_load_dword v88, v91, s[0:3], 0 offen
	buffer_load_dword v89, v91, s[0:3], 0 offen offset:4
	ds_read_b64 v[124:125], v90
	s_waitcnt vmcnt(0) lgkmcnt(0)
	v_mul_f64 v[88:89], v[88:89], v[124:125]
	s_cbranch_execz .LBB106_110
	s_branch .LBB106_111
.LBB106_109:
                                        ; implicit-def: $vgpr88_vgpr89
.LBB106_110:
	ds_read_b64 v[88:89], v90
.LBB106_111:
	s_and_saveexec_b64 s[12:13], s[4:5]
	s_cbranch_execz .LBB106_115
; %bb.112:
	v_subrev_u32_e32 v123, 31, v0
	s_movk_i32 s14, 0x258
	s_mov_b64 s[4:5], 0
.LBB106_113:                            ; =>This Inner Loop Header: Depth=1
	buffer_load_dword v124, v122, s[0:3], 0 offen
	buffer_load_dword v125, v122, s[0:3], 0 offen offset:4
	v_mov_b32_e32 v126, s14
	ds_read_b64 v[126:127], v126
	v_add_u32_e32 v123, -1, v123
	s_add_i32 s14, s14, 8
	v_cmp_eq_u32_e32 vcc, 0, v123
	v_add_u32_e32 v122, 8, v122
	s_or_b64 s[4:5], vcc, s[4:5]
	s_waitcnt vmcnt(0) lgkmcnt(0)
	v_fmac_f64_e32 v[88:89], v[124:125], v[126:127]
	s_andn2_b64 exec, exec, s[4:5]
	s_cbranch_execnz .LBB106_113
; %bb.114:
	s_or_b64 exec, exec, s[4:5]
.LBB106_115:
	s_or_b64 exec, exec, s[12:13]
	v_mov_b32_e32 v122, 0
	ds_read_b64 v[122:123], v122 offset:240
	s_waitcnt lgkmcnt(0)
	v_mul_f64 v[88:89], v[88:89], v[122:123]
	buffer_store_dword v89, off, s[0:3], 0 offset:244
	buffer_store_dword v88, off, s[0:3], 0 offset:240
.LBB106_116:
	;; [unrolled: 58-line block ×16, first 2 shown]
	s_or_b64 exec, exec, s[10:11]
	buffer_load_dword v88, off, s[0:3], 0 offset:120
	buffer_load_dword v89, off, s[0:3], 0 offset:124
	v_cmp_lt_u32_e64 s[4:5], 15, v0
	s_waitcnt vmcnt(0)
	ds_write_b64 v90, v[88:89]
	s_waitcnt lgkmcnt(0)
	; wave barrier
	s_waitcnt lgkmcnt(0)
	s_and_saveexec_b64 s[10:11], s[4:5]
	s_cbranch_execz .LBB106_266
; %bb.257:
	s_andn2_b64 vcc, exec, s[8:9]
	s_cbranch_vccnz .LBB106_259
; %bb.258:
	buffer_load_dword v88, v91, s[0:3], 0 offen
	buffer_load_dword v89, v91, s[0:3], 0 offen offset:4
	ds_read_b64 v[108:109], v90
	s_waitcnt vmcnt(0) lgkmcnt(0)
	v_mul_f64 v[88:89], v[88:89], v[108:109]
	s_cbranch_execz .LBB106_260
	s_branch .LBB106_261
.LBB106_259:
                                        ; implicit-def: $vgpr88_vgpr89
.LBB106_260:
	ds_read_b64 v[88:89], v90
.LBB106_261:
	s_and_saveexec_b64 s[12:13], s[6:7]
	s_cbranch_execz .LBB106_265
; %bb.262:
	v_add_u32_e32 v108, -16, v0
	s_movk_i32 s14, 0x1e0
	s_mov_b64 s[6:7], 0
.LBB106_263:                            ; =>This Inner Loop Header: Depth=1
	buffer_load_dword v110, v107, s[0:3], 0 offen
	buffer_load_dword v111, v107, s[0:3], 0 offen offset:4
	v_mov_b32_e32 v109, s14
	ds_read_b64 v[112:113], v109
	v_add_u32_e32 v108, -1, v108
	s_add_i32 s14, s14, 8
	v_cmp_eq_u32_e32 vcc, 0, v108
	v_add_u32_e32 v107, 8, v107
	s_or_b64 s[6:7], vcc, s[6:7]
	s_waitcnt vmcnt(0) lgkmcnt(0)
	v_fmac_f64_e32 v[88:89], v[110:111], v[112:113]
	s_andn2_b64 exec, exec, s[6:7]
	s_cbranch_execnz .LBB106_263
; %bb.264:
	s_or_b64 exec, exec, s[6:7]
.LBB106_265:
	s_or_b64 exec, exec, s[12:13]
	v_mov_b32_e32 v107, 0
	ds_read_b64 v[108:109], v107 offset:120
	s_waitcnt lgkmcnt(0)
	v_mul_f64 v[88:89], v[88:89], v[108:109]
	buffer_store_dword v89, off, s[0:3], 0 offset:124
	buffer_store_dword v88, off, s[0:3], 0 offset:120
.LBB106_266:
	s_or_b64 exec, exec, s[10:11]
	buffer_load_dword v88, off, s[0:3], 0 offset:112
	buffer_load_dword v89, off, s[0:3], 0 offset:116
	v_cmp_lt_u32_e64 s[6:7], 14, v0
	s_waitcnt vmcnt(0)
	ds_write_b64 v90, v[88:89]
	s_waitcnt lgkmcnt(0)
	; wave barrier
	s_waitcnt lgkmcnt(0)
	s_and_saveexec_b64 s[10:11], s[6:7]
	s_cbranch_execz .LBB106_276
; %bb.267:
	s_andn2_b64 vcc, exec, s[8:9]
	s_cbranch_vccnz .LBB106_269
; %bb.268:
	buffer_load_dword v88, v91, s[0:3], 0 offen
	buffer_load_dword v89, v91, s[0:3], 0 offen offset:4
	ds_read_b64 v[108:109], v90
	s_waitcnt vmcnt(0) lgkmcnt(0)
	v_mul_f64 v[88:89], v[88:89], v[108:109]
	s_cbranch_execz .LBB106_270
	s_branch .LBB106_271
.LBB106_269:
                                        ; implicit-def: $vgpr88_vgpr89
.LBB106_270:
	ds_read_b64 v[88:89], v90
.LBB106_271:
	s_and_saveexec_b64 s[12:13], s[4:5]
	s_cbranch_execz .LBB106_275
; %bb.272:
	v_add_u32_e32 v107, -15, v0
	s_movk_i32 s14, 0x1d8
	s_mov_b64 s[4:5], 0
.LBB106_273:                            ; =>This Inner Loop Header: Depth=1
	buffer_load_dword v108, v106, s[0:3], 0 offen
	buffer_load_dword v109, v106, s[0:3], 0 offen offset:4
	v_mov_b32_e32 v110, s14
	ds_read_b64 v[110:111], v110
	v_add_u32_e32 v107, -1, v107
	s_add_i32 s14, s14, 8
	v_cmp_eq_u32_e32 vcc, 0, v107
	v_add_u32_e32 v106, 8, v106
	s_or_b64 s[4:5], vcc, s[4:5]
	s_waitcnt vmcnt(0) lgkmcnt(0)
	v_fmac_f64_e32 v[88:89], v[108:109], v[110:111]
	s_andn2_b64 exec, exec, s[4:5]
	s_cbranch_execnz .LBB106_273
; %bb.274:
	s_or_b64 exec, exec, s[4:5]
.LBB106_275:
	s_or_b64 exec, exec, s[12:13]
	v_mov_b32_e32 v106, 0
	ds_read_b64 v[106:107], v106 offset:112
	s_waitcnt lgkmcnt(0)
	v_mul_f64 v[88:89], v[88:89], v[106:107]
	buffer_store_dword v89, off, s[0:3], 0 offset:116
	buffer_store_dword v88, off, s[0:3], 0 offset:112
.LBB106_276:
	;; [unrolled: 58-line block ×15, first 2 shown]
	s_or_b64 exec, exec, s[10:11]
	buffer_load_dword v88, off, s[0:3], 0
	buffer_load_dword v89, off, s[0:3], 0 offset:4
	v_cmp_ne_u32_e32 vcc, 0, v0
	s_waitcnt vmcnt(0)
	ds_write_b64 v90, v[88:89]
	s_waitcnt lgkmcnt(0)
	; wave barrier
	s_waitcnt lgkmcnt(0)
	s_and_saveexec_b64 s[6:7], vcc
	s_cbranch_execz .LBB106_416
; %bb.407:
	s_andn2_b64 vcc, exec, s[8:9]
	s_cbranch_vccnz .LBB106_409
; %bb.408:
	buffer_load_dword v88, v91, s[0:3], 0 offen
	buffer_load_dword v89, v91, s[0:3], 0 offen offset:4
	ds_read_b64 v[94:95], v90
	s_waitcnt vmcnt(0) lgkmcnt(0)
	v_mul_f64 v[88:89], v[88:89], v[94:95]
	s_cbranch_execz .LBB106_410
	s_branch .LBB106_411
.LBB106_409:
                                        ; implicit-def: $vgpr88_vgpr89
.LBB106_410:
	ds_read_b64 v[88:89], v90
.LBB106_411:
	s_and_saveexec_b64 s[10:11], s[4:5]
	s_cbranch_execz .LBB106_415
; %bb.412:
	v_add_u32_e32 v93, -1, v0
	s_movk_i32 s12, 0x168
	s_mov_b64 s[4:5], 0
.LBB106_413:                            ; =>This Inner Loop Header: Depth=1
	buffer_load_dword v94, v92, s[0:3], 0 offen
	buffer_load_dword v95, v92, s[0:3], 0 offen offset:4
	v_mov_b32_e32 v96, s12
	ds_read_b64 v[96:97], v96
	v_add_u32_e32 v93, -1, v93
	s_add_i32 s12, s12, 8
	v_cmp_eq_u32_e32 vcc, 0, v93
	v_add_u32_e32 v92, 8, v92
	s_or_b64 s[4:5], vcc, s[4:5]
	s_waitcnt vmcnt(0) lgkmcnt(0)
	v_fmac_f64_e32 v[88:89], v[94:95], v[96:97]
	s_andn2_b64 exec, exec, s[4:5]
	s_cbranch_execnz .LBB106_413
; %bb.414:
	s_or_b64 exec, exec, s[4:5]
.LBB106_415:
	s_or_b64 exec, exec, s[10:11]
	v_mov_b32_e32 v92, 0
	ds_read_b64 v[92:93], v92
	s_waitcnt lgkmcnt(0)
	v_mul_f64 v[88:89], v[88:89], v[92:93]
	buffer_store_dword v89, off, s[0:3], 0 offset:4
	buffer_store_dword v88, off, s[0:3], 0
.LBB106_416:
	s_or_b64 exec, exec, s[6:7]
	s_mov_b64 s[4:5], 0
.LBB106_417:
	s_and_b64 vcc, exec, s[4:5]
	s_cbranch_vccz .LBB106_831
; %bb.418:
	buffer_load_dword v88, off, s[0:3], 0 offset:8
	buffer_load_dword v89, off, s[0:3], 0 offset:12
	v_cmp_eq_u32_e64 s[6:7], 0, v0
	s_waitcnt vmcnt(0)
	ds_write_b64 v90, v[88:89]
	s_waitcnt lgkmcnt(0)
	; wave barrier
	s_waitcnt lgkmcnt(0)
	s_and_saveexec_b64 s[4:5], s[6:7]
	s_cbranch_execz .LBB106_424
; %bb.419:
	s_and_b64 vcc, exec, s[8:9]
	s_cbranch_vccz .LBB106_421
; %bb.420:
	buffer_load_dword v88, v91, s[0:3], 0 offen
	buffer_load_dword v89, v91, s[0:3], 0 offen offset:4
	ds_read_b64 v[92:93], v90
	s_waitcnt vmcnt(0) lgkmcnt(0)
	v_mul_f64 v[88:89], v[88:89], v[92:93]
	s_cbranch_execz .LBB106_422
	s_branch .LBB106_423
.LBB106_421:
                                        ; implicit-def: $vgpr88_vgpr89
.LBB106_422:
	ds_read_b64 v[88:89], v90
.LBB106_423:
	v_mov_b32_e32 v92, 0
	ds_read_b64 v[92:93], v92 offset:8
	s_waitcnt lgkmcnt(0)
	v_mul_f64 v[88:89], v[88:89], v[92:93]
	buffer_store_dword v89, off, s[0:3], 0 offset:12
	buffer_store_dword v88, off, s[0:3], 0 offset:8
.LBB106_424:
	s_or_b64 exec, exec, s[4:5]
	buffer_load_dword v88, off, s[0:3], 0 offset:16
	buffer_load_dword v89, off, s[0:3], 0 offset:20
	v_cndmask_b32_e64 v92, 0, 1, s[8:9]
	v_cmp_gt_u32_e32 vcc, 2, v0
	v_cmp_ne_u32_e64 s[4:5], 1, v92
	s_waitcnt vmcnt(0)
	ds_write_b64 v90, v[88:89]
	s_waitcnt lgkmcnt(0)
	; wave barrier
	s_waitcnt lgkmcnt(0)
	s_and_saveexec_b64 s[8:9], vcc
	s_cbranch_execz .LBB106_432
; %bb.425:
	s_and_b64 vcc, exec, s[4:5]
	s_cbranch_vccnz .LBB106_427
; %bb.426:
	buffer_load_dword v88, v91, s[0:3], 0 offen
	buffer_load_dword v89, v91, s[0:3], 0 offen offset:4
	ds_read_b64 v[92:93], v90
	s_waitcnt vmcnt(0) lgkmcnt(0)
	v_mul_f64 v[88:89], v[88:89], v[92:93]
	s_cbranch_execz .LBB106_428
	s_branch .LBB106_429
.LBB106_427:
                                        ; implicit-def: $vgpr88_vgpr89
.LBB106_428:
	ds_read_b64 v[88:89], v90
.LBB106_429:
	s_and_saveexec_b64 s[10:11], s[6:7]
	s_cbranch_execz .LBB106_431
; %bb.430:
	buffer_load_dword v92, v91, s[0:3], 0 offen offset:8
	buffer_load_dword v93, v91, s[0:3], 0 offen offset:12
	ds_read_b64 v[94:95], v90 offset:8
	s_waitcnt vmcnt(0) lgkmcnt(0)
	v_fmac_f64_e32 v[88:89], v[92:93], v[94:95]
.LBB106_431:
	s_or_b64 exec, exec, s[10:11]
	v_mov_b32_e32 v92, 0
	ds_read_b64 v[92:93], v92 offset:16
	s_waitcnt lgkmcnt(0)
	v_mul_f64 v[88:89], v[88:89], v[92:93]
	buffer_store_dword v89, off, s[0:3], 0 offset:20
	buffer_store_dword v88, off, s[0:3], 0 offset:16
.LBB106_432:
	s_or_b64 exec, exec, s[8:9]
	buffer_load_dword v88, off, s[0:3], 0 offset:24
	buffer_load_dword v89, off, s[0:3], 0 offset:28
	v_cmp_gt_u32_e32 vcc, 3, v0
	s_waitcnt vmcnt(0)
	ds_write_b64 v90, v[88:89]
	s_waitcnt lgkmcnt(0)
	; wave barrier
	s_waitcnt lgkmcnt(0)
	s_and_saveexec_b64 s[8:9], vcc
	s_cbranch_execz .LBB106_440
; %bb.433:
	s_and_b64 vcc, exec, s[4:5]
	s_cbranch_vccnz .LBB106_435
; %bb.434:
	buffer_load_dword v88, v91, s[0:3], 0 offen
	buffer_load_dword v89, v91, s[0:3], 0 offen offset:4
	ds_read_b64 v[92:93], v90
	s_waitcnt vmcnt(0) lgkmcnt(0)
	v_mul_f64 v[88:89], v[88:89], v[92:93]
	s_cbranch_execz .LBB106_436
	s_branch .LBB106_437
.LBB106_435:
                                        ; implicit-def: $vgpr88_vgpr89
.LBB106_436:
	ds_read_b64 v[88:89], v90
.LBB106_437:
	v_cmp_ne_u32_e32 vcc, 2, v0
	s_and_saveexec_b64 s[10:11], vcc
	s_cbranch_execz .LBB106_439
; %bb.438:
	buffer_load_dword v93, v91, s[0:3], 0 offen offset:12
	buffer_load_dword v94, off, s[0:3], 0 offset:16
	buffer_load_dword v92, v91, s[0:3], 0 offen offset:8
	buffer_load_dword v95, off, s[0:3], 0 offset:20
	v_mov_b32_e32 v98, 0
	ds_read_b64 v[96:97], v90 offset:8
	ds_read_b64 v[98:99], v98 offset:368
	s_waitcnt vmcnt(1) lgkmcnt(1)
	v_fmac_f64_e32 v[88:89], v[92:93], v[96:97]
	s_waitcnt vmcnt(0) lgkmcnt(0)
	v_fma_f64 v[92:93], v[94:95], v[98:99], v[88:89]
	v_cndmask_b32_e64 v89, v89, v93, s[6:7]
	v_cndmask_b32_e64 v88, v88, v92, s[6:7]
.LBB106_439:
	s_or_b64 exec, exec, s[10:11]
	v_mov_b32_e32 v92, 0
	ds_read_b64 v[92:93], v92 offset:24
	s_waitcnt lgkmcnt(0)
	v_mul_f64 v[88:89], v[88:89], v[92:93]
	buffer_store_dword v89, off, s[0:3], 0 offset:28
	buffer_store_dword v88, off, s[0:3], 0 offset:24
.LBB106_440:
	s_or_b64 exec, exec, s[8:9]
	buffer_load_dword v88, off, s[0:3], 0 offset:32
	buffer_load_dword v89, off, s[0:3], 0 offset:36
	v_cmp_gt_u32_e32 vcc, 4, v0
	s_waitcnt vmcnt(0)
	ds_write_b64 v90, v[88:89]
	s_waitcnt lgkmcnt(0)
	; wave barrier
	s_waitcnt lgkmcnt(0)
	s_and_saveexec_b64 s[6:7], vcc
	s_cbranch_execz .LBB106_450
; %bb.441:
	s_and_b64 vcc, exec, s[4:5]
	s_cbranch_vccnz .LBB106_443
; %bb.442:
	buffer_load_dword v88, v91, s[0:3], 0 offen
	buffer_load_dword v89, v91, s[0:3], 0 offen offset:4
	ds_read_b64 v[92:93], v90
	s_waitcnt vmcnt(0) lgkmcnt(0)
	v_mul_f64 v[88:89], v[88:89], v[92:93]
	s_cbranch_execz .LBB106_444
	s_branch .LBB106_445
.LBB106_443:
                                        ; implicit-def: $vgpr88_vgpr89
.LBB106_444:
	ds_read_b64 v[88:89], v90
.LBB106_445:
	v_cmp_ne_u32_e32 vcc, 3, v0
	s_and_saveexec_b64 s[8:9], vcc
	s_cbranch_execz .LBB106_449
; %bb.446:
	v_mov_b32_e32 v93, 0
	v_add_u32_e32 v92, 0x168, v1
	v_add3_u32 v93, v1, v93, 8
	s_mov_b64 s[10:11], 0
	v_mov_b32_e32 v94, v0
.LBB106_447:                            ; =>This Inner Loop Header: Depth=1
	buffer_load_dword v96, v93, s[0:3], 0 offen
	buffer_load_dword v97, v93, s[0:3], 0 offen offset:4
	ds_read_b64 v[98:99], v92
	v_add_u32_e32 v94, 1, v94
	v_cmp_lt_u32_e32 vcc, 2, v94
	v_add_u32_e32 v92, 8, v92
	v_add_u32_e32 v93, 8, v93
	s_or_b64 s[10:11], vcc, s[10:11]
	s_waitcnt vmcnt(0) lgkmcnt(0)
	v_fmac_f64_e32 v[88:89], v[96:97], v[98:99]
	s_andn2_b64 exec, exec, s[10:11]
	s_cbranch_execnz .LBB106_447
; %bb.448:
	s_or_b64 exec, exec, s[10:11]
.LBB106_449:
	s_or_b64 exec, exec, s[8:9]
	v_mov_b32_e32 v92, 0
	ds_read_b64 v[92:93], v92 offset:32
	s_waitcnt lgkmcnt(0)
	v_mul_f64 v[88:89], v[88:89], v[92:93]
	buffer_store_dword v89, off, s[0:3], 0 offset:36
	buffer_store_dword v88, off, s[0:3], 0 offset:32
.LBB106_450:
	s_or_b64 exec, exec, s[6:7]
	buffer_load_dword v88, off, s[0:3], 0 offset:40
	buffer_load_dword v89, off, s[0:3], 0 offset:44
	v_cmp_gt_u32_e32 vcc, 5, v0
	s_waitcnt vmcnt(0)
	ds_write_b64 v90, v[88:89]
	s_waitcnt lgkmcnt(0)
	; wave barrier
	s_waitcnt lgkmcnt(0)
	s_and_saveexec_b64 s[6:7], vcc
	s_cbranch_execz .LBB106_460
; %bb.451:
	s_and_b64 vcc, exec, s[4:5]
	s_cbranch_vccnz .LBB106_453
; %bb.452:
	buffer_load_dword v88, v91, s[0:3], 0 offen
	buffer_load_dword v89, v91, s[0:3], 0 offen offset:4
	ds_read_b64 v[92:93], v90
	s_waitcnt vmcnt(0) lgkmcnt(0)
	v_mul_f64 v[88:89], v[88:89], v[92:93]
	s_cbranch_execz .LBB106_454
	s_branch .LBB106_455
.LBB106_453:
                                        ; implicit-def: $vgpr88_vgpr89
.LBB106_454:
	ds_read_b64 v[88:89], v90
.LBB106_455:
	v_cmp_ne_u32_e32 vcc, 4, v0
	s_and_saveexec_b64 s[8:9], vcc
	s_cbranch_execz .LBB106_459
; %bb.456:
	v_mov_b32_e32 v93, 0
	v_add_u32_e32 v92, 0x168, v1
	v_add3_u32 v93, v1, v93, 8
	s_mov_b64 s[10:11], 0
	v_mov_b32_e32 v94, v0
.LBB106_457:                            ; =>This Inner Loop Header: Depth=1
	buffer_load_dword v96, v93, s[0:3], 0 offen
	buffer_load_dword v97, v93, s[0:3], 0 offen offset:4
	ds_read_b64 v[98:99], v92
	v_add_u32_e32 v94, 1, v94
	v_cmp_lt_u32_e32 vcc, 3, v94
	v_add_u32_e32 v92, 8, v92
	v_add_u32_e32 v93, 8, v93
	s_or_b64 s[10:11], vcc, s[10:11]
	s_waitcnt vmcnt(0) lgkmcnt(0)
	v_fmac_f64_e32 v[88:89], v[96:97], v[98:99]
	s_andn2_b64 exec, exec, s[10:11]
	s_cbranch_execnz .LBB106_457
; %bb.458:
	s_or_b64 exec, exec, s[10:11]
.LBB106_459:
	s_or_b64 exec, exec, s[8:9]
	v_mov_b32_e32 v92, 0
	ds_read_b64 v[92:93], v92 offset:40
	s_waitcnt lgkmcnt(0)
	v_mul_f64 v[88:89], v[88:89], v[92:93]
	buffer_store_dword v89, off, s[0:3], 0 offset:44
	buffer_store_dword v88, off, s[0:3], 0 offset:40
.LBB106_460:
	;; [unrolled: 60-line block ×37, first 2 shown]
	s_or_b64 exec, exec, s[6:7]
	buffer_load_dword v88, off, s[0:3], 0 offset:328
	buffer_load_dword v89, off, s[0:3], 0 offset:332
	v_cmp_gt_u32_e64 s[6:7], 41, v0
	s_waitcnt vmcnt(0)
	ds_write_b64 v90, v[88:89]
	s_waitcnt lgkmcnt(0)
	; wave barrier
	s_waitcnt lgkmcnt(0)
	s_and_saveexec_b64 s[8:9], s[6:7]
	s_cbranch_execz .LBB106_820
; %bb.811:
	s_and_b64 vcc, exec, s[4:5]
	s_cbranch_vccnz .LBB106_813
; %bb.812:
	buffer_load_dword v88, v91, s[0:3], 0 offen
	buffer_load_dword v89, v91, s[0:3], 0 offen offset:4
	ds_read_b64 v[92:93], v90
	s_waitcnt vmcnt(0) lgkmcnt(0)
	v_mul_f64 v[88:89], v[88:89], v[92:93]
	s_cbranch_execz .LBB106_814
	s_branch .LBB106_815
.LBB106_813:
                                        ; implicit-def: $vgpr88_vgpr89
.LBB106_814:
	ds_read_b64 v[88:89], v90
.LBB106_815:
	v_cmp_ne_u32_e32 vcc, 40, v0
	s_and_saveexec_b64 s[10:11], vcc
	s_cbranch_execz .LBB106_819
; %bb.816:
	v_mov_b32_e32 v93, 0
	v_add_u32_e32 v92, 0x168, v1
	v_add3_u32 v93, v1, v93, 8
	s_mov_b64 s[12:13], 0
	v_mov_b32_e32 v94, v0
.LBB106_817:                            ; =>This Inner Loop Header: Depth=1
	buffer_load_dword v96, v93, s[0:3], 0 offen
	buffer_load_dword v97, v93, s[0:3], 0 offen offset:4
	ds_read_b64 v[98:99], v92
	v_add_u32_e32 v94, 1, v94
	v_cmp_lt_u32_e32 vcc, 39, v94
	v_add_u32_e32 v92, 8, v92
	v_add_u32_e32 v93, 8, v93
	s_or_b64 s[12:13], vcc, s[12:13]
	s_waitcnt vmcnt(0) lgkmcnt(0)
	v_fmac_f64_e32 v[88:89], v[96:97], v[98:99]
	s_andn2_b64 exec, exec, s[12:13]
	s_cbranch_execnz .LBB106_817
; %bb.818:
	s_or_b64 exec, exec, s[12:13]
.LBB106_819:
	s_or_b64 exec, exec, s[10:11]
	v_mov_b32_e32 v92, 0
	ds_read_b64 v[92:93], v92 offset:328
	s_waitcnt lgkmcnt(0)
	v_mul_f64 v[88:89], v[88:89], v[92:93]
	buffer_store_dword v89, off, s[0:3], 0 offset:332
	buffer_store_dword v88, off, s[0:3], 0 offset:328
.LBB106_820:
	s_or_b64 exec, exec, s[8:9]
	buffer_load_dword v88, off, s[0:3], 0 offset:336
	buffer_load_dword v89, off, s[0:3], 0 offset:340
	v_cmp_ne_u32_e32 vcc, 42, v0
	s_waitcnt vmcnt(0)
	ds_write_b64 v90, v[88:89]
	s_waitcnt lgkmcnt(0)
	; wave barrier
	s_waitcnt lgkmcnt(0)
	s_and_saveexec_b64 s[8:9], vcc
	s_cbranch_execz .LBB106_830
; %bb.821:
	s_and_b64 vcc, exec, s[4:5]
	s_cbranch_vccnz .LBB106_823
; %bb.822:
	buffer_load_dword v88, v91, s[0:3], 0 offen
	buffer_load_dword v89, v91, s[0:3], 0 offen offset:4
	ds_read_b64 v[92:93], v90
	s_waitcnt vmcnt(0) lgkmcnt(0)
	v_mul_f64 v[88:89], v[88:89], v[92:93]
	s_cbranch_execz .LBB106_824
	s_branch .LBB106_825
.LBB106_823:
                                        ; implicit-def: $vgpr88_vgpr89
.LBB106_824:
	ds_read_b64 v[88:89], v90
.LBB106_825:
	s_and_saveexec_b64 s[4:5], s[6:7]
	s_cbranch_execz .LBB106_829
; %bb.826:
	v_mov_b32_e32 v91, 0
	v_add_u32_e32 v90, 0x168, v1
	v_add3_u32 v1, v1, v91, 8
	s_mov_b64 s[6:7], 0
.LBB106_827:                            ; =>This Inner Loop Header: Depth=1
	buffer_load_dword v92, v1, s[0:3], 0 offen
	buffer_load_dword v93, v1, s[0:3], 0 offen offset:4
	ds_read_b64 v[94:95], v90
	v_add_u32_e32 v0, 1, v0
	v_cmp_lt_u32_e32 vcc, 40, v0
	v_add_u32_e32 v90, 8, v90
	v_add_u32_e32 v1, 8, v1
	s_or_b64 s[6:7], vcc, s[6:7]
	s_waitcnt vmcnt(0) lgkmcnt(0)
	v_fmac_f64_e32 v[88:89], v[92:93], v[94:95]
	s_andn2_b64 exec, exec, s[6:7]
	s_cbranch_execnz .LBB106_827
; %bb.828:
	s_or_b64 exec, exec, s[6:7]
.LBB106_829:
	s_or_b64 exec, exec, s[4:5]
	v_mov_b32_e32 v0, 0
	ds_read_b64 v[0:1], v0 offset:336
	s_waitcnt lgkmcnt(0)
	v_mul_f64 v[0:1], v[88:89], v[0:1]
	buffer_store_dword v1, off, s[0:3], 0 offset:340
	buffer_store_dword v0, off, s[0:3], 0 offset:336
.LBB106_830:
	s_or_b64 exec, exec, s[8:9]
.LBB106_831:
	buffer_load_dword v0, off, s[0:3], 0
	buffer_load_dword v1, off, s[0:3], 0 offset:4
	buffer_load_dword v88, off, s[0:3], 0 offset:8
	;; [unrolled: 1-line block ×15, first 2 shown]
	s_waitcnt vmcnt(14)
	global_store_dwordx2 v[84:85], v[0:1], off
	s_waitcnt vmcnt(13)
	global_store_dwordx2 v[86:87], v[88:89], off
	;; [unrolled: 2-line block ×8, first 2 shown]
	buffer_load_dword v1, off, s[0:3], 0 offset:68
	buffer_load_dword v0, off, s[0:3], 0 offset:64
	s_waitcnt vmcnt(0)
	global_store_dwordx2 v[20:21], v[0:1], off
	buffer_load_dword v0, off, s[0:3], 0 offset:72
	s_nop 0
	buffer_load_dword v1, off, s[0:3], 0 offset:76
	s_waitcnt vmcnt(0)
	global_store_dwordx2 v[12:13], v[0:1], off
	buffer_load_dword v0, off, s[0:3], 0 offset:80
	s_nop 0
	;; [unrolled: 5-line block ×34, first 2 shown]
	buffer_load_dword v1, off, s[0:3], 0 offset:340
	s_waitcnt vmcnt(0)
	global_store_dwordx2 v[80:81], v[0:1], off
.LBB106_832:
	s_endpgm
	.section	.rodata,"a",@progbits
	.p2align	6, 0x0
	.amdhsa_kernel _ZN9rocsolver6v33100L18trti2_kernel_smallILi43EdPKPdEEv13rocblas_fill_17rocblas_diagonal_T1_iil
		.amdhsa_group_segment_fixed_size 696
		.amdhsa_private_segment_fixed_size 352
		.amdhsa_kernarg_size 32
		.amdhsa_user_sgpr_count 8
		.amdhsa_user_sgpr_private_segment_buffer 1
		.amdhsa_user_sgpr_dispatch_ptr 0
		.amdhsa_user_sgpr_queue_ptr 0
		.amdhsa_user_sgpr_kernarg_segment_ptr 1
		.amdhsa_user_sgpr_dispatch_id 0
		.amdhsa_user_sgpr_flat_scratch_init 1
		.amdhsa_user_sgpr_kernarg_preload_length 0
		.amdhsa_user_sgpr_kernarg_preload_offset 0
		.amdhsa_user_sgpr_private_segment_size 0
		.amdhsa_uses_dynamic_stack 0
		.amdhsa_system_sgpr_private_segment_wavefront_offset 1
		.amdhsa_system_sgpr_workgroup_id_x 1
		.amdhsa_system_sgpr_workgroup_id_y 0
		.amdhsa_system_sgpr_workgroup_id_z 0
		.amdhsa_system_sgpr_workgroup_info 0
		.amdhsa_system_vgpr_workitem_id 0
		.amdhsa_next_free_vgpr 164
		.amdhsa_next_free_sgpr 16
		.amdhsa_accum_offset 164
		.amdhsa_reserve_vcc 1
		.amdhsa_reserve_flat_scratch 0
		.amdhsa_float_round_mode_32 0
		.amdhsa_float_round_mode_16_64 0
		.amdhsa_float_denorm_mode_32 3
		.amdhsa_float_denorm_mode_16_64 3
		.amdhsa_dx10_clamp 1
		.amdhsa_ieee_mode 1
		.amdhsa_fp16_overflow 0
		.amdhsa_tg_split 0
		.amdhsa_exception_fp_ieee_invalid_op 0
		.amdhsa_exception_fp_denorm_src 0
		.amdhsa_exception_fp_ieee_div_zero 0
		.amdhsa_exception_fp_ieee_overflow 0
		.amdhsa_exception_fp_ieee_underflow 0
		.amdhsa_exception_fp_ieee_inexact 0
		.amdhsa_exception_int_div_zero 0
	.end_amdhsa_kernel
	.section	.text._ZN9rocsolver6v33100L18trti2_kernel_smallILi43EdPKPdEEv13rocblas_fill_17rocblas_diagonal_T1_iil,"axG",@progbits,_ZN9rocsolver6v33100L18trti2_kernel_smallILi43EdPKPdEEv13rocblas_fill_17rocblas_diagonal_T1_iil,comdat
.Lfunc_end106:
	.size	_ZN9rocsolver6v33100L18trti2_kernel_smallILi43EdPKPdEEv13rocblas_fill_17rocblas_diagonal_T1_iil, .Lfunc_end106-_ZN9rocsolver6v33100L18trti2_kernel_smallILi43EdPKPdEEv13rocblas_fill_17rocblas_diagonal_T1_iil
                                        ; -- End function
	.section	.AMDGPU.csdata,"",@progbits
; Kernel info:
; codeLenInByte = 25144
; NumSgprs: 20
; NumVgprs: 164
; NumAgprs: 0
; TotalNumVgprs: 164
; ScratchSize: 352
; MemoryBound: 0
; FloatMode: 240
; IeeeMode: 1
; LDSByteSize: 696 bytes/workgroup (compile time only)
; SGPRBlocks: 2
; VGPRBlocks: 20
; NumSGPRsForWavesPerEU: 20
; NumVGPRsForWavesPerEU: 164
; AccumOffset: 164
; Occupancy: 3
; WaveLimiterHint : 1
; COMPUTE_PGM_RSRC2:SCRATCH_EN: 1
; COMPUTE_PGM_RSRC2:USER_SGPR: 8
; COMPUTE_PGM_RSRC2:TRAP_HANDLER: 0
; COMPUTE_PGM_RSRC2:TGID_X_EN: 1
; COMPUTE_PGM_RSRC2:TGID_Y_EN: 0
; COMPUTE_PGM_RSRC2:TGID_Z_EN: 0
; COMPUTE_PGM_RSRC2:TIDIG_COMP_CNT: 0
; COMPUTE_PGM_RSRC3_GFX90A:ACCUM_OFFSET: 40
; COMPUTE_PGM_RSRC3_GFX90A:TG_SPLIT: 0
	.section	.text._ZN9rocsolver6v33100L18trti2_kernel_smallILi44EdPKPdEEv13rocblas_fill_17rocblas_diagonal_T1_iil,"axG",@progbits,_ZN9rocsolver6v33100L18trti2_kernel_smallILi44EdPKPdEEv13rocblas_fill_17rocblas_diagonal_T1_iil,comdat
	.globl	_ZN9rocsolver6v33100L18trti2_kernel_smallILi44EdPKPdEEv13rocblas_fill_17rocblas_diagonal_T1_iil ; -- Begin function _ZN9rocsolver6v33100L18trti2_kernel_smallILi44EdPKPdEEv13rocblas_fill_17rocblas_diagonal_T1_iil
	.p2align	8
	.type	_ZN9rocsolver6v33100L18trti2_kernel_smallILi44EdPKPdEEv13rocblas_fill_17rocblas_diagonal_T1_iil,@function
_ZN9rocsolver6v33100L18trti2_kernel_smallILi44EdPKPdEEv13rocblas_fill_17rocblas_diagonal_T1_iil: ; @_ZN9rocsolver6v33100L18trti2_kernel_smallILi44EdPKPdEEv13rocblas_fill_17rocblas_diagonal_T1_iil
; %bb.0:
	s_add_u32 s0, s0, s9
	s_addc_u32 s1, s1, 0
	v_cmp_gt_u32_e32 vcc, 44, v0
	s_and_saveexec_b64 s[6:7], vcc
	s_cbranch_execz .LBB107_852
; %bb.1:
	s_load_dwordx2 s[6:7], s[4:5], 0x10
	s_load_dwordx4 s[12:15], s[4:5], 0x0
	s_ashr_i32 s9, s8, 31
	s_lshl_b64 s[4:5], s[8:9], 3
	s_waitcnt lgkmcnt(0)
	s_ashr_i32 s9, s6, 31
	s_add_u32 s4, s14, s4
	s_addc_u32 s5, s15, s5
	s_load_dwordx2 s[4:5], s[4:5], 0x0
	s_mov_b32 s8, s6
	s_lshl_b64 s[8:9], s[8:9], 3
	s_waitcnt lgkmcnt(0)
	s_add_u32 s4, s4, s8
	s_addc_u32 s5, s5, s9
	s_add_i32 s6, s7, s7
	v_add_u32_e32 v4, s6, v0
	v_ashrrev_i32_e32 v5, 31, v4
	v_lshlrev_b64 v[2:3], 3, v[4:5]
	v_add_u32_e32 v6, s7, v4
	v_mov_b32_e32 v1, s5
	v_add_co_u32_e32 v2, vcc, s4, v2
	v_ashrrev_i32_e32 v7, 31, v6
	v_addc_co_u32_e32 v3, vcc, v1, v3, vcc
	v_lshlrev_b64 v[4:5], 3, v[6:7]
	v_add_u32_e32 v8, s7, v6
	v_add_co_u32_e32 v4, vcc, s4, v4
	v_ashrrev_i32_e32 v9, 31, v8
	v_addc_co_u32_e32 v5, vcc, v1, v5, vcc
	v_lshlrev_b64 v[6:7], 3, v[8:9]
	v_add_u32_e32 v10, s7, v8
	;; [unrolled: 5-line block ×5, first 2 shown]
	v_add_co_u32_e32 v14, vcc, s4, v14
	v_ashrrev_i32_e32 v13, 31, v12
	v_addc_co_u32_e32 v15, vcc, v1, v15, vcc
	v_lshlrev_b64 v[16:17], 3, v[12:13]
	v_add_co_u32_e32 v20, vcc, s4, v16
	v_add_u32_e32 v16, s7, v12
	v_addc_co_u32_e32 v21, vcc, v1, v17, vcc
	v_ashrrev_i32_e32 v17, 31, v16
	v_lshlrev_b64 v[12:13], 3, v[16:17]
	v_add_u32_e32 v18, s7, v16
	v_add_co_u32_e32 v12, vcc, s4, v12
	v_ashrrev_i32_e32 v19, 31, v18
	v_addc_co_u32_e32 v13, vcc, v1, v13, vcc
	v_lshlrev_b64 v[16:17], 3, v[18:19]
	v_add_u32_e32 v22, s7, v18
	v_add_co_u32_e32 v16, vcc, s4, v16
	v_ashrrev_i32_e32 v23, 31, v22
	v_addc_co_u32_e32 v17, vcc, v1, v17, vcc
	;; [unrolled: 5-line block ×28, first 2 shown]
	v_lshlrev_b64 v[72:73], 3, v[74:75]
	v_add_co_u32_e32 v72, vcc, s4, v72
	v_addc_co_u32_e32 v73, vcc, v1, v73, vcc
	v_lshlrev_b32_e32 v1, 3, v0
	v_add_u32_e32 v76, s7, v74
	global_load_dwordx2 v[90:91], v1, s[4:5]
	v_mov_b32_e32 v74, s5
	v_add_co_u32_e32 v86, vcc, s4, v1
	s_ashr_i32 s9, s7, 31
	s_mov_b32 s8, s7
	v_addc_co_u32_e32 v87, vcc, 0, v74, vcc
	s_lshl_b64 s[8:9], s[8:9], 3
	v_mov_b32_e32 v74, s9
	v_add_co_u32_e32 v88, vcc, s8, v86
	v_addc_co_u32_e32 v89, vcc, v87, v74, vcc
	global_load_dwordx2 v[92:93], v[88:89], off
	global_load_dwordx2 v[94:95], v[2:3], off
	;; [unrolled: 1-line block ×3, first 2 shown]
	v_ashrrev_i32_e32 v77, 31, v76
	v_lshlrev_b64 v[74:75], 3, v[76:77]
	global_load_dwordx2 v[98:99], v[6:7], off
	global_load_dwordx2 v[100:101], v[8:9], off
	global_load_dwordx2 v[102:103], v[10:11], off
	v_mov_b32_e32 v78, s5
	v_add_co_u32_e32 v74, vcc, s4, v74
	v_addc_co_u32_e32 v75, vcc, v78, v75, vcc
	v_add_u32_e32 v78, s7, v76
	v_ashrrev_i32_e32 v79, 31, v78
	v_lshlrev_b64 v[76:77], 3, v[78:79]
	v_mov_b32_e32 v80, s5
	v_add_co_u32_e32 v76, vcc, s4, v76
	v_addc_co_u32_e32 v77, vcc, v80, v77, vcc
	v_add_u32_e32 v80, s7, v78
	v_ashrrev_i32_e32 v81, 31, v80
	v_lshlrev_b64 v[78:79], 3, v[80:81]
	;; [unrolled: 6-line block ×3, first 2 shown]
	v_add_u32_e32 v82, s7, v82
	v_mov_b32_e32 v84, s5
	v_add_co_u32_e32 v80, vcc, s4, v80
	v_ashrrev_i32_e32 v83, 31, v82
	v_addc_co_u32_e32 v81, vcc, v84, v81, vcc
	v_lshlrev_b64 v[84:85], 3, v[82:83]
	v_add_u32_e32 v82, s7, v82
	v_mov_b32_e32 v128, s5
	v_add_co_u32_e32 v84, vcc, s4, v84
	v_ashrrev_i32_e32 v83, 31, v82
	v_addc_co_u32_e32 v85, vcc, v128, v85, vcc
	v_lshlrev_b64 v[82:83], 3, v[82:83]
	v_mov_b32_e32 v144, s5
	v_add_co_u32_e32 v82, vcc, s4, v82
	global_load_dwordx2 v[104:105], v[14:15], off
	global_load_dwordx2 v[106:107], v[20:21], off
	;; [unrolled: 1-line block ×20, first 2 shown]
	v_addc_co_u32_e32 v83, vcc, v144, v83, vcc
	global_load_dwordx2 v[144:145], v[52:53], off
	global_load_dwordx2 v[146:147], v[82:83], off
	global_load_dwordx2 v[148:149], v[54:55], off
	global_load_dwordx2 v[150:151], v[56:57], off
	global_load_dwordx2 v[152:153], v[60:61], off
	global_load_dwordx2 v[154:155], v[64:65], off
	global_load_dwordx2 v[156:157], v[68:69], off
	global_load_dwordx2 v[158:159], v[72:73], off
	global_load_dwordx2 v[160:161], v[76:77], off
	global_load_dwordx2 v[162:163], v[80:81], off
	s_cmpk_lg_i32 s13, 0x84
	s_waitcnt vmcnt(36)
	buffer_store_dword v91, off, s[0:3], 0 offset:4
	buffer_store_dword v90, off, s[0:3], 0
	global_load_dwordx2 v[90:91], v[58:59], off
	s_cselect_b64 s[8:9], -1, 0
	s_cmpk_eq_i32 s13, 0x84
	s_waitcnt vmcnt(38)
	buffer_store_dword v93, off, s[0:3], 0 offset:12
	buffer_store_dword v92, off, s[0:3], 0 offset:8
	global_load_dwordx2 v[92:93], v[62:63], off
	s_waitcnt vmcnt(40)
	buffer_store_dword v95, off, s[0:3], 0 offset:20
	buffer_store_dword v94, off, s[0:3], 0 offset:16
	global_load_dwordx2 v[94:95], v[66:67], off
	;; [unrolled: 4-line block ×6, first 2 shown]
	s_waitcnt vmcnt(50)
	buffer_store_dword v105, off, s[0:3], 0 offset:60
	buffer_store_dword v104, off, s[0:3], 0 offset:56
	s_waitcnt vmcnt(51)
	buffer_store_dword v107, off, s[0:3], 0 offset:68
	buffer_store_dword v106, off, s[0:3], 0 offset:64
	;; [unrolled: 3-line block ×14, first 2 shown]
	buffer_store_dword v132, off, s[0:3], 0 offset:168
	buffer_store_dword v133, off, s[0:3], 0 offset:172
	s_waitcnt vmcnt(62)
	buffer_store_dword v134, off, s[0:3], 0 offset:176
	buffer_store_dword v135, off, s[0:3], 0 offset:180
	;; [unrolled: 1-line block ×8, first 2 shown]
	s_waitcnt vmcnt(62)
	buffer_store_dword v143, off, s[0:3], 0 offset:212
	buffer_store_dword v142, off, s[0:3], 0 offset:208
	;; [unrolled: 1-line block ×8, first 2 shown]
	s_waitcnt vmcnt(62)
	buffer_store_dword v90, off, s[0:3], 0 offset:240
	buffer_store_dword v91, off, s[0:3], 0 offset:244
	buffer_store_dword v153, off, s[0:3], 0 offset:252
	buffer_store_dword v152, off, s[0:3], 0 offset:248
	s_waitcnt vmcnt(62)
	buffer_store_dword v93, off, s[0:3], 0 offset:260
	buffer_store_dword v92, off, s[0:3], 0 offset:256
	buffer_store_dword v154, off, s[0:3], 0 offset:264
	buffer_store_dword v155, off, s[0:3], 0 offset:268
	buffer_store_dword v94, off, s[0:3], 0 offset:272
	buffer_store_dword v95, off, s[0:3], 0 offset:276
	buffer_store_dword v156, off, s[0:3], 0 offset:280
	buffer_store_dword v157, off, s[0:3], 0 offset:284
	s_waitcnt vmcnt(62)
	buffer_store_dword v96, off, s[0:3], 0 offset:288
	buffer_store_dword v97, off, s[0:3], 0 offset:292
	buffer_store_dword v159, off, s[0:3], 0 offset:300
	buffer_store_dword v158, off, s[0:3], 0 offset:296
	buffer_store_dword v99, off, s[0:3], 0 offset:308
	buffer_store_dword v98, off, s[0:3], 0 offset:304
	buffer_store_dword v160, off, s[0:3], 0 offset:312
	buffer_store_dword v161, off, s[0:3], 0 offset:316
	s_waitcnt vmcnt(62)
	buffer_store_dword v100, off, s[0:3], 0 offset:320
	buffer_store_dword v101, off, s[0:3], 0 offset:324
	buffer_store_dword v162, off, s[0:3], 0 offset:328
	buffer_store_dword v163, off, s[0:3], 0 offset:332
	buffer_store_dword v102, off, s[0:3], 0 offset:336
	buffer_store_dword v103, off, s[0:3], 0 offset:340
	;; [unrolled: 1-line block ×4, first 2 shown]
	v_mov_b32_e32 v90, 0
	v_mov_b32_e32 v134, 0
	;; [unrolled: 1-line block ×3, first 2 shown]
	s_cbranch_scc1 .LBB107_3
; %bb.2:
	v_lshl_add_u32 v100, v0, 3, v134
	buffer_load_dword v90, v100, s[0:3], 0 offen
	buffer_load_dword v91, v100, s[0:3], 0 offen offset:4
	s_waitcnt vmcnt(0)
	v_div_scale_f64 v[92:93], s[4:5], v[90:91], v[90:91], 1.0
	v_rcp_f64_e32 v[94:95], v[92:93]
	v_div_scale_f64 v[96:97], vcc, 1.0, v[90:91], 1.0
	v_fma_f64 v[98:99], -v[92:93], v[94:95], 1.0
	v_fmac_f64_e32 v[94:95], v[94:95], v[98:99]
	v_fma_f64 v[98:99], -v[92:93], v[94:95], 1.0
	v_fmac_f64_e32 v[94:95], v[94:95], v[98:99]
	v_mul_f64 v[98:99], v[96:97], v[94:95]
	v_fma_f64 v[92:93], -v[92:93], v[98:99], v[96:97]
	v_div_fmas_f64 v[92:93], v[92:93], v[94:95], v[98:99]
	v_div_fixup_f64 v[90:91], v[92:93], v[90:91], 1.0
	buffer_store_dword v90, v100, s[0:3], 0 offen
	buffer_store_dword v91, v100, s[0:3], 0 offen offset:4
	v_xor_b32_e32 v91, 0x80000000, v91
.LBB107_3:
	s_cmpk_eq_i32 s12, 0x79
	v_add_u32_e32 v92, 0x160, v1
	v_add_u32_e32 v93, 0, v1
	s_mov_b64 s[4:5], -1
	ds_write_b64 v1, v[90:91]
	s_cbranch_scc1 .LBB107_427
; %bb.4:
	buffer_load_dword v90, off, s[0:3], 0 offset:336
	buffer_load_dword v91, off, s[0:3], 0 offset:340
	v_cmp_eq_u32_e64 s[4:5], 43, v0
	s_waitcnt vmcnt(0)
	ds_write_b64 v92, v[90:91]
	s_waitcnt lgkmcnt(0)
	; wave barrier
	s_waitcnt lgkmcnt(0)
	s_and_saveexec_b64 s[6:7], s[4:5]
	s_cbranch_execz .LBB107_10
; %bb.5:
	s_and_b64 vcc, exec, s[8:9]
	s_cbranch_vccz .LBB107_7
; %bb.6:
	buffer_load_dword v90, v93, s[0:3], 0 offen
	buffer_load_dword v91, v93, s[0:3], 0 offen offset:4
	ds_read_b64 v[94:95], v92
	s_waitcnt vmcnt(0) lgkmcnt(0)
	v_mul_f64 v[90:91], v[90:91], v[94:95]
	s_cbranch_execz .LBB107_8
	s_branch .LBB107_9
.LBB107_7:
                                        ; implicit-def: $vgpr90_vgpr91
.LBB107_8:
	ds_read_b64 v[90:91], v92
.LBB107_9:
	v_mov_b32_e32 v94, 0
	ds_read_b64 v[94:95], v94 offset:336
	s_waitcnt lgkmcnt(0)
	v_mul_f64 v[90:91], v[90:91], v[94:95]
	buffer_store_dword v91, off, s[0:3], 0 offset:340
	buffer_store_dword v90, off, s[0:3], 0 offset:336
.LBB107_10:
	s_or_b64 exec, exec, s[6:7]
	buffer_load_dword v90, off, s[0:3], 0 offset:328
	buffer_load_dword v91, off, s[0:3], 0 offset:332
	v_or_b32_e32 v94, 8, v134
	v_add_u32_e32 v95, 16, v134
	v_add_u32_e32 v96, 24, v134
	;; [unrolled: 1-line block ×40, first 2 shown]
	v_cmp_lt_u32_e64 s[6:7], 41, v0
	s_waitcnt vmcnt(0)
	ds_write_b64 v92, v[90:91]
	s_waitcnt lgkmcnt(0)
	; wave barrier
	s_waitcnt lgkmcnt(0)
	s_and_saveexec_b64 s[10:11], s[6:7]
	s_cbranch_execz .LBB107_16
; %bb.11:
	s_andn2_b64 vcc, exec, s[8:9]
	s_cbranch_vccnz .LBB107_13
; %bb.12:
	buffer_load_dword v90, v93, s[0:3], 0 offen
	buffer_load_dword v91, v93, s[0:3], 0 offen offset:4
	ds_read_b64 v[136:137], v92
	s_waitcnt vmcnt(0) lgkmcnt(0)
	v_mul_f64 v[90:91], v[90:91], v[136:137]
	s_cbranch_execz .LBB107_14
	s_branch .LBB107_15
.LBB107_13:
                                        ; implicit-def: $vgpr90_vgpr91
.LBB107_14:
	ds_read_b64 v[90:91], v92
.LBB107_15:
	buffer_load_dword v140, off, s[0:3], 0 offset:336
	buffer_load_dword v141, off, s[0:3], 0 offset:340
	v_mov_b32_e32 v135, 0
	ds_read2_b64 v[136:139], v135 offset0:41 offset1:86
	s_waitcnt vmcnt(0) lgkmcnt(0)
	v_fma_f64 v[138:139], v[140:141], v[138:139], v[90:91]
	v_cndmask_b32_e64 v91, v91, v139, s[4:5]
	v_cndmask_b32_e64 v90, v90, v138, s[4:5]
	v_mul_f64 v[90:91], v[90:91], v[136:137]
	buffer_store_dword v91, off, s[0:3], 0 offset:332
	buffer_store_dword v90, off, s[0:3], 0 offset:328
.LBB107_16:
	s_or_b64 exec, exec, s[10:11]
	buffer_load_dword v90, off, s[0:3], 0 offset:320
	buffer_load_dword v91, off, s[0:3], 0 offset:324
	v_cmp_lt_u32_e64 s[4:5], 40, v0
	s_waitcnt vmcnt(0)
	ds_write_b64 v92, v[90:91]
	s_waitcnt lgkmcnt(0)
	; wave barrier
	s_waitcnt lgkmcnt(0)
	s_and_saveexec_b64 s[10:11], s[4:5]
	s_cbranch_execz .LBB107_26
; %bb.17:
	s_andn2_b64 vcc, exec, s[8:9]
	s_cbranch_vccnz .LBB107_19
; %bb.18:
	buffer_load_dword v90, v93, s[0:3], 0 offen
	buffer_load_dword v91, v93, s[0:3], 0 offen offset:4
	ds_read_b64 v[136:137], v92
	s_waitcnt vmcnt(0) lgkmcnt(0)
	v_mul_f64 v[90:91], v[90:91], v[136:137]
	s_cbranch_execz .LBB107_20
	s_branch .LBB107_21
.LBB107_19:
                                        ; implicit-def: $vgpr90_vgpr91
.LBB107_20:
	ds_read_b64 v[90:91], v92
.LBB107_21:
	s_and_saveexec_b64 s[12:13], s[6:7]
	s_cbranch_execz .LBB107_25
; %bb.22:
	v_subrev_u32_e32 v135, 41, v0
	s_movk_i32 s14, 0x2a8
	s_mov_b64 s[6:7], 0
.LBB107_23:                             ; =>This Inner Loop Header: Depth=1
	buffer_load_dword v136, v134, s[0:3], 0 offen
	buffer_load_dword v137, v134, s[0:3], 0 offen offset:4
	v_mov_b32_e32 v138, s14
	ds_read_b64 v[138:139], v138
	v_add_u32_e32 v135, -1, v135
	s_add_i32 s14, s14, 8
	v_cmp_eq_u32_e32 vcc, 0, v135
	v_add_u32_e32 v134, 8, v134
	s_or_b64 s[6:7], vcc, s[6:7]
	s_waitcnt vmcnt(0) lgkmcnt(0)
	v_fmac_f64_e32 v[90:91], v[136:137], v[138:139]
	s_andn2_b64 exec, exec, s[6:7]
	s_cbranch_execnz .LBB107_23
; %bb.24:
	s_or_b64 exec, exec, s[6:7]
.LBB107_25:
	s_or_b64 exec, exec, s[12:13]
	v_mov_b32_e32 v134, 0
	ds_read_b64 v[134:135], v134 offset:320
	s_waitcnt lgkmcnt(0)
	v_mul_f64 v[90:91], v[90:91], v[134:135]
	buffer_store_dword v91, off, s[0:3], 0 offset:324
	buffer_store_dword v90, off, s[0:3], 0 offset:320
.LBB107_26:
	s_or_b64 exec, exec, s[10:11]
	buffer_load_dword v90, off, s[0:3], 0 offset:312
	buffer_load_dword v91, off, s[0:3], 0 offset:316
	v_cmp_lt_u32_e64 s[6:7], 39, v0
	s_waitcnt vmcnt(0)
	ds_write_b64 v92, v[90:91]
	s_waitcnt lgkmcnt(0)
	; wave barrier
	s_waitcnt lgkmcnt(0)
	s_and_saveexec_b64 s[10:11], s[6:7]
	s_cbranch_execz .LBB107_36
; %bb.27:
	s_andn2_b64 vcc, exec, s[8:9]
	s_cbranch_vccnz .LBB107_29
; %bb.28:
	buffer_load_dword v90, v93, s[0:3], 0 offen
	buffer_load_dword v91, v93, s[0:3], 0 offen offset:4
	ds_read_b64 v[134:135], v92
	s_waitcnt vmcnt(0) lgkmcnt(0)
	v_mul_f64 v[90:91], v[90:91], v[134:135]
	s_cbranch_execz .LBB107_30
	s_branch .LBB107_31
.LBB107_29:
                                        ; implicit-def: $vgpr90_vgpr91
.LBB107_30:
	ds_read_b64 v[90:91], v92
.LBB107_31:
	s_and_saveexec_b64 s[12:13], s[4:5]
	s_cbranch_execz .LBB107_35
; %bb.32:
	v_subrev_u32_e32 v134, 40, v0
	s_movk_i32 s14, 0x2a0
	s_mov_b64 s[4:5], 0
.LBB107_33:                             ; =>This Inner Loop Header: Depth=1
	buffer_load_dword v136, v133, s[0:3], 0 offen
	buffer_load_dword v137, v133, s[0:3], 0 offen offset:4
	v_mov_b32_e32 v135, s14
	ds_read_b64 v[138:139], v135
	v_add_u32_e32 v134, -1, v134
	s_add_i32 s14, s14, 8
	v_cmp_eq_u32_e32 vcc, 0, v134
	v_add_u32_e32 v133, 8, v133
	s_or_b64 s[4:5], vcc, s[4:5]
	s_waitcnt vmcnt(0) lgkmcnt(0)
	v_fmac_f64_e32 v[90:91], v[136:137], v[138:139]
	s_andn2_b64 exec, exec, s[4:5]
	s_cbranch_execnz .LBB107_33
; %bb.34:
	s_or_b64 exec, exec, s[4:5]
.LBB107_35:
	s_or_b64 exec, exec, s[12:13]
	v_mov_b32_e32 v133, 0
	ds_read_b64 v[134:135], v133 offset:312
	s_waitcnt lgkmcnt(0)
	v_mul_f64 v[90:91], v[90:91], v[134:135]
	buffer_store_dword v91, off, s[0:3], 0 offset:316
	buffer_store_dword v90, off, s[0:3], 0 offset:312
.LBB107_36:
	;; [unrolled: 58-line block ×8, first 2 shown]
	s_or_b64 exec, exec, s[10:11]
	buffer_load_dword v90, off, s[0:3], 0 offset:256
	buffer_load_dword v91, off, s[0:3], 0 offset:260
	v_cmp_lt_u32_e64 s[4:5], 32, v0
	s_waitcnt vmcnt(0)
	ds_write_b64 v92, v[90:91]
	s_waitcnt lgkmcnt(0)
	; wave barrier
	s_waitcnt lgkmcnt(0)
	s_and_saveexec_b64 s[10:11], s[4:5]
	s_cbranch_execz .LBB107_106
; %bb.97:
	s_andn2_b64 vcc, exec, s[8:9]
	s_cbranch_vccnz .LBB107_99
; %bb.98:
	buffer_load_dword v90, v93, s[0:3], 0 offen
	buffer_load_dword v91, v93, s[0:3], 0 offen offset:4
	ds_read_b64 v[128:129], v92
	s_waitcnt vmcnt(0) lgkmcnt(0)
	v_mul_f64 v[90:91], v[90:91], v[128:129]
	s_cbranch_execz .LBB107_100
	s_branch .LBB107_101
.LBB107_99:
                                        ; implicit-def: $vgpr90_vgpr91
.LBB107_100:
	ds_read_b64 v[90:91], v92
.LBB107_101:
	s_and_saveexec_b64 s[12:13], s[6:7]
	s_cbranch_execz .LBB107_105
; %bb.102:
	v_subrev_u32_e32 v127, 33, v0
	s_movk_i32 s14, 0x268
	s_mov_b64 s[6:7], 0
.LBB107_103:                            ; =>This Inner Loop Header: Depth=1
	buffer_load_dword v128, v126, s[0:3], 0 offen
	buffer_load_dword v129, v126, s[0:3], 0 offen offset:4
	v_mov_b32_e32 v130, s14
	ds_read_b64 v[130:131], v130
	v_add_u32_e32 v127, -1, v127
	s_add_i32 s14, s14, 8
	v_cmp_eq_u32_e32 vcc, 0, v127
	v_add_u32_e32 v126, 8, v126
	s_or_b64 s[6:7], vcc, s[6:7]
	s_waitcnt vmcnt(0) lgkmcnt(0)
	v_fmac_f64_e32 v[90:91], v[128:129], v[130:131]
	s_andn2_b64 exec, exec, s[6:7]
	s_cbranch_execnz .LBB107_103
; %bb.104:
	s_or_b64 exec, exec, s[6:7]
.LBB107_105:
	s_or_b64 exec, exec, s[12:13]
	v_mov_b32_e32 v126, 0
	ds_read_b64 v[126:127], v126 offset:256
	s_waitcnt lgkmcnt(0)
	v_mul_f64 v[90:91], v[90:91], v[126:127]
	buffer_store_dword v91, off, s[0:3], 0 offset:260
	buffer_store_dword v90, off, s[0:3], 0 offset:256
.LBB107_106:
	s_or_b64 exec, exec, s[10:11]
	buffer_load_dword v90, off, s[0:3], 0 offset:248
	buffer_load_dword v91, off, s[0:3], 0 offset:252
	v_cmp_lt_u32_e64 s[6:7], 31, v0
	s_waitcnt vmcnt(0)
	ds_write_b64 v92, v[90:91]
	s_waitcnt lgkmcnt(0)
	; wave barrier
	s_waitcnt lgkmcnt(0)
	s_and_saveexec_b64 s[10:11], s[6:7]
	s_cbranch_execz .LBB107_116
; %bb.107:
	s_andn2_b64 vcc, exec, s[8:9]
	s_cbranch_vccnz .LBB107_109
; %bb.108:
	buffer_load_dword v90, v93, s[0:3], 0 offen
	buffer_load_dword v91, v93, s[0:3], 0 offen offset:4
	ds_read_b64 v[126:127], v92
	s_waitcnt vmcnt(0) lgkmcnt(0)
	v_mul_f64 v[90:91], v[90:91], v[126:127]
	s_cbranch_execz .LBB107_110
	s_branch .LBB107_111
.LBB107_109:
                                        ; implicit-def: $vgpr90_vgpr91
.LBB107_110:
	ds_read_b64 v[90:91], v92
.LBB107_111:
	s_and_saveexec_b64 s[12:13], s[4:5]
	s_cbranch_execz .LBB107_115
; %bb.112:
	v_subrev_u32_e32 v126, 32, v0
	s_movk_i32 s14, 0x260
	s_mov_b64 s[4:5], 0
.LBB107_113:                            ; =>This Inner Loop Header: Depth=1
	buffer_load_dword v128, v125, s[0:3], 0 offen
	buffer_load_dword v129, v125, s[0:3], 0 offen offset:4
	v_mov_b32_e32 v127, s14
	ds_read_b64 v[130:131], v127
	v_add_u32_e32 v126, -1, v126
	s_add_i32 s14, s14, 8
	v_cmp_eq_u32_e32 vcc, 0, v126
	v_add_u32_e32 v125, 8, v125
	s_or_b64 s[4:5], vcc, s[4:5]
	s_waitcnt vmcnt(0) lgkmcnt(0)
	v_fmac_f64_e32 v[90:91], v[128:129], v[130:131]
	s_andn2_b64 exec, exec, s[4:5]
	s_cbranch_execnz .LBB107_113
; %bb.114:
	s_or_b64 exec, exec, s[4:5]
.LBB107_115:
	s_or_b64 exec, exec, s[12:13]
	v_mov_b32_e32 v125, 0
	ds_read_b64 v[126:127], v125 offset:248
	s_waitcnt lgkmcnt(0)
	v_mul_f64 v[90:91], v[90:91], v[126:127]
	buffer_store_dword v91, off, s[0:3], 0 offset:252
	buffer_store_dword v90, off, s[0:3], 0 offset:248
.LBB107_116:
	;; [unrolled: 58-line block ×17, first 2 shown]
	s_or_b64 exec, exec, s[10:11]
	buffer_load_dword v90, off, s[0:3], 0 offset:120
	buffer_load_dword v91, off, s[0:3], 0 offset:124
	v_cmp_lt_u32_e64 s[6:7], 15, v0
	s_waitcnt vmcnt(0)
	ds_write_b64 v92, v[90:91]
	s_waitcnt lgkmcnt(0)
	; wave barrier
	s_waitcnt lgkmcnt(0)
	s_and_saveexec_b64 s[10:11], s[6:7]
	s_cbranch_execz .LBB107_276
; %bb.267:
	s_andn2_b64 vcc, exec, s[8:9]
	s_cbranch_vccnz .LBB107_269
; %bb.268:
	buffer_load_dword v90, v93, s[0:3], 0 offen
	buffer_load_dword v91, v93, s[0:3], 0 offen offset:4
	ds_read_b64 v[110:111], v92
	s_waitcnt vmcnt(0) lgkmcnt(0)
	v_mul_f64 v[90:91], v[90:91], v[110:111]
	s_cbranch_execz .LBB107_270
	s_branch .LBB107_271
.LBB107_269:
                                        ; implicit-def: $vgpr90_vgpr91
.LBB107_270:
	ds_read_b64 v[90:91], v92
.LBB107_271:
	s_and_saveexec_b64 s[12:13], s[4:5]
	s_cbranch_execz .LBB107_275
; %bb.272:
	v_add_u32_e32 v110, -16, v0
	s_movk_i32 s14, 0x1e0
	s_mov_b64 s[4:5], 0
.LBB107_273:                            ; =>This Inner Loop Header: Depth=1
	buffer_load_dword v112, v109, s[0:3], 0 offen
	buffer_load_dword v113, v109, s[0:3], 0 offen offset:4
	v_mov_b32_e32 v111, s14
	ds_read_b64 v[114:115], v111
	v_add_u32_e32 v110, -1, v110
	s_add_i32 s14, s14, 8
	v_cmp_eq_u32_e32 vcc, 0, v110
	v_add_u32_e32 v109, 8, v109
	s_or_b64 s[4:5], vcc, s[4:5]
	s_waitcnt vmcnt(0) lgkmcnt(0)
	v_fmac_f64_e32 v[90:91], v[112:113], v[114:115]
	s_andn2_b64 exec, exec, s[4:5]
	s_cbranch_execnz .LBB107_273
; %bb.274:
	s_or_b64 exec, exec, s[4:5]
.LBB107_275:
	s_or_b64 exec, exec, s[12:13]
	v_mov_b32_e32 v109, 0
	ds_read_b64 v[110:111], v109 offset:120
	s_waitcnt lgkmcnt(0)
	v_mul_f64 v[90:91], v[90:91], v[110:111]
	buffer_store_dword v91, off, s[0:3], 0 offset:124
	buffer_store_dword v90, off, s[0:3], 0 offset:120
.LBB107_276:
	s_or_b64 exec, exec, s[10:11]
	buffer_load_dword v90, off, s[0:3], 0 offset:112
	buffer_load_dword v91, off, s[0:3], 0 offset:116
	v_cmp_lt_u32_e64 s[4:5], 14, v0
	s_waitcnt vmcnt(0)
	ds_write_b64 v92, v[90:91]
	s_waitcnt lgkmcnt(0)
	; wave barrier
	s_waitcnt lgkmcnt(0)
	s_and_saveexec_b64 s[10:11], s[4:5]
	s_cbranch_execz .LBB107_286
; %bb.277:
	s_andn2_b64 vcc, exec, s[8:9]
	s_cbranch_vccnz .LBB107_279
; %bb.278:
	buffer_load_dword v90, v93, s[0:3], 0 offen
	buffer_load_dword v91, v93, s[0:3], 0 offen offset:4
	ds_read_b64 v[110:111], v92
	s_waitcnt vmcnt(0) lgkmcnt(0)
	v_mul_f64 v[90:91], v[90:91], v[110:111]
	s_cbranch_execz .LBB107_280
	s_branch .LBB107_281
.LBB107_279:
                                        ; implicit-def: $vgpr90_vgpr91
.LBB107_280:
	ds_read_b64 v[90:91], v92
.LBB107_281:
	s_and_saveexec_b64 s[12:13], s[6:7]
	s_cbranch_execz .LBB107_285
; %bb.282:
	v_add_u32_e32 v109, -15, v0
	s_movk_i32 s14, 0x1d8
	s_mov_b64 s[6:7], 0
.LBB107_283:                            ; =>This Inner Loop Header: Depth=1
	buffer_load_dword v110, v108, s[0:3], 0 offen
	buffer_load_dword v111, v108, s[0:3], 0 offen offset:4
	v_mov_b32_e32 v112, s14
	ds_read_b64 v[112:113], v112
	v_add_u32_e32 v109, -1, v109
	s_add_i32 s14, s14, 8
	v_cmp_eq_u32_e32 vcc, 0, v109
	v_add_u32_e32 v108, 8, v108
	s_or_b64 s[6:7], vcc, s[6:7]
	s_waitcnt vmcnt(0) lgkmcnt(0)
	v_fmac_f64_e32 v[90:91], v[110:111], v[112:113]
	s_andn2_b64 exec, exec, s[6:7]
	s_cbranch_execnz .LBB107_283
; %bb.284:
	s_or_b64 exec, exec, s[6:7]
.LBB107_285:
	s_or_b64 exec, exec, s[12:13]
	v_mov_b32_e32 v108, 0
	ds_read_b64 v[108:109], v108 offset:112
	s_waitcnt lgkmcnt(0)
	v_mul_f64 v[90:91], v[90:91], v[108:109]
	buffer_store_dword v91, off, s[0:3], 0 offset:116
	buffer_store_dword v90, off, s[0:3], 0 offset:112
.LBB107_286:
	;; [unrolled: 58-line block ×15, first 2 shown]
	s_or_b64 exec, exec, s[10:11]
	buffer_load_dword v90, off, s[0:3], 0
	buffer_load_dword v91, off, s[0:3], 0 offset:4
	v_cmp_ne_u32_e32 vcc, 0, v0
	s_waitcnt vmcnt(0)
	ds_write_b64 v92, v[90:91]
	s_waitcnt lgkmcnt(0)
	; wave barrier
	s_waitcnt lgkmcnt(0)
	s_and_saveexec_b64 s[4:5], vcc
	s_cbranch_execz .LBB107_426
; %bb.417:
	s_andn2_b64 vcc, exec, s[8:9]
	s_cbranch_vccnz .LBB107_419
; %bb.418:
	buffer_load_dword v90, v93, s[0:3], 0 offen
	buffer_load_dword v91, v93, s[0:3], 0 offen offset:4
	ds_read_b64 v[96:97], v92
	s_waitcnt vmcnt(0) lgkmcnt(0)
	v_mul_f64 v[90:91], v[90:91], v[96:97]
	s_cbranch_execz .LBB107_420
	s_branch .LBB107_421
.LBB107_419:
                                        ; implicit-def: $vgpr90_vgpr91
.LBB107_420:
	ds_read_b64 v[90:91], v92
.LBB107_421:
	s_and_saveexec_b64 s[10:11], s[6:7]
	s_cbranch_execz .LBB107_425
; %bb.422:
	v_add_u32_e32 v95, -1, v0
	s_movk_i32 s12, 0x168
	s_mov_b64 s[6:7], 0
.LBB107_423:                            ; =>This Inner Loop Header: Depth=1
	buffer_load_dword v96, v94, s[0:3], 0 offen
	buffer_load_dword v97, v94, s[0:3], 0 offen offset:4
	v_mov_b32_e32 v98, s12
	ds_read_b64 v[98:99], v98
	v_add_u32_e32 v95, -1, v95
	s_add_i32 s12, s12, 8
	v_cmp_eq_u32_e32 vcc, 0, v95
	v_add_u32_e32 v94, 8, v94
	s_or_b64 s[6:7], vcc, s[6:7]
	s_waitcnt vmcnt(0) lgkmcnt(0)
	v_fmac_f64_e32 v[90:91], v[96:97], v[98:99]
	s_andn2_b64 exec, exec, s[6:7]
	s_cbranch_execnz .LBB107_423
; %bb.424:
	s_or_b64 exec, exec, s[6:7]
.LBB107_425:
	s_or_b64 exec, exec, s[10:11]
	v_mov_b32_e32 v94, 0
	ds_read_b64 v[94:95], v94
	s_waitcnt lgkmcnt(0)
	v_mul_f64 v[90:91], v[90:91], v[94:95]
	buffer_store_dword v91, off, s[0:3], 0 offset:4
	buffer_store_dword v90, off, s[0:3], 0
.LBB107_426:
	s_or_b64 exec, exec, s[4:5]
	s_mov_b64 s[4:5], 0
.LBB107_427:
	s_and_b64 vcc, exec, s[4:5]
	s_cbranch_vccz .LBB107_851
; %bb.428:
	buffer_load_dword v90, off, s[0:3], 0 offset:8
	buffer_load_dword v91, off, s[0:3], 0 offset:12
	v_cmp_eq_u32_e64 s[6:7], 0, v0
	s_waitcnt vmcnt(0)
	ds_write_b64 v92, v[90:91]
	s_waitcnt lgkmcnt(0)
	; wave barrier
	s_waitcnt lgkmcnt(0)
	s_and_saveexec_b64 s[4:5], s[6:7]
	s_cbranch_execz .LBB107_434
; %bb.429:
	s_and_b64 vcc, exec, s[8:9]
	s_cbranch_vccz .LBB107_431
; %bb.430:
	buffer_load_dword v90, v93, s[0:3], 0 offen
	buffer_load_dword v91, v93, s[0:3], 0 offen offset:4
	ds_read_b64 v[94:95], v92
	s_waitcnt vmcnt(0) lgkmcnt(0)
	v_mul_f64 v[90:91], v[90:91], v[94:95]
	s_cbranch_execz .LBB107_432
	s_branch .LBB107_433
.LBB107_431:
                                        ; implicit-def: $vgpr90_vgpr91
.LBB107_432:
	ds_read_b64 v[90:91], v92
.LBB107_433:
	v_mov_b32_e32 v94, 0
	ds_read_b64 v[94:95], v94 offset:8
	s_waitcnt lgkmcnt(0)
	v_mul_f64 v[90:91], v[90:91], v[94:95]
	buffer_store_dword v91, off, s[0:3], 0 offset:12
	buffer_store_dword v90, off, s[0:3], 0 offset:8
.LBB107_434:
	s_or_b64 exec, exec, s[4:5]
	buffer_load_dword v90, off, s[0:3], 0 offset:16
	buffer_load_dword v91, off, s[0:3], 0 offset:20
	v_cndmask_b32_e64 v94, 0, 1, s[8:9]
	v_cmp_gt_u32_e32 vcc, 2, v0
	v_cmp_ne_u32_e64 s[4:5], 1, v94
	s_waitcnt vmcnt(0)
	ds_write_b64 v92, v[90:91]
	s_waitcnt lgkmcnt(0)
	; wave barrier
	s_waitcnt lgkmcnt(0)
	s_and_saveexec_b64 s[8:9], vcc
	s_cbranch_execz .LBB107_442
; %bb.435:
	s_and_b64 vcc, exec, s[4:5]
	s_cbranch_vccnz .LBB107_437
; %bb.436:
	buffer_load_dword v90, v93, s[0:3], 0 offen
	buffer_load_dword v91, v93, s[0:3], 0 offen offset:4
	ds_read_b64 v[94:95], v92
	s_waitcnt vmcnt(0) lgkmcnt(0)
	v_mul_f64 v[90:91], v[90:91], v[94:95]
	s_cbranch_execz .LBB107_438
	s_branch .LBB107_439
.LBB107_437:
                                        ; implicit-def: $vgpr90_vgpr91
.LBB107_438:
	ds_read_b64 v[90:91], v92
.LBB107_439:
	s_and_saveexec_b64 s[10:11], s[6:7]
	s_cbranch_execz .LBB107_441
; %bb.440:
	buffer_load_dword v94, v93, s[0:3], 0 offen offset:8
	buffer_load_dword v95, v93, s[0:3], 0 offen offset:12
	ds_read_b64 v[96:97], v92 offset:8
	s_waitcnt vmcnt(0) lgkmcnt(0)
	v_fmac_f64_e32 v[90:91], v[94:95], v[96:97]
.LBB107_441:
	s_or_b64 exec, exec, s[10:11]
	v_mov_b32_e32 v94, 0
	ds_read_b64 v[94:95], v94 offset:16
	s_waitcnt lgkmcnt(0)
	v_mul_f64 v[90:91], v[90:91], v[94:95]
	buffer_store_dword v91, off, s[0:3], 0 offset:20
	buffer_store_dword v90, off, s[0:3], 0 offset:16
.LBB107_442:
	s_or_b64 exec, exec, s[8:9]
	buffer_load_dword v90, off, s[0:3], 0 offset:24
	buffer_load_dword v91, off, s[0:3], 0 offset:28
	v_cmp_gt_u32_e32 vcc, 3, v0
	s_waitcnt vmcnt(0)
	ds_write_b64 v92, v[90:91]
	s_waitcnt lgkmcnt(0)
	; wave barrier
	s_waitcnt lgkmcnt(0)
	s_and_saveexec_b64 s[8:9], vcc
	s_cbranch_execz .LBB107_450
; %bb.443:
	s_and_b64 vcc, exec, s[4:5]
	s_cbranch_vccnz .LBB107_445
; %bb.444:
	buffer_load_dword v90, v93, s[0:3], 0 offen
	buffer_load_dword v91, v93, s[0:3], 0 offen offset:4
	ds_read_b64 v[94:95], v92
	s_waitcnt vmcnt(0) lgkmcnt(0)
	v_mul_f64 v[90:91], v[90:91], v[94:95]
	s_cbranch_execz .LBB107_446
	s_branch .LBB107_447
.LBB107_445:
                                        ; implicit-def: $vgpr90_vgpr91
.LBB107_446:
	ds_read_b64 v[90:91], v92
.LBB107_447:
	v_cmp_ne_u32_e32 vcc, 2, v0
	s_and_saveexec_b64 s[10:11], vcc
	s_cbranch_execz .LBB107_449
; %bb.448:
	buffer_load_dword v95, v93, s[0:3], 0 offen offset:12
	buffer_load_dword v96, off, s[0:3], 0 offset:16
	buffer_load_dword v94, v93, s[0:3], 0 offen offset:8
	buffer_load_dword v97, off, s[0:3], 0 offset:20
	v_mov_b32_e32 v100, 0
	ds_read_b64 v[98:99], v92 offset:8
	ds_read_b64 v[100:101], v100 offset:368
	s_waitcnt vmcnt(1) lgkmcnt(1)
	v_fmac_f64_e32 v[90:91], v[94:95], v[98:99]
	s_waitcnt vmcnt(0) lgkmcnt(0)
	v_fma_f64 v[94:95], v[96:97], v[100:101], v[90:91]
	v_cndmask_b32_e64 v91, v91, v95, s[6:7]
	v_cndmask_b32_e64 v90, v90, v94, s[6:7]
.LBB107_449:
	s_or_b64 exec, exec, s[10:11]
	v_mov_b32_e32 v94, 0
	ds_read_b64 v[94:95], v94 offset:24
	s_waitcnt lgkmcnt(0)
	v_mul_f64 v[90:91], v[90:91], v[94:95]
	buffer_store_dword v91, off, s[0:3], 0 offset:28
	buffer_store_dword v90, off, s[0:3], 0 offset:24
.LBB107_450:
	s_or_b64 exec, exec, s[8:9]
	buffer_load_dword v90, off, s[0:3], 0 offset:32
	buffer_load_dword v91, off, s[0:3], 0 offset:36
	v_cmp_gt_u32_e32 vcc, 4, v0
	s_waitcnt vmcnt(0)
	ds_write_b64 v92, v[90:91]
	s_waitcnt lgkmcnt(0)
	; wave barrier
	s_waitcnt lgkmcnt(0)
	s_and_saveexec_b64 s[6:7], vcc
	s_cbranch_execz .LBB107_460
; %bb.451:
	s_and_b64 vcc, exec, s[4:5]
	s_cbranch_vccnz .LBB107_453
; %bb.452:
	buffer_load_dword v90, v93, s[0:3], 0 offen
	buffer_load_dword v91, v93, s[0:3], 0 offen offset:4
	ds_read_b64 v[94:95], v92
	s_waitcnt vmcnt(0) lgkmcnt(0)
	v_mul_f64 v[90:91], v[90:91], v[94:95]
	s_cbranch_execz .LBB107_454
	s_branch .LBB107_455
.LBB107_453:
                                        ; implicit-def: $vgpr90_vgpr91
.LBB107_454:
	ds_read_b64 v[90:91], v92
.LBB107_455:
	v_cmp_ne_u32_e32 vcc, 3, v0
	s_and_saveexec_b64 s[8:9], vcc
	s_cbranch_execz .LBB107_459
; %bb.456:
	v_mov_b32_e32 v95, 0
	v_add_u32_e32 v94, 0x168, v1
	v_add3_u32 v95, v1, v95, 8
	s_mov_b64 s[10:11], 0
	v_mov_b32_e32 v96, v0
.LBB107_457:                            ; =>This Inner Loop Header: Depth=1
	buffer_load_dword v98, v95, s[0:3], 0 offen
	buffer_load_dword v99, v95, s[0:3], 0 offen offset:4
	ds_read_b64 v[100:101], v94
	v_add_u32_e32 v96, 1, v96
	v_cmp_lt_u32_e32 vcc, 2, v96
	v_add_u32_e32 v94, 8, v94
	v_add_u32_e32 v95, 8, v95
	s_or_b64 s[10:11], vcc, s[10:11]
	s_waitcnt vmcnt(0) lgkmcnt(0)
	v_fmac_f64_e32 v[90:91], v[98:99], v[100:101]
	s_andn2_b64 exec, exec, s[10:11]
	s_cbranch_execnz .LBB107_457
; %bb.458:
	s_or_b64 exec, exec, s[10:11]
.LBB107_459:
	s_or_b64 exec, exec, s[8:9]
	v_mov_b32_e32 v94, 0
	ds_read_b64 v[94:95], v94 offset:32
	s_waitcnt lgkmcnt(0)
	v_mul_f64 v[90:91], v[90:91], v[94:95]
	buffer_store_dword v91, off, s[0:3], 0 offset:36
	buffer_store_dword v90, off, s[0:3], 0 offset:32
.LBB107_460:
	s_or_b64 exec, exec, s[6:7]
	buffer_load_dword v90, off, s[0:3], 0 offset:40
	buffer_load_dword v91, off, s[0:3], 0 offset:44
	v_cmp_gt_u32_e32 vcc, 5, v0
	s_waitcnt vmcnt(0)
	ds_write_b64 v92, v[90:91]
	s_waitcnt lgkmcnt(0)
	; wave barrier
	s_waitcnt lgkmcnt(0)
	s_and_saveexec_b64 s[6:7], vcc
	s_cbranch_execz .LBB107_470
; %bb.461:
	s_and_b64 vcc, exec, s[4:5]
	s_cbranch_vccnz .LBB107_463
; %bb.462:
	buffer_load_dword v90, v93, s[0:3], 0 offen
	buffer_load_dword v91, v93, s[0:3], 0 offen offset:4
	ds_read_b64 v[94:95], v92
	s_waitcnt vmcnt(0) lgkmcnt(0)
	v_mul_f64 v[90:91], v[90:91], v[94:95]
	s_cbranch_execz .LBB107_464
	s_branch .LBB107_465
.LBB107_463:
                                        ; implicit-def: $vgpr90_vgpr91
.LBB107_464:
	ds_read_b64 v[90:91], v92
.LBB107_465:
	v_cmp_ne_u32_e32 vcc, 4, v0
	s_and_saveexec_b64 s[8:9], vcc
	s_cbranch_execz .LBB107_469
; %bb.466:
	v_mov_b32_e32 v95, 0
	v_add_u32_e32 v94, 0x168, v1
	v_add3_u32 v95, v1, v95, 8
	s_mov_b64 s[10:11], 0
	v_mov_b32_e32 v96, v0
.LBB107_467:                            ; =>This Inner Loop Header: Depth=1
	buffer_load_dword v98, v95, s[0:3], 0 offen
	buffer_load_dword v99, v95, s[0:3], 0 offen offset:4
	ds_read_b64 v[100:101], v94
	v_add_u32_e32 v96, 1, v96
	v_cmp_lt_u32_e32 vcc, 3, v96
	v_add_u32_e32 v94, 8, v94
	v_add_u32_e32 v95, 8, v95
	s_or_b64 s[10:11], vcc, s[10:11]
	s_waitcnt vmcnt(0) lgkmcnt(0)
	v_fmac_f64_e32 v[90:91], v[98:99], v[100:101]
	s_andn2_b64 exec, exec, s[10:11]
	s_cbranch_execnz .LBB107_467
; %bb.468:
	s_or_b64 exec, exec, s[10:11]
.LBB107_469:
	s_or_b64 exec, exec, s[8:9]
	v_mov_b32_e32 v94, 0
	ds_read_b64 v[94:95], v94 offset:40
	s_waitcnt lgkmcnt(0)
	v_mul_f64 v[90:91], v[90:91], v[94:95]
	buffer_store_dword v91, off, s[0:3], 0 offset:44
	buffer_store_dword v90, off, s[0:3], 0 offset:40
.LBB107_470:
	;; [unrolled: 60-line block ×38, first 2 shown]
	s_or_b64 exec, exec, s[6:7]
	buffer_load_dword v90, off, s[0:3], 0 offset:336
	buffer_load_dword v91, off, s[0:3], 0 offset:340
	v_cmp_gt_u32_e64 s[6:7], 42, v0
	s_waitcnt vmcnt(0)
	ds_write_b64 v92, v[90:91]
	s_waitcnt lgkmcnt(0)
	; wave barrier
	s_waitcnt lgkmcnt(0)
	s_and_saveexec_b64 s[8:9], s[6:7]
	s_cbranch_execz .LBB107_840
; %bb.831:
	s_and_b64 vcc, exec, s[4:5]
	s_cbranch_vccnz .LBB107_833
; %bb.832:
	buffer_load_dword v90, v93, s[0:3], 0 offen
	buffer_load_dword v91, v93, s[0:3], 0 offen offset:4
	ds_read_b64 v[94:95], v92
	s_waitcnt vmcnt(0) lgkmcnt(0)
	v_mul_f64 v[90:91], v[90:91], v[94:95]
	s_cbranch_execz .LBB107_834
	s_branch .LBB107_835
.LBB107_833:
                                        ; implicit-def: $vgpr90_vgpr91
.LBB107_834:
	ds_read_b64 v[90:91], v92
.LBB107_835:
	v_cmp_ne_u32_e32 vcc, 41, v0
	s_and_saveexec_b64 s[10:11], vcc
	s_cbranch_execz .LBB107_839
; %bb.836:
	v_mov_b32_e32 v95, 0
	v_add_u32_e32 v94, 0x168, v1
	v_add3_u32 v95, v1, v95, 8
	s_mov_b64 s[12:13], 0
	v_mov_b32_e32 v96, v0
.LBB107_837:                            ; =>This Inner Loop Header: Depth=1
	buffer_load_dword v98, v95, s[0:3], 0 offen
	buffer_load_dword v99, v95, s[0:3], 0 offen offset:4
	ds_read_b64 v[100:101], v94
	v_add_u32_e32 v96, 1, v96
	v_cmp_lt_u32_e32 vcc, 40, v96
	v_add_u32_e32 v94, 8, v94
	v_add_u32_e32 v95, 8, v95
	s_or_b64 s[12:13], vcc, s[12:13]
	s_waitcnt vmcnt(0) lgkmcnt(0)
	v_fmac_f64_e32 v[90:91], v[98:99], v[100:101]
	s_andn2_b64 exec, exec, s[12:13]
	s_cbranch_execnz .LBB107_837
; %bb.838:
	s_or_b64 exec, exec, s[12:13]
.LBB107_839:
	s_or_b64 exec, exec, s[10:11]
	v_mov_b32_e32 v94, 0
	ds_read_b64 v[94:95], v94 offset:336
	s_waitcnt lgkmcnt(0)
	v_mul_f64 v[90:91], v[90:91], v[94:95]
	buffer_store_dword v91, off, s[0:3], 0 offset:340
	buffer_store_dword v90, off, s[0:3], 0 offset:336
.LBB107_840:
	s_or_b64 exec, exec, s[8:9]
	buffer_load_dword v90, off, s[0:3], 0 offset:344
	buffer_load_dword v91, off, s[0:3], 0 offset:348
	v_cmp_ne_u32_e32 vcc, 43, v0
	s_waitcnt vmcnt(0)
	ds_write_b64 v92, v[90:91]
	s_waitcnt lgkmcnt(0)
	; wave barrier
	s_waitcnt lgkmcnt(0)
	s_and_saveexec_b64 s[8:9], vcc
	s_cbranch_execz .LBB107_850
; %bb.841:
	s_and_b64 vcc, exec, s[4:5]
	s_cbranch_vccnz .LBB107_843
; %bb.842:
	buffer_load_dword v90, v93, s[0:3], 0 offen
	buffer_load_dword v91, v93, s[0:3], 0 offen offset:4
	ds_read_b64 v[94:95], v92
	s_waitcnt vmcnt(0) lgkmcnt(0)
	v_mul_f64 v[90:91], v[90:91], v[94:95]
	s_cbranch_execz .LBB107_844
	s_branch .LBB107_845
.LBB107_843:
                                        ; implicit-def: $vgpr90_vgpr91
.LBB107_844:
	ds_read_b64 v[90:91], v92
.LBB107_845:
	s_and_saveexec_b64 s[4:5], s[6:7]
	s_cbranch_execz .LBB107_849
; %bb.846:
	v_mov_b32_e32 v93, 0
	v_add_u32_e32 v92, 0x168, v1
	v_add3_u32 v1, v1, v93, 8
	s_mov_b64 s[6:7], 0
.LBB107_847:                            ; =>This Inner Loop Header: Depth=1
	buffer_load_dword v94, v1, s[0:3], 0 offen
	buffer_load_dword v95, v1, s[0:3], 0 offen offset:4
	ds_read_b64 v[96:97], v92
	v_add_u32_e32 v0, 1, v0
	v_cmp_lt_u32_e32 vcc, 41, v0
	v_add_u32_e32 v92, 8, v92
	v_add_u32_e32 v1, 8, v1
	s_or_b64 s[6:7], vcc, s[6:7]
	s_waitcnt vmcnt(0) lgkmcnt(0)
	v_fmac_f64_e32 v[90:91], v[94:95], v[96:97]
	s_andn2_b64 exec, exec, s[6:7]
	s_cbranch_execnz .LBB107_847
; %bb.848:
	s_or_b64 exec, exec, s[6:7]
.LBB107_849:
	s_or_b64 exec, exec, s[4:5]
	v_mov_b32_e32 v0, 0
	ds_read_b64 v[0:1], v0 offset:344
	s_waitcnt lgkmcnt(0)
	v_mul_f64 v[0:1], v[90:91], v[0:1]
	buffer_store_dword v1, off, s[0:3], 0 offset:348
	buffer_store_dword v0, off, s[0:3], 0 offset:344
.LBB107_850:
	s_or_b64 exec, exec, s[8:9]
.LBB107_851:
	buffer_load_dword v0, off, s[0:3], 0
	buffer_load_dword v1, off, s[0:3], 0 offset:4
	buffer_load_dword v90, off, s[0:3], 0 offset:8
	;; [unrolled: 1-line block ×15, first 2 shown]
	s_waitcnt vmcnt(14)
	global_store_dwordx2 v[86:87], v[0:1], off
	s_waitcnt vmcnt(13)
	global_store_dwordx2 v[88:89], v[90:91], off
	s_waitcnt vmcnt(12)
	global_store_dwordx2 v[2:3], v[92:93], off
	s_waitcnt vmcnt(11)
	global_store_dwordx2 v[4:5], v[94:95], off
	s_waitcnt vmcnt(10)
	global_store_dwordx2 v[6:7], v[96:97], off
	s_waitcnt vmcnt(9)
	global_store_dwordx2 v[8:9], v[98:99], off
	s_waitcnt vmcnt(8)
	global_store_dwordx2 v[10:11], v[100:101], off
	s_waitcnt vmcnt(7)
	global_store_dwordx2 v[14:15], v[102:103], off
	buffer_load_dword v1, off, s[0:3], 0 offset:68
	buffer_load_dword v0, off, s[0:3], 0 offset:64
	s_waitcnt vmcnt(0)
	global_store_dwordx2 v[20:21], v[0:1], off
	buffer_load_dword v0, off, s[0:3], 0 offset:72
	s_nop 0
	buffer_load_dword v1, off, s[0:3], 0 offset:76
	s_waitcnt vmcnt(0)
	global_store_dwordx2 v[12:13], v[0:1], off
	buffer_load_dword v0, off, s[0:3], 0 offset:80
	s_nop 0
	;; [unrolled: 5-line block ×35, first 2 shown]
	buffer_load_dword v1, off, s[0:3], 0 offset:348
	s_waitcnt vmcnt(0)
	global_store_dwordx2 v[82:83], v[0:1], off
.LBB107_852:
	s_endpgm
	.section	.rodata,"a",@progbits
	.p2align	6, 0x0
	.amdhsa_kernel _ZN9rocsolver6v33100L18trti2_kernel_smallILi44EdPKPdEEv13rocblas_fill_17rocblas_diagonal_T1_iil
		.amdhsa_group_segment_fixed_size 704
		.amdhsa_private_segment_fixed_size 368
		.amdhsa_kernarg_size 32
		.amdhsa_user_sgpr_count 8
		.amdhsa_user_sgpr_private_segment_buffer 1
		.amdhsa_user_sgpr_dispatch_ptr 0
		.amdhsa_user_sgpr_queue_ptr 0
		.amdhsa_user_sgpr_kernarg_segment_ptr 1
		.amdhsa_user_sgpr_dispatch_id 0
		.amdhsa_user_sgpr_flat_scratch_init 1
		.amdhsa_user_sgpr_kernarg_preload_length 0
		.amdhsa_user_sgpr_kernarg_preload_offset 0
		.amdhsa_user_sgpr_private_segment_size 0
		.amdhsa_uses_dynamic_stack 0
		.amdhsa_system_sgpr_private_segment_wavefront_offset 1
		.amdhsa_system_sgpr_workgroup_id_x 1
		.amdhsa_system_sgpr_workgroup_id_y 0
		.amdhsa_system_sgpr_workgroup_id_z 0
		.amdhsa_system_sgpr_workgroup_info 0
		.amdhsa_system_vgpr_workitem_id 0
		.amdhsa_next_free_vgpr 164
		.amdhsa_next_free_sgpr 16
		.amdhsa_accum_offset 164
		.amdhsa_reserve_vcc 1
		.amdhsa_reserve_flat_scratch 0
		.amdhsa_float_round_mode_32 0
		.amdhsa_float_round_mode_16_64 0
		.amdhsa_float_denorm_mode_32 3
		.amdhsa_float_denorm_mode_16_64 3
		.amdhsa_dx10_clamp 1
		.amdhsa_ieee_mode 1
		.amdhsa_fp16_overflow 0
		.amdhsa_tg_split 0
		.amdhsa_exception_fp_ieee_invalid_op 0
		.amdhsa_exception_fp_denorm_src 0
		.amdhsa_exception_fp_ieee_div_zero 0
		.amdhsa_exception_fp_ieee_overflow 0
		.amdhsa_exception_fp_ieee_underflow 0
		.amdhsa_exception_fp_ieee_inexact 0
		.amdhsa_exception_int_div_zero 0
	.end_amdhsa_kernel
	.section	.text._ZN9rocsolver6v33100L18trti2_kernel_smallILi44EdPKPdEEv13rocblas_fill_17rocblas_diagonal_T1_iil,"axG",@progbits,_ZN9rocsolver6v33100L18trti2_kernel_smallILi44EdPKPdEEv13rocblas_fill_17rocblas_diagonal_T1_iil,comdat
.Lfunc_end107:
	.size	_ZN9rocsolver6v33100L18trti2_kernel_smallILi44EdPKPdEEv13rocblas_fill_17rocblas_diagonal_T1_iil, .Lfunc_end107-_ZN9rocsolver6v33100L18trti2_kernel_smallILi44EdPKPdEEv13rocblas_fill_17rocblas_diagonal_T1_iil
                                        ; -- End function
	.section	.AMDGPU.csdata,"",@progbits
; Kernel info:
; codeLenInByte = 25744
; NumSgprs: 20
; NumVgprs: 164
; NumAgprs: 0
; TotalNumVgprs: 164
; ScratchSize: 368
; MemoryBound: 0
; FloatMode: 240
; IeeeMode: 1
; LDSByteSize: 704 bytes/workgroup (compile time only)
; SGPRBlocks: 2
; VGPRBlocks: 20
; NumSGPRsForWavesPerEU: 20
; NumVGPRsForWavesPerEU: 164
; AccumOffset: 164
; Occupancy: 3
; WaveLimiterHint : 1
; COMPUTE_PGM_RSRC2:SCRATCH_EN: 1
; COMPUTE_PGM_RSRC2:USER_SGPR: 8
; COMPUTE_PGM_RSRC2:TRAP_HANDLER: 0
; COMPUTE_PGM_RSRC2:TGID_X_EN: 1
; COMPUTE_PGM_RSRC2:TGID_Y_EN: 0
; COMPUTE_PGM_RSRC2:TGID_Z_EN: 0
; COMPUTE_PGM_RSRC2:TIDIG_COMP_CNT: 0
; COMPUTE_PGM_RSRC3_GFX90A:ACCUM_OFFSET: 40
; COMPUTE_PGM_RSRC3_GFX90A:TG_SPLIT: 0
	.section	.text._ZN9rocsolver6v33100L18trti2_kernel_smallILi45EdPKPdEEv13rocblas_fill_17rocblas_diagonal_T1_iil,"axG",@progbits,_ZN9rocsolver6v33100L18trti2_kernel_smallILi45EdPKPdEEv13rocblas_fill_17rocblas_diagonal_T1_iil,comdat
	.globl	_ZN9rocsolver6v33100L18trti2_kernel_smallILi45EdPKPdEEv13rocblas_fill_17rocblas_diagonal_T1_iil ; -- Begin function _ZN9rocsolver6v33100L18trti2_kernel_smallILi45EdPKPdEEv13rocblas_fill_17rocblas_diagonal_T1_iil
	.p2align	8
	.type	_ZN9rocsolver6v33100L18trti2_kernel_smallILi45EdPKPdEEv13rocblas_fill_17rocblas_diagonal_T1_iil,@function
_ZN9rocsolver6v33100L18trti2_kernel_smallILi45EdPKPdEEv13rocblas_fill_17rocblas_diagonal_T1_iil: ; @_ZN9rocsolver6v33100L18trti2_kernel_smallILi45EdPKPdEEv13rocblas_fill_17rocblas_diagonal_T1_iil
; %bb.0:
	s_add_u32 s0, s0, s9
	s_addc_u32 s1, s1, 0
	v_cmp_gt_u32_e32 vcc, 45, v0
	s_and_saveexec_b64 s[6:7], vcc
	s_cbranch_execz .LBB108_872
; %bb.1:
	s_load_dwordx2 s[6:7], s[4:5], 0x10
	s_load_dwordx4 s[12:15], s[4:5], 0x0
	s_ashr_i32 s9, s8, 31
	s_lshl_b64 s[4:5], s[8:9], 3
	s_waitcnt lgkmcnt(0)
	s_ashr_i32 s9, s6, 31
	s_add_u32 s4, s14, s4
	s_addc_u32 s5, s15, s5
	s_load_dwordx2 s[4:5], s[4:5], 0x0
	s_mov_b32 s8, s6
	s_lshl_b64 s[8:9], s[8:9], 3
	s_waitcnt lgkmcnt(0)
	s_add_u32 s4, s4, s8
	s_addc_u32 s5, s5, s9
	s_add_i32 s6, s7, s7
	v_add_u32_e32 v4, s6, v0
	v_ashrrev_i32_e32 v5, 31, v4
	v_lshlrev_b64 v[2:3], 3, v[4:5]
	v_add_u32_e32 v6, s7, v4
	v_mov_b32_e32 v1, s5
	v_add_co_u32_e32 v2, vcc, s4, v2
	v_ashrrev_i32_e32 v7, 31, v6
	v_addc_co_u32_e32 v3, vcc, v1, v3, vcc
	v_lshlrev_b64 v[4:5], 3, v[6:7]
	v_add_u32_e32 v8, s7, v6
	v_add_co_u32_e32 v4, vcc, s4, v4
	v_ashrrev_i32_e32 v9, 31, v8
	v_addc_co_u32_e32 v5, vcc, v1, v5, vcc
	v_lshlrev_b64 v[6:7], 3, v[8:9]
	v_add_u32_e32 v10, s7, v8
	v_add_co_u32_e32 v6, vcc, s4, v6
	v_ashrrev_i32_e32 v11, 31, v10
	v_addc_co_u32_e32 v7, vcc, v1, v7, vcc
	v_lshlrev_b64 v[8:9], 3, v[10:11]
	v_add_u32_e32 v12, s7, v10
	v_add_co_u32_e32 v8, vcc, s4, v8
	v_ashrrev_i32_e32 v13, 31, v12
	v_addc_co_u32_e32 v9, vcc, v1, v9, vcc
	v_lshlrev_b64 v[10:11], 3, v[12:13]
	v_add_u32_e32 v12, s7, v12
	v_add_co_u32_e32 v10, vcc, s4, v10
	v_ashrrev_i32_e32 v13, 31, v12
	v_addc_co_u32_e32 v11, vcc, v1, v11, vcc
	v_lshlrev_b64 v[14:15], 3, v[12:13]
	v_add_u32_e32 v12, s7, v12
	v_add_co_u32_e32 v14, vcc, s4, v14
	v_ashrrev_i32_e32 v13, 31, v12
	v_addc_co_u32_e32 v15, vcc, v1, v15, vcc
	v_lshlrev_b64 v[16:17], 3, v[12:13]
	v_add_co_u32_e32 v20, vcc, s4, v16
	v_add_u32_e32 v16, s7, v12
	v_addc_co_u32_e32 v21, vcc, v1, v17, vcc
	v_ashrrev_i32_e32 v17, 31, v16
	v_lshlrev_b64 v[12:13], 3, v[16:17]
	v_add_u32_e32 v18, s7, v16
	v_add_co_u32_e32 v12, vcc, s4, v12
	v_ashrrev_i32_e32 v19, 31, v18
	v_addc_co_u32_e32 v13, vcc, v1, v13, vcc
	v_lshlrev_b64 v[16:17], 3, v[18:19]
	v_add_u32_e32 v22, s7, v18
	v_add_co_u32_e32 v16, vcc, s4, v16
	v_ashrrev_i32_e32 v23, 31, v22
	v_addc_co_u32_e32 v17, vcc, v1, v17, vcc
	;; [unrolled: 5-line block ×28, first 2 shown]
	v_lshlrev_b64 v[72:73], 3, v[74:75]
	v_add_co_u32_e32 v72, vcc, s4, v72
	v_add_u32_e32 v76, s7, v74
	v_addc_co_u32_e32 v73, vcc, v1, v73, vcc
	v_ashrrev_i32_e32 v77, 31, v76
	v_lshlrev_b32_e32 v1, 3, v0
	v_lshlrev_b64 v[74:75], 3, v[76:77]
	global_load_dwordx2 v[92:93], v1, s[4:5]
	global_load_dwordx2 v[96:97], v[2:3], off
	v_mov_b32_e32 v77, s5
	v_add_co_u32_e32 v88, vcc, s4, v1
	s_ashr_i32 s9, s7, 31
	s_mov_b32 s8, s7
	v_addc_co_u32_e32 v89, vcc, 0, v77, vcc
	s_lshl_b64 s[8:9], s[8:9], 3
	v_mov_b32_e32 v77, s9
	v_add_co_u32_e32 v90, vcc, s8, v88
	v_addc_co_u32_e32 v91, vcc, v89, v77, vcc
	global_load_dwordx2 v[94:95], v[90:91], off
	global_load_dwordx2 v[98:99], v[4:5], off
	;; [unrolled: 1-line block ×6, first 2 shown]
	v_mov_b32_e32 v78, s5
	v_add_co_u32_e32 v74, vcc, s4, v74
	v_addc_co_u32_e32 v75, vcc, v78, v75, vcc
	v_add_u32_e32 v78, s7, v76
	v_ashrrev_i32_e32 v79, 31, v78
	v_lshlrev_b64 v[76:77], 3, v[78:79]
	v_mov_b32_e32 v80, s5
	v_add_co_u32_e32 v76, vcc, s4, v76
	v_addc_co_u32_e32 v77, vcc, v80, v77, vcc
	v_add_u32_e32 v80, s7, v78
	global_load_dwordx2 v[106:107], v[14:15], off
	v_ashrrev_i32_e32 v81, 31, v80
	v_lshlrev_b64 v[78:79], 3, v[80:81]
	v_mov_b32_e32 v82, s5
	v_add_co_u32_e32 v78, vcc, s4, v78
	v_addc_co_u32_e32 v79, vcc, v82, v79, vcc
	v_add_u32_e32 v82, s7, v80
	global_load_dwordx2 v[108:109], v[20:21], off
	global_load_dwordx2 v[116:117], v[22:23], off
	v_ashrrev_i32_e32 v83, 31, v82
	v_lshlrev_b64 v[80:81], 3, v[82:83]
	v_mov_b32_e32 v84, s5
	v_add_co_u32_e32 v80, vcc, s4, v80
	v_addc_co_u32_e32 v81, vcc, v84, v81, vcc
	v_add_u32_e32 v84, s7, v82
	v_ashrrev_i32_e32 v85, 31, v84
	v_lshlrev_b64 v[82:83], 3, v[84:85]
	v_add_u32_e32 v84, s7, v84
	v_mov_b32_e32 v86, s5
	v_add_co_u32_e32 v82, vcc, s4, v82
	v_ashrrev_i32_e32 v85, 31, v84
	v_addc_co_u32_e32 v83, vcc, v86, v83, vcc
	v_lshlrev_b64 v[86:87], 3, v[84:85]
	v_mov_b32_e32 v128, s5
	v_add_co_u32_e32 v86, vcc, s4, v86
	global_load_dwordx2 v[112:113], v[16:17], off
	global_load_dwordx2 v[114:115], v[18:19], off
	;; [unrolled: 1-line block ×7, first 2 shown]
	v_addc_co_u32_e32 v87, vcc, v128, v87, vcc
	global_load_dwordx2 v[128:129], v[34:35], off
	global_load_dwordx2 v[130:131], v[36:37], off
	;; [unrolled: 1-line block ×8, first 2 shown]
	v_add_u32_e32 v84, s7, v84
	v_ashrrev_i32_e32 v85, 31, v84
	v_lshlrev_b64 v[84:85], 3, v[84:85]
	v_mov_b32_e32 v144, s5
	v_add_co_u32_e32 v84, vcc, s4, v84
	v_addc_co_u32_e32 v85, vcc, v144, v85, vcc
	global_load_dwordx2 v[144:145], v[50:51], off
	global_load_dwordx2 v[146:147], v[52:53], off
	;; [unrolled: 1-line block ×10, first 2 shown]
	s_cmpk_lg_i32 s13, 0x84
	s_waitcnt vmcnt(35)
	buffer_store_dword v93, off, s[0:3], 0 offset:4
	buffer_store_dword v92, off, s[0:3], 0
	global_load_dwordx2 v[92:93], v[54:55], off
	s_cselect_b64 s[8:9], -1, 0
	s_waitcnt vmcnt(36)
	buffer_store_dword v95, off, s[0:3], 0 offset:12
	buffer_store_dword v94, off, s[0:3], 0 offset:8
	global_load_dwordx2 v[94:95], v[58:59], off
	s_cmpk_eq_i32 s13, 0x84
	buffer_store_dword v97, off, s[0:3], 0 offset:20
	buffer_store_dword v96, off, s[0:3], 0 offset:16
	global_load_dwordx2 v[96:97], v[62:63], off
	s_waitcnt vmcnt(41)
	buffer_store_dword v99, off, s[0:3], 0 offset:28
	buffer_store_dword v98, off, s[0:3], 0 offset:24
	global_load_dwordx2 v[98:99], v[66:67], off
	s_waitcnt vmcnt(43)
	;; [unrolled: 4-line block ×6, first 2 shown]
	buffer_store_dword v109, off, s[0:3], 0 offset:68
	buffer_store_dword v108, off, s[0:3], 0 offset:64
	global_load_dwordx2 v[108:109], v[84:85], off
	s_nop 0
	buffer_store_dword v110, off, s[0:3], 0 offset:72
	buffer_store_dword v111, off, s[0:3], 0 offset:76
	s_waitcnt vmcnt(53)
	buffer_store_dword v112, off, s[0:3], 0 offset:80
	buffer_store_dword v113, off, s[0:3], 0 offset:84
	s_waitcnt vmcnt(54)
	buffer_store_dword v114, off, s[0:3], 0 offset:88
	buffer_store_dword v115, off, s[0:3], 0 offset:92
	;; [unrolled: 1-line block ×4, first 2 shown]
	s_waitcnt vmcnt(57)
	buffer_store_dword v118, off, s[0:3], 0 offset:104
	buffer_store_dword v119, off, s[0:3], 0 offset:108
	s_waitcnt vmcnt(58)
	buffer_store_dword v121, off, s[0:3], 0 offset:116
	buffer_store_dword v120, off, s[0:3], 0 offset:112
	;; [unrolled: 3-line block ×7, first 2 shown]
	buffer_store_dword v133, off, s[0:3], 0 offset:164
	buffer_store_dword v132, off, s[0:3], 0 offset:160
	s_waitcnt vmcnt(62)
	buffer_store_dword v134, off, s[0:3], 0 offset:168
	buffer_store_dword v135, off, s[0:3], 0 offset:172
	;; [unrolled: 1-line block ×8, first 2 shown]
	s_waitcnt vmcnt(62)
	buffer_store_dword v143, off, s[0:3], 0 offset:204
	buffer_store_dword v142, off, s[0:3], 0 offset:200
	;; [unrolled: 1-line block ×6, first 2 shown]
	s_waitcnt vmcnt(62)
	buffer_store_dword v92, off, s[0:3], 0 offset:224
	buffer_store_dword v93, off, s[0:3], 0 offset:228
	buffer_store_dword v148, off, s[0:3], 0 offset:232
	buffer_store_dword v149, off, s[0:3], 0 offset:236
	s_waitcnt vmcnt(62)
	buffer_store_dword v94, off, s[0:3], 0 offset:240
	buffer_store_dword v95, off, s[0:3], 0 offset:244
	buffer_store_dword v151, off, s[0:3], 0 offset:252
	buffer_store_dword v150, off, s[0:3], 0 offset:248
	;; [unrolled: 5-line block ×4, first 2 shown]
	buffer_store_dword v100, off, s[0:3], 0 offset:288
	buffer_store_dword v101, off, s[0:3], 0 offset:292
	;; [unrolled: 1-line block ×4, first 2 shown]
	s_waitcnt vmcnt(62)
	buffer_store_dword v103, off, s[0:3], 0 offset:308
	buffer_store_dword v102, off, s[0:3], 0 offset:304
	;; [unrolled: 1-line block ×8, first 2 shown]
	s_waitcnt vmcnt(62)
	buffer_store_dword v106, off, s[0:3], 0 offset:336
	buffer_store_dword v107, off, s[0:3], 0 offset:340
	;; [unrolled: 1-line block ×6, first 2 shown]
	v_mov_b32_e32 v92, 0
	v_mov_b32_e32 v137, 0
	v_mov_b32_e32 v93, 0xbff00000
	s_cbranch_scc1 .LBB108_3
; %bb.2:
	v_lshl_add_u32 v102, v0, 3, v137
	buffer_load_dword v92, v102, s[0:3], 0 offen
	buffer_load_dword v93, v102, s[0:3], 0 offen offset:4
	s_waitcnt vmcnt(0)
	v_div_scale_f64 v[94:95], s[4:5], v[92:93], v[92:93], 1.0
	v_rcp_f64_e32 v[96:97], v[94:95]
	v_div_scale_f64 v[98:99], vcc, 1.0, v[92:93], 1.0
	v_fma_f64 v[100:101], -v[94:95], v[96:97], 1.0
	v_fmac_f64_e32 v[96:97], v[96:97], v[100:101]
	v_fma_f64 v[100:101], -v[94:95], v[96:97], 1.0
	v_fmac_f64_e32 v[96:97], v[96:97], v[100:101]
	v_mul_f64 v[100:101], v[98:99], v[96:97]
	v_fma_f64 v[94:95], -v[94:95], v[100:101], v[98:99]
	v_div_fmas_f64 v[94:95], v[94:95], v[96:97], v[100:101]
	v_div_fixup_f64 v[92:93], v[94:95], v[92:93], 1.0
	buffer_store_dword v92, v102, s[0:3], 0 offen
	buffer_store_dword v93, v102, s[0:3], 0 offen offset:4
	v_xor_b32_e32 v93, 0x80000000, v93
.LBB108_3:
	s_cmpk_eq_i32 s12, 0x79
	v_add_u32_e32 v94, 0x170, v1
	v_add_u32_e32 v95, 0, v1
	s_mov_b64 s[4:5], -1
	ds_write_b64 v1, v[92:93]
	s_cbranch_scc1 .LBB108_437
; %bb.4:
	buffer_load_dword v92, off, s[0:3], 0 offset:344
	buffer_load_dword v93, off, s[0:3], 0 offset:348
	v_cmp_eq_u32_e64 s[4:5], 44, v0
	s_waitcnt vmcnt(0)
	ds_write_b64 v94, v[92:93]
	s_waitcnt lgkmcnt(0)
	; wave barrier
	s_waitcnt lgkmcnt(0)
	s_and_saveexec_b64 s[6:7], s[4:5]
	s_cbranch_execz .LBB108_10
; %bb.5:
	s_and_b64 vcc, exec, s[8:9]
	s_cbranch_vccz .LBB108_7
; %bb.6:
	buffer_load_dword v92, v95, s[0:3], 0 offen
	buffer_load_dword v93, v95, s[0:3], 0 offen offset:4
	ds_read_b64 v[96:97], v94
	s_waitcnt vmcnt(0) lgkmcnt(0)
	v_mul_f64 v[92:93], v[92:93], v[96:97]
	s_cbranch_execz .LBB108_8
	s_branch .LBB108_9
.LBB108_7:
                                        ; implicit-def: $vgpr92_vgpr93
.LBB108_8:
	ds_read_b64 v[92:93], v94
.LBB108_9:
	v_mov_b32_e32 v96, 0
	ds_read_b64 v[96:97], v96 offset:344
	s_waitcnt lgkmcnt(0)
	v_mul_f64 v[92:93], v[92:93], v[96:97]
	buffer_store_dword v93, off, s[0:3], 0 offset:348
	buffer_store_dword v92, off, s[0:3], 0 offset:344
.LBB108_10:
	s_or_b64 exec, exec, s[6:7]
	buffer_load_dword v92, off, s[0:3], 0 offset:336
	buffer_load_dword v93, off, s[0:3], 0 offset:340
	v_or_b32_e32 v96, 8, v137
	v_add_u32_e32 v97, 16, v137
	v_add_u32_e32 v98, 24, v137
	v_add_u32_e32 v99, 32, v137
	v_add_u32_e32 v100, 40, v137
	v_add_u32_e32 v101, 48, v137
	v_add_u32_e32 v102, 56, v137
	v_add_u32_e32 v103, 64, v137
	v_add_u32_e32 v104, 0x48, v137
	v_add_u32_e32 v105, 0x50, v137
	v_add_u32_e32 v106, 0x58, v137
	v_add_u32_e32 v107, 0x60, v137
	v_add_u32_e32 v108, 0x68, v137
	v_add_u32_e32 v109, 0x70, v137
	v_add_u32_e32 v110, 0x78, v137
	v_add_u32_e32 v111, 0x80, v137
	v_add_u32_e32 v112, 0x88, v137
	v_add_u32_e32 v113, 0x90, v137
	v_add_u32_e32 v114, 0x98, v137
	v_add_u32_e32 v115, 0xa0, v137
	v_add_u32_e32 v116, 0xa8, v137
	v_add_u32_e32 v117, 0xb0, v137
	v_add_u32_e32 v118, 0xb8, v137
	v_add_u32_e32 v119, 0xc0, v137
	v_add_u32_e32 v120, 0xc8, v137
	v_add_u32_e32 v121, 0xd0, v137
	v_add_u32_e32 v122, 0xd8, v137
	v_add_u32_e32 v123, 0xe0, v137
	v_add_u32_e32 v124, 0xe8, v137
	v_add_u32_e32 v125, 0xf0, v137
	v_add_u32_e32 v126, 0xf8, v137
	v_add_u32_e32 v127, 0x100, v137
	v_add_u32_e32 v128, 0x108, v137
	v_add_u32_e32 v129, 0x110, v137
	v_add_u32_e32 v130, 0x118, v137
	v_add_u32_e32 v131, 0x120, v137
	v_add_u32_e32 v132, 0x128, v137
	v_add_u32_e32 v133, 0x130, v137
	v_add_u32_e32 v134, 0x138, v137
	v_add_u32_e32 v135, 0x140, v137
	v_add_u32_e32 v136, 0x148, v137
	v_add_u32_e32 v137, 0x150, v137
	v_cmp_lt_u32_e64 s[6:7], 42, v0
	s_waitcnt vmcnt(0)
	ds_write_b64 v94, v[92:93]
	s_waitcnt lgkmcnt(0)
	; wave barrier
	s_waitcnt lgkmcnt(0)
	s_and_saveexec_b64 s[10:11], s[6:7]
	s_cbranch_execz .LBB108_16
; %bb.11:
	s_andn2_b64 vcc, exec, s[8:9]
	s_cbranch_vccnz .LBB108_13
; %bb.12:
	buffer_load_dword v92, v95, s[0:3], 0 offen
	buffer_load_dword v93, v95, s[0:3], 0 offen offset:4
	ds_read_b64 v[138:139], v94
	s_waitcnt vmcnt(0) lgkmcnt(0)
	v_mul_f64 v[92:93], v[92:93], v[138:139]
	s_cbranch_execz .LBB108_14
	s_branch .LBB108_15
.LBB108_13:
                                        ; implicit-def: $vgpr92_vgpr93
.LBB108_14:
	ds_read_b64 v[92:93], v94
.LBB108_15:
	buffer_load_dword v142, off, s[0:3], 0 offset:344
	buffer_load_dword v143, off, s[0:3], 0 offset:348
	v_mov_b32_e32 v138, 0
	ds_read2_b64 v[138:141], v138 offset0:42 offset1:89
	s_waitcnt vmcnt(0) lgkmcnt(0)
	v_fma_f64 v[140:141], v[142:143], v[140:141], v[92:93]
	v_cndmask_b32_e64 v93, v93, v141, s[4:5]
	v_cndmask_b32_e64 v92, v92, v140, s[4:5]
	v_mul_f64 v[92:93], v[92:93], v[138:139]
	buffer_store_dword v93, off, s[0:3], 0 offset:340
	buffer_store_dword v92, off, s[0:3], 0 offset:336
.LBB108_16:
	s_or_b64 exec, exec, s[10:11]
	buffer_load_dword v92, off, s[0:3], 0 offset:328
	buffer_load_dword v93, off, s[0:3], 0 offset:332
	v_cmp_lt_u32_e64 s[4:5], 41, v0
	s_waitcnt vmcnt(0)
	ds_write_b64 v94, v[92:93]
	s_waitcnt lgkmcnt(0)
	; wave barrier
	s_waitcnt lgkmcnt(0)
	s_and_saveexec_b64 s[10:11], s[4:5]
	s_cbranch_execz .LBB108_26
; %bb.17:
	s_andn2_b64 vcc, exec, s[8:9]
	s_cbranch_vccnz .LBB108_19
; %bb.18:
	buffer_load_dword v92, v95, s[0:3], 0 offen
	buffer_load_dword v93, v95, s[0:3], 0 offen offset:4
	ds_read_b64 v[138:139], v94
	s_waitcnt vmcnt(0) lgkmcnt(0)
	v_mul_f64 v[92:93], v[92:93], v[138:139]
	s_cbranch_execz .LBB108_20
	s_branch .LBB108_21
.LBB108_19:
                                        ; implicit-def: $vgpr92_vgpr93
.LBB108_20:
	ds_read_b64 v[92:93], v94
.LBB108_21:
	s_and_saveexec_b64 s[12:13], s[6:7]
	s_cbranch_execz .LBB108_25
; %bb.22:
	v_subrev_u32_e32 v138, 42, v0
	s_movk_i32 s14, 0x2c0
	s_mov_b64 s[6:7], 0
.LBB108_23:                             ; =>This Inner Loop Header: Depth=1
	buffer_load_dword v140, v137, s[0:3], 0 offen
	buffer_load_dword v141, v137, s[0:3], 0 offen offset:4
	v_mov_b32_e32 v139, s14
	ds_read_b64 v[142:143], v139
	v_add_u32_e32 v138, -1, v138
	s_add_i32 s14, s14, 8
	v_cmp_eq_u32_e32 vcc, 0, v138
	v_add_u32_e32 v137, 8, v137
	s_or_b64 s[6:7], vcc, s[6:7]
	s_waitcnt vmcnt(0) lgkmcnt(0)
	v_fmac_f64_e32 v[92:93], v[140:141], v[142:143]
	s_andn2_b64 exec, exec, s[6:7]
	s_cbranch_execnz .LBB108_23
; %bb.24:
	s_or_b64 exec, exec, s[6:7]
.LBB108_25:
	s_or_b64 exec, exec, s[12:13]
	v_mov_b32_e32 v137, 0
	ds_read_b64 v[138:139], v137 offset:328
	s_waitcnt lgkmcnt(0)
	v_mul_f64 v[92:93], v[92:93], v[138:139]
	buffer_store_dword v93, off, s[0:3], 0 offset:332
	buffer_store_dword v92, off, s[0:3], 0 offset:328
.LBB108_26:
	s_or_b64 exec, exec, s[10:11]
	buffer_load_dword v92, off, s[0:3], 0 offset:320
	buffer_load_dword v93, off, s[0:3], 0 offset:324
	v_cmp_lt_u32_e64 s[6:7], 40, v0
	s_waitcnt vmcnt(0)
	ds_write_b64 v94, v[92:93]
	s_waitcnt lgkmcnt(0)
	; wave barrier
	s_waitcnt lgkmcnt(0)
	s_and_saveexec_b64 s[10:11], s[6:7]
	s_cbranch_execz .LBB108_36
; %bb.27:
	s_andn2_b64 vcc, exec, s[8:9]
	s_cbranch_vccnz .LBB108_29
; %bb.28:
	buffer_load_dword v92, v95, s[0:3], 0 offen
	buffer_load_dword v93, v95, s[0:3], 0 offen offset:4
	ds_read_b64 v[138:139], v94
	s_waitcnt vmcnt(0) lgkmcnt(0)
	v_mul_f64 v[92:93], v[92:93], v[138:139]
	s_cbranch_execz .LBB108_30
	s_branch .LBB108_31
.LBB108_29:
                                        ; implicit-def: $vgpr92_vgpr93
.LBB108_30:
	ds_read_b64 v[92:93], v94
.LBB108_31:
	s_and_saveexec_b64 s[12:13], s[4:5]
	s_cbranch_execz .LBB108_35
; %bb.32:
	v_subrev_u32_e32 v137, 41, v0
	s_movk_i32 s14, 0x2b8
	s_mov_b64 s[4:5], 0
.LBB108_33:                             ; =>This Inner Loop Header: Depth=1
	buffer_load_dword v138, v136, s[0:3], 0 offen
	buffer_load_dword v139, v136, s[0:3], 0 offen offset:4
	v_mov_b32_e32 v140, s14
	ds_read_b64 v[140:141], v140
	v_add_u32_e32 v137, -1, v137
	s_add_i32 s14, s14, 8
	v_cmp_eq_u32_e32 vcc, 0, v137
	v_add_u32_e32 v136, 8, v136
	s_or_b64 s[4:5], vcc, s[4:5]
	s_waitcnt vmcnt(0) lgkmcnt(0)
	v_fmac_f64_e32 v[92:93], v[138:139], v[140:141]
	s_andn2_b64 exec, exec, s[4:5]
	s_cbranch_execnz .LBB108_33
; %bb.34:
	s_or_b64 exec, exec, s[4:5]
.LBB108_35:
	s_or_b64 exec, exec, s[12:13]
	v_mov_b32_e32 v136, 0
	ds_read_b64 v[136:137], v136 offset:320
	s_waitcnt lgkmcnt(0)
	v_mul_f64 v[92:93], v[92:93], v[136:137]
	buffer_store_dword v93, off, s[0:3], 0 offset:324
	buffer_store_dword v92, off, s[0:3], 0 offset:320
.LBB108_36:
	;; [unrolled: 58-line block ×8, first 2 shown]
	s_or_b64 exec, exec, s[10:11]
	buffer_load_dword v92, off, s[0:3], 0 offset:264
	buffer_load_dword v93, off, s[0:3], 0 offset:268
	v_cmp_lt_u32_e64 s[4:5], 33, v0
	s_waitcnt vmcnt(0)
	ds_write_b64 v94, v[92:93]
	s_waitcnt lgkmcnt(0)
	; wave barrier
	s_waitcnt lgkmcnt(0)
	s_and_saveexec_b64 s[10:11], s[4:5]
	s_cbranch_execz .LBB108_106
; %bb.97:
	s_andn2_b64 vcc, exec, s[8:9]
	s_cbranch_vccnz .LBB108_99
; %bb.98:
	buffer_load_dword v92, v95, s[0:3], 0 offen
	buffer_load_dword v93, v95, s[0:3], 0 offen offset:4
	ds_read_b64 v[130:131], v94
	s_waitcnt vmcnt(0) lgkmcnt(0)
	v_mul_f64 v[92:93], v[92:93], v[130:131]
	s_cbranch_execz .LBB108_100
	s_branch .LBB108_101
.LBB108_99:
                                        ; implicit-def: $vgpr92_vgpr93
.LBB108_100:
	ds_read_b64 v[92:93], v94
.LBB108_101:
	s_and_saveexec_b64 s[12:13], s[6:7]
	s_cbranch_execz .LBB108_105
; %bb.102:
	v_subrev_u32_e32 v130, 34, v0
	s_movk_i32 s14, 0x280
	s_mov_b64 s[6:7], 0
.LBB108_103:                            ; =>This Inner Loop Header: Depth=1
	buffer_load_dword v132, v129, s[0:3], 0 offen
	buffer_load_dword v133, v129, s[0:3], 0 offen offset:4
	v_mov_b32_e32 v131, s14
	ds_read_b64 v[134:135], v131
	v_add_u32_e32 v130, -1, v130
	s_add_i32 s14, s14, 8
	v_cmp_eq_u32_e32 vcc, 0, v130
	v_add_u32_e32 v129, 8, v129
	s_or_b64 s[6:7], vcc, s[6:7]
	s_waitcnt vmcnt(0) lgkmcnt(0)
	v_fmac_f64_e32 v[92:93], v[132:133], v[134:135]
	s_andn2_b64 exec, exec, s[6:7]
	s_cbranch_execnz .LBB108_103
; %bb.104:
	s_or_b64 exec, exec, s[6:7]
.LBB108_105:
	s_or_b64 exec, exec, s[12:13]
	v_mov_b32_e32 v129, 0
	ds_read_b64 v[130:131], v129 offset:264
	s_waitcnt lgkmcnt(0)
	v_mul_f64 v[92:93], v[92:93], v[130:131]
	buffer_store_dword v93, off, s[0:3], 0 offset:268
	buffer_store_dword v92, off, s[0:3], 0 offset:264
.LBB108_106:
	s_or_b64 exec, exec, s[10:11]
	buffer_load_dword v92, off, s[0:3], 0 offset:256
	buffer_load_dword v93, off, s[0:3], 0 offset:260
	v_cmp_lt_u32_e64 s[6:7], 32, v0
	s_waitcnt vmcnt(0)
	ds_write_b64 v94, v[92:93]
	s_waitcnt lgkmcnt(0)
	; wave barrier
	s_waitcnt lgkmcnt(0)
	s_and_saveexec_b64 s[10:11], s[6:7]
	s_cbranch_execz .LBB108_116
; %bb.107:
	s_andn2_b64 vcc, exec, s[8:9]
	s_cbranch_vccnz .LBB108_109
; %bb.108:
	buffer_load_dword v92, v95, s[0:3], 0 offen
	buffer_load_dword v93, v95, s[0:3], 0 offen offset:4
	ds_read_b64 v[130:131], v94
	s_waitcnt vmcnt(0) lgkmcnt(0)
	v_mul_f64 v[92:93], v[92:93], v[130:131]
	s_cbranch_execz .LBB108_110
	s_branch .LBB108_111
.LBB108_109:
                                        ; implicit-def: $vgpr92_vgpr93
.LBB108_110:
	ds_read_b64 v[92:93], v94
.LBB108_111:
	s_and_saveexec_b64 s[12:13], s[4:5]
	s_cbranch_execz .LBB108_115
; %bb.112:
	v_subrev_u32_e32 v129, 33, v0
	s_movk_i32 s14, 0x278
	s_mov_b64 s[4:5], 0
.LBB108_113:                            ; =>This Inner Loop Header: Depth=1
	buffer_load_dword v130, v128, s[0:3], 0 offen
	buffer_load_dword v131, v128, s[0:3], 0 offen offset:4
	v_mov_b32_e32 v132, s14
	ds_read_b64 v[132:133], v132
	v_add_u32_e32 v129, -1, v129
	s_add_i32 s14, s14, 8
	v_cmp_eq_u32_e32 vcc, 0, v129
	v_add_u32_e32 v128, 8, v128
	s_or_b64 s[4:5], vcc, s[4:5]
	s_waitcnt vmcnt(0) lgkmcnt(0)
	v_fmac_f64_e32 v[92:93], v[130:131], v[132:133]
	s_andn2_b64 exec, exec, s[4:5]
	s_cbranch_execnz .LBB108_113
; %bb.114:
	s_or_b64 exec, exec, s[4:5]
.LBB108_115:
	s_or_b64 exec, exec, s[12:13]
	v_mov_b32_e32 v128, 0
	ds_read_b64 v[128:129], v128 offset:256
	s_waitcnt lgkmcnt(0)
	v_mul_f64 v[92:93], v[92:93], v[128:129]
	buffer_store_dword v93, off, s[0:3], 0 offset:260
	buffer_store_dword v92, off, s[0:3], 0 offset:256
.LBB108_116:
	;; [unrolled: 58-line block ×18, first 2 shown]
	s_or_b64 exec, exec, s[10:11]
	buffer_load_dword v92, off, s[0:3], 0 offset:120
	buffer_load_dword v93, off, s[0:3], 0 offset:124
	v_cmp_lt_u32_e64 s[4:5], 15, v0
	s_waitcnt vmcnt(0)
	ds_write_b64 v94, v[92:93]
	s_waitcnt lgkmcnt(0)
	; wave barrier
	s_waitcnt lgkmcnt(0)
	s_and_saveexec_b64 s[10:11], s[4:5]
	s_cbranch_execz .LBB108_286
; %bb.277:
	s_andn2_b64 vcc, exec, s[8:9]
	s_cbranch_vccnz .LBB108_279
; %bb.278:
	buffer_load_dword v92, v95, s[0:3], 0 offen
	buffer_load_dword v93, v95, s[0:3], 0 offen offset:4
	ds_read_b64 v[112:113], v94
	s_waitcnt vmcnt(0) lgkmcnt(0)
	v_mul_f64 v[92:93], v[92:93], v[112:113]
	s_cbranch_execz .LBB108_280
	s_branch .LBB108_281
.LBB108_279:
                                        ; implicit-def: $vgpr92_vgpr93
.LBB108_280:
	ds_read_b64 v[92:93], v94
.LBB108_281:
	s_and_saveexec_b64 s[12:13], s[6:7]
	s_cbranch_execz .LBB108_285
; %bb.282:
	v_add_u32_e32 v112, -16, v0
	s_movk_i32 s14, 0x1f0
	s_mov_b64 s[6:7], 0
.LBB108_283:                            ; =>This Inner Loop Header: Depth=1
	buffer_load_dword v114, v111, s[0:3], 0 offen
	buffer_load_dword v115, v111, s[0:3], 0 offen offset:4
	v_mov_b32_e32 v113, s14
	ds_read_b64 v[116:117], v113
	v_add_u32_e32 v112, -1, v112
	s_add_i32 s14, s14, 8
	v_cmp_eq_u32_e32 vcc, 0, v112
	v_add_u32_e32 v111, 8, v111
	s_or_b64 s[6:7], vcc, s[6:7]
	s_waitcnt vmcnt(0) lgkmcnt(0)
	v_fmac_f64_e32 v[92:93], v[114:115], v[116:117]
	s_andn2_b64 exec, exec, s[6:7]
	s_cbranch_execnz .LBB108_283
; %bb.284:
	s_or_b64 exec, exec, s[6:7]
.LBB108_285:
	s_or_b64 exec, exec, s[12:13]
	v_mov_b32_e32 v111, 0
	ds_read_b64 v[112:113], v111 offset:120
	s_waitcnt lgkmcnt(0)
	v_mul_f64 v[92:93], v[92:93], v[112:113]
	buffer_store_dword v93, off, s[0:3], 0 offset:124
	buffer_store_dword v92, off, s[0:3], 0 offset:120
.LBB108_286:
	s_or_b64 exec, exec, s[10:11]
	buffer_load_dword v92, off, s[0:3], 0 offset:112
	buffer_load_dword v93, off, s[0:3], 0 offset:116
	v_cmp_lt_u32_e64 s[6:7], 14, v0
	s_waitcnt vmcnt(0)
	ds_write_b64 v94, v[92:93]
	s_waitcnt lgkmcnt(0)
	; wave barrier
	s_waitcnt lgkmcnt(0)
	s_and_saveexec_b64 s[10:11], s[6:7]
	s_cbranch_execz .LBB108_296
; %bb.287:
	s_andn2_b64 vcc, exec, s[8:9]
	s_cbranch_vccnz .LBB108_289
; %bb.288:
	buffer_load_dword v92, v95, s[0:3], 0 offen
	buffer_load_dword v93, v95, s[0:3], 0 offen offset:4
	ds_read_b64 v[112:113], v94
	s_waitcnt vmcnt(0) lgkmcnt(0)
	v_mul_f64 v[92:93], v[92:93], v[112:113]
	s_cbranch_execz .LBB108_290
	s_branch .LBB108_291
.LBB108_289:
                                        ; implicit-def: $vgpr92_vgpr93
.LBB108_290:
	ds_read_b64 v[92:93], v94
.LBB108_291:
	s_and_saveexec_b64 s[12:13], s[4:5]
	s_cbranch_execz .LBB108_295
; %bb.292:
	v_add_u32_e32 v111, -15, v0
	s_movk_i32 s14, 0x1e8
	s_mov_b64 s[4:5], 0
.LBB108_293:                            ; =>This Inner Loop Header: Depth=1
	buffer_load_dword v112, v110, s[0:3], 0 offen
	buffer_load_dword v113, v110, s[0:3], 0 offen offset:4
	v_mov_b32_e32 v114, s14
	ds_read_b64 v[114:115], v114
	v_add_u32_e32 v111, -1, v111
	s_add_i32 s14, s14, 8
	v_cmp_eq_u32_e32 vcc, 0, v111
	v_add_u32_e32 v110, 8, v110
	s_or_b64 s[4:5], vcc, s[4:5]
	s_waitcnt vmcnt(0) lgkmcnt(0)
	v_fmac_f64_e32 v[92:93], v[112:113], v[114:115]
	s_andn2_b64 exec, exec, s[4:5]
	s_cbranch_execnz .LBB108_293
; %bb.294:
	s_or_b64 exec, exec, s[4:5]
.LBB108_295:
	s_or_b64 exec, exec, s[12:13]
	v_mov_b32_e32 v110, 0
	ds_read_b64 v[110:111], v110 offset:112
	s_waitcnt lgkmcnt(0)
	v_mul_f64 v[92:93], v[92:93], v[110:111]
	buffer_store_dword v93, off, s[0:3], 0 offset:116
	buffer_store_dword v92, off, s[0:3], 0 offset:112
.LBB108_296:
	;; [unrolled: 58-line block ×15, first 2 shown]
	s_or_b64 exec, exec, s[10:11]
	buffer_load_dword v92, off, s[0:3], 0
	buffer_load_dword v93, off, s[0:3], 0 offset:4
	v_cmp_ne_u32_e32 vcc, 0, v0
	s_waitcnt vmcnt(0)
	ds_write_b64 v94, v[92:93]
	s_waitcnt lgkmcnt(0)
	; wave barrier
	s_waitcnt lgkmcnt(0)
	s_and_saveexec_b64 s[6:7], vcc
	s_cbranch_execz .LBB108_436
; %bb.427:
	s_andn2_b64 vcc, exec, s[8:9]
	s_cbranch_vccnz .LBB108_429
; %bb.428:
	buffer_load_dword v92, v95, s[0:3], 0 offen
	buffer_load_dword v93, v95, s[0:3], 0 offen offset:4
	ds_read_b64 v[98:99], v94
	s_waitcnt vmcnt(0) lgkmcnt(0)
	v_mul_f64 v[92:93], v[92:93], v[98:99]
	s_cbranch_execz .LBB108_430
	s_branch .LBB108_431
.LBB108_429:
                                        ; implicit-def: $vgpr92_vgpr93
.LBB108_430:
	ds_read_b64 v[92:93], v94
.LBB108_431:
	s_and_saveexec_b64 s[10:11], s[4:5]
	s_cbranch_execz .LBB108_435
; %bb.432:
	v_add_u32_e32 v97, -1, v0
	s_movk_i32 s12, 0x178
	s_mov_b64 s[4:5], 0
.LBB108_433:                            ; =>This Inner Loop Header: Depth=1
	buffer_load_dword v98, v96, s[0:3], 0 offen
	buffer_load_dword v99, v96, s[0:3], 0 offen offset:4
	v_mov_b32_e32 v100, s12
	ds_read_b64 v[100:101], v100
	v_add_u32_e32 v97, -1, v97
	s_add_i32 s12, s12, 8
	v_cmp_eq_u32_e32 vcc, 0, v97
	v_add_u32_e32 v96, 8, v96
	s_or_b64 s[4:5], vcc, s[4:5]
	s_waitcnt vmcnt(0) lgkmcnt(0)
	v_fmac_f64_e32 v[92:93], v[98:99], v[100:101]
	s_andn2_b64 exec, exec, s[4:5]
	s_cbranch_execnz .LBB108_433
; %bb.434:
	s_or_b64 exec, exec, s[4:5]
.LBB108_435:
	s_or_b64 exec, exec, s[10:11]
	v_mov_b32_e32 v96, 0
	ds_read_b64 v[96:97], v96
	s_waitcnt lgkmcnt(0)
	v_mul_f64 v[92:93], v[92:93], v[96:97]
	buffer_store_dword v93, off, s[0:3], 0 offset:4
	buffer_store_dword v92, off, s[0:3], 0
.LBB108_436:
	s_or_b64 exec, exec, s[6:7]
	s_mov_b64 s[4:5], 0
.LBB108_437:
	s_and_b64 vcc, exec, s[4:5]
	s_cbranch_vccz .LBB108_871
; %bb.438:
	buffer_load_dword v92, off, s[0:3], 0 offset:8
	buffer_load_dword v93, off, s[0:3], 0 offset:12
	v_cmp_eq_u32_e64 s[6:7], 0, v0
	s_waitcnt vmcnt(0)
	ds_write_b64 v94, v[92:93]
	s_waitcnt lgkmcnt(0)
	; wave barrier
	s_waitcnt lgkmcnt(0)
	s_and_saveexec_b64 s[4:5], s[6:7]
	s_cbranch_execz .LBB108_444
; %bb.439:
	s_and_b64 vcc, exec, s[8:9]
	s_cbranch_vccz .LBB108_441
; %bb.440:
	buffer_load_dword v92, v95, s[0:3], 0 offen
	buffer_load_dword v93, v95, s[0:3], 0 offen offset:4
	ds_read_b64 v[96:97], v94
	s_waitcnt vmcnt(0) lgkmcnt(0)
	v_mul_f64 v[92:93], v[92:93], v[96:97]
	s_cbranch_execz .LBB108_442
	s_branch .LBB108_443
.LBB108_441:
                                        ; implicit-def: $vgpr92_vgpr93
.LBB108_442:
	ds_read_b64 v[92:93], v94
.LBB108_443:
	v_mov_b32_e32 v96, 0
	ds_read_b64 v[96:97], v96 offset:8
	s_waitcnt lgkmcnt(0)
	v_mul_f64 v[92:93], v[92:93], v[96:97]
	buffer_store_dword v93, off, s[0:3], 0 offset:12
	buffer_store_dword v92, off, s[0:3], 0 offset:8
.LBB108_444:
	s_or_b64 exec, exec, s[4:5]
	buffer_load_dword v92, off, s[0:3], 0 offset:16
	buffer_load_dword v93, off, s[0:3], 0 offset:20
	v_cndmask_b32_e64 v96, 0, 1, s[8:9]
	v_cmp_gt_u32_e32 vcc, 2, v0
	v_cmp_ne_u32_e64 s[4:5], 1, v96
	s_waitcnt vmcnt(0)
	ds_write_b64 v94, v[92:93]
	s_waitcnt lgkmcnt(0)
	; wave barrier
	s_waitcnt lgkmcnt(0)
	s_and_saveexec_b64 s[8:9], vcc
	s_cbranch_execz .LBB108_452
; %bb.445:
	s_and_b64 vcc, exec, s[4:5]
	s_cbranch_vccnz .LBB108_447
; %bb.446:
	buffer_load_dword v92, v95, s[0:3], 0 offen
	buffer_load_dword v93, v95, s[0:3], 0 offen offset:4
	ds_read_b64 v[96:97], v94
	s_waitcnt vmcnt(0) lgkmcnt(0)
	v_mul_f64 v[92:93], v[92:93], v[96:97]
	s_cbranch_execz .LBB108_448
	s_branch .LBB108_449
.LBB108_447:
                                        ; implicit-def: $vgpr92_vgpr93
.LBB108_448:
	ds_read_b64 v[92:93], v94
.LBB108_449:
	s_and_saveexec_b64 s[10:11], s[6:7]
	s_cbranch_execz .LBB108_451
; %bb.450:
	buffer_load_dword v96, v95, s[0:3], 0 offen offset:8
	buffer_load_dword v97, v95, s[0:3], 0 offen offset:12
	ds_read_b64 v[98:99], v94 offset:8
	s_waitcnt vmcnt(0) lgkmcnt(0)
	v_fmac_f64_e32 v[92:93], v[96:97], v[98:99]
.LBB108_451:
	s_or_b64 exec, exec, s[10:11]
	v_mov_b32_e32 v96, 0
	ds_read_b64 v[96:97], v96 offset:16
	s_waitcnt lgkmcnt(0)
	v_mul_f64 v[92:93], v[92:93], v[96:97]
	buffer_store_dword v93, off, s[0:3], 0 offset:20
	buffer_store_dword v92, off, s[0:3], 0 offset:16
.LBB108_452:
	s_or_b64 exec, exec, s[8:9]
	buffer_load_dword v92, off, s[0:3], 0 offset:24
	buffer_load_dword v93, off, s[0:3], 0 offset:28
	v_cmp_gt_u32_e32 vcc, 3, v0
	s_waitcnt vmcnt(0)
	ds_write_b64 v94, v[92:93]
	s_waitcnt lgkmcnt(0)
	; wave barrier
	s_waitcnt lgkmcnt(0)
	s_and_saveexec_b64 s[8:9], vcc
	s_cbranch_execz .LBB108_460
; %bb.453:
	s_and_b64 vcc, exec, s[4:5]
	s_cbranch_vccnz .LBB108_455
; %bb.454:
	buffer_load_dword v92, v95, s[0:3], 0 offen
	buffer_load_dword v93, v95, s[0:3], 0 offen offset:4
	ds_read_b64 v[96:97], v94
	s_waitcnt vmcnt(0) lgkmcnt(0)
	v_mul_f64 v[92:93], v[92:93], v[96:97]
	s_cbranch_execz .LBB108_456
	s_branch .LBB108_457
.LBB108_455:
                                        ; implicit-def: $vgpr92_vgpr93
.LBB108_456:
	ds_read_b64 v[92:93], v94
.LBB108_457:
	v_cmp_ne_u32_e32 vcc, 2, v0
	s_and_saveexec_b64 s[10:11], vcc
	s_cbranch_execz .LBB108_459
; %bb.458:
	buffer_load_dword v97, v95, s[0:3], 0 offen offset:12
	buffer_load_dword v98, off, s[0:3], 0 offset:16
	buffer_load_dword v96, v95, s[0:3], 0 offen offset:8
	buffer_load_dword v99, off, s[0:3], 0 offset:20
	v_mov_b32_e32 v102, 0
	ds_read_b64 v[100:101], v94 offset:8
	ds_read_b64 v[102:103], v102 offset:384
	s_waitcnt vmcnt(1) lgkmcnt(1)
	v_fmac_f64_e32 v[92:93], v[96:97], v[100:101]
	s_waitcnt vmcnt(0) lgkmcnt(0)
	v_fma_f64 v[96:97], v[98:99], v[102:103], v[92:93]
	v_cndmask_b32_e64 v93, v93, v97, s[6:7]
	v_cndmask_b32_e64 v92, v92, v96, s[6:7]
.LBB108_459:
	s_or_b64 exec, exec, s[10:11]
	v_mov_b32_e32 v96, 0
	ds_read_b64 v[96:97], v96 offset:24
	s_waitcnt lgkmcnt(0)
	v_mul_f64 v[92:93], v[92:93], v[96:97]
	buffer_store_dword v93, off, s[0:3], 0 offset:28
	buffer_store_dword v92, off, s[0:3], 0 offset:24
.LBB108_460:
	s_or_b64 exec, exec, s[8:9]
	buffer_load_dword v92, off, s[0:3], 0 offset:32
	buffer_load_dword v93, off, s[0:3], 0 offset:36
	v_cmp_gt_u32_e32 vcc, 4, v0
	s_waitcnt vmcnt(0)
	ds_write_b64 v94, v[92:93]
	s_waitcnt lgkmcnt(0)
	; wave barrier
	s_waitcnt lgkmcnt(0)
	s_and_saveexec_b64 s[6:7], vcc
	s_cbranch_execz .LBB108_470
; %bb.461:
	s_and_b64 vcc, exec, s[4:5]
	s_cbranch_vccnz .LBB108_463
; %bb.462:
	buffer_load_dword v92, v95, s[0:3], 0 offen
	buffer_load_dword v93, v95, s[0:3], 0 offen offset:4
	ds_read_b64 v[96:97], v94
	s_waitcnt vmcnt(0) lgkmcnt(0)
	v_mul_f64 v[92:93], v[92:93], v[96:97]
	s_cbranch_execz .LBB108_464
	s_branch .LBB108_465
.LBB108_463:
                                        ; implicit-def: $vgpr92_vgpr93
.LBB108_464:
	ds_read_b64 v[92:93], v94
.LBB108_465:
	v_cmp_ne_u32_e32 vcc, 3, v0
	s_and_saveexec_b64 s[8:9], vcc
	s_cbranch_execz .LBB108_469
; %bb.466:
	v_mov_b32_e32 v97, 0
	v_add_u32_e32 v96, 0x178, v1
	v_add3_u32 v97, v1, v97, 8
	s_mov_b64 s[10:11], 0
	v_mov_b32_e32 v98, v0
.LBB108_467:                            ; =>This Inner Loop Header: Depth=1
	buffer_load_dword v100, v97, s[0:3], 0 offen
	buffer_load_dword v101, v97, s[0:3], 0 offen offset:4
	ds_read_b64 v[102:103], v96
	v_add_u32_e32 v98, 1, v98
	v_cmp_lt_u32_e32 vcc, 2, v98
	v_add_u32_e32 v96, 8, v96
	v_add_u32_e32 v97, 8, v97
	s_or_b64 s[10:11], vcc, s[10:11]
	s_waitcnt vmcnt(0) lgkmcnt(0)
	v_fmac_f64_e32 v[92:93], v[100:101], v[102:103]
	s_andn2_b64 exec, exec, s[10:11]
	s_cbranch_execnz .LBB108_467
; %bb.468:
	s_or_b64 exec, exec, s[10:11]
.LBB108_469:
	s_or_b64 exec, exec, s[8:9]
	v_mov_b32_e32 v96, 0
	ds_read_b64 v[96:97], v96 offset:32
	s_waitcnt lgkmcnt(0)
	v_mul_f64 v[92:93], v[92:93], v[96:97]
	buffer_store_dword v93, off, s[0:3], 0 offset:36
	buffer_store_dword v92, off, s[0:3], 0 offset:32
.LBB108_470:
	s_or_b64 exec, exec, s[6:7]
	buffer_load_dword v92, off, s[0:3], 0 offset:40
	buffer_load_dword v93, off, s[0:3], 0 offset:44
	v_cmp_gt_u32_e32 vcc, 5, v0
	s_waitcnt vmcnt(0)
	ds_write_b64 v94, v[92:93]
	s_waitcnt lgkmcnt(0)
	; wave barrier
	s_waitcnt lgkmcnt(0)
	s_and_saveexec_b64 s[6:7], vcc
	s_cbranch_execz .LBB108_480
; %bb.471:
	s_and_b64 vcc, exec, s[4:5]
	s_cbranch_vccnz .LBB108_473
; %bb.472:
	buffer_load_dword v92, v95, s[0:3], 0 offen
	buffer_load_dword v93, v95, s[0:3], 0 offen offset:4
	ds_read_b64 v[96:97], v94
	s_waitcnt vmcnt(0) lgkmcnt(0)
	v_mul_f64 v[92:93], v[92:93], v[96:97]
	s_cbranch_execz .LBB108_474
	s_branch .LBB108_475
.LBB108_473:
                                        ; implicit-def: $vgpr92_vgpr93
.LBB108_474:
	ds_read_b64 v[92:93], v94
.LBB108_475:
	v_cmp_ne_u32_e32 vcc, 4, v0
	s_and_saveexec_b64 s[8:9], vcc
	s_cbranch_execz .LBB108_479
; %bb.476:
	v_mov_b32_e32 v97, 0
	v_add_u32_e32 v96, 0x178, v1
	v_add3_u32 v97, v1, v97, 8
	s_mov_b64 s[10:11], 0
	v_mov_b32_e32 v98, v0
.LBB108_477:                            ; =>This Inner Loop Header: Depth=1
	buffer_load_dword v100, v97, s[0:3], 0 offen
	buffer_load_dword v101, v97, s[0:3], 0 offen offset:4
	ds_read_b64 v[102:103], v96
	v_add_u32_e32 v98, 1, v98
	v_cmp_lt_u32_e32 vcc, 3, v98
	v_add_u32_e32 v96, 8, v96
	v_add_u32_e32 v97, 8, v97
	s_or_b64 s[10:11], vcc, s[10:11]
	s_waitcnt vmcnt(0) lgkmcnt(0)
	v_fmac_f64_e32 v[92:93], v[100:101], v[102:103]
	s_andn2_b64 exec, exec, s[10:11]
	s_cbranch_execnz .LBB108_477
; %bb.478:
	s_or_b64 exec, exec, s[10:11]
.LBB108_479:
	s_or_b64 exec, exec, s[8:9]
	v_mov_b32_e32 v96, 0
	ds_read_b64 v[96:97], v96 offset:40
	s_waitcnt lgkmcnt(0)
	v_mul_f64 v[92:93], v[92:93], v[96:97]
	buffer_store_dword v93, off, s[0:3], 0 offset:44
	buffer_store_dword v92, off, s[0:3], 0 offset:40
.LBB108_480:
	;; [unrolled: 60-line block ×39, first 2 shown]
	s_or_b64 exec, exec, s[6:7]
	buffer_load_dword v92, off, s[0:3], 0 offset:344
	buffer_load_dword v93, off, s[0:3], 0 offset:348
	v_cmp_gt_u32_e64 s[6:7], 43, v0
	s_waitcnt vmcnt(0)
	ds_write_b64 v94, v[92:93]
	s_waitcnt lgkmcnt(0)
	; wave barrier
	s_waitcnt lgkmcnt(0)
	s_and_saveexec_b64 s[8:9], s[6:7]
	s_cbranch_execz .LBB108_860
; %bb.851:
	s_and_b64 vcc, exec, s[4:5]
	s_cbranch_vccnz .LBB108_853
; %bb.852:
	buffer_load_dword v92, v95, s[0:3], 0 offen
	buffer_load_dword v93, v95, s[0:3], 0 offen offset:4
	ds_read_b64 v[96:97], v94
	s_waitcnt vmcnt(0) lgkmcnt(0)
	v_mul_f64 v[92:93], v[92:93], v[96:97]
	s_cbranch_execz .LBB108_854
	s_branch .LBB108_855
.LBB108_853:
                                        ; implicit-def: $vgpr92_vgpr93
.LBB108_854:
	ds_read_b64 v[92:93], v94
.LBB108_855:
	v_cmp_ne_u32_e32 vcc, 42, v0
	s_and_saveexec_b64 s[10:11], vcc
	s_cbranch_execz .LBB108_859
; %bb.856:
	v_mov_b32_e32 v97, 0
	v_add_u32_e32 v96, 0x178, v1
	v_add3_u32 v97, v1, v97, 8
	s_mov_b64 s[12:13], 0
	v_mov_b32_e32 v98, v0
.LBB108_857:                            ; =>This Inner Loop Header: Depth=1
	buffer_load_dword v100, v97, s[0:3], 0 offen
	buffer_load_dword v101, v97, s[0:3], 0 offen offset:4
	ds_read_b64 v[102:103], v96
	v_add_u32_e32 v98, 1, v98
	v_cmp_lt_u32_e32 vcc, 41, v98
	v_add_u32_e32 v96, 8, v96
	v_add_u32_e32 v97, 8, v97
	s_or_b64 s[12:13], vcc, s[12:13]
	s_waitcnt vmcnt(0) lgkmcnt(0)
	v_fmac_f64_e32 v[92:93], v[100:101], v[102:103]
	s_andn2_b64 exec, exec, s[12:13]
	s_cbranch_execnz .LBB108_857
; %bb.858:
	s_or_b64 exec, exec, s[12:13]
.LBB108_859:
	s_or_b64 exec, exec, s[10:11]
	v_mov_b32_e32 v96, 0
	ds_read_b64 v[96:97], v96 offset:344
	s_waitcnt lgkmcnt(0)
	v_mul_f64 v[92:93], v[92:93], v[96:97]
	buffer_store_dword v93, off, s[0:3], 0 offset:348
	buffer_store_dword v92, off, s[0:3], 0 offset:344
.LBB108_860:
	s_or_b64 exec, exec, s[8:9]
	buffer_load_dword v92, off, s[0:3], 0 offset:352
	buffer_load_dword v93, off, s[0:3], 0 offset:356
	v_cmp_ne_u32_e32 vcc, 44, v0
	s_waitcnt vmcnt(0)
	ds_write_b64 v94, v[92:93]
	s_waitcnt lgkmcnt(0)
	; wave barrier
	s_waitcnt lgkmcnt(0)
	s_and_saveexec_b64 s[8:9], vcc
	s_cbranch_execz .LBB108_870
; %bb.861:
	s_and_b64 vcc, exec, s[4:5]
	s_cbranch_vccnz .LBB108_863
; %bb.862:
	buffer_load_dword v92, v95, s[0:3], 0 offen
	buffer_load_dword v93, v95, s[0:3], 0 offen offset:4
	ds_read_b64 v[96:97], v94
	s_waitcnt vmcnt(0) lgkmcnt(0)
	v_mul_f64 v[92:93], v[92:93], v[96:97]
	s_cbranch_execz .LBB108_864
	s_branch .LBB108_865
.LBB108_863:
                                        ; implicit-def: $vgpr92_vgpr93
.LBB108_864:
	ds_read_b64 v[92:93], v94
.LBB108_865:
	s_and_saveexec_b64 s[4:5], s[6:7]
	s_cbranch_execz .LBB108_869
; %bb.866:
	v_mov_b32_e32 v95, 0
	v_add_u32_e32 v94, 0x178, v1
	v_add3_u32 v1, v1, v95, 8
	s_mov_b64 s[6:7], 0
.LBB108_867:                            ; =>This Inner Loop Header: Depth=1
	buffer_load_dword v96, v1, s[0:3], 0 offen
	buffer_load_dword v97, v1, s[0:3], 0 offen offset:4
	ds_read_b64 v[98:99], v94
	v_add_u32_e32 v0, 1, v0
	v_cmp_lt_u32_e32 vcc, 42, v0
	v_add_u32_e32 v94, 8, v94
	v_add_u32_e32 v1, 8, v1
	s_or_b64 s[6:7], vcc, s[6:7]
	s_waitcnt vmcnt(0) lgkmcnt(0)
	v_fmac_f64_e32 v[92:93], v[96:97], v[98:99]
	s_andn2_b64 exec, exec, s[6:7]
	s_cbranch_execnz .LBB108_867
; %bb.868:
	s_or_b64 exec, exec, s[6:7]
.LBB108_869:
	s_or_b64 exec, exec, s[4:5]
	v_mov_b32_e32 v0, 0
	ds_read_b64 v[0:1], v0 offset:352
	s_waitcnt lgkmcnt(0)
	v_mul_f64 v[0:1], v[92:93], v[0:1]
	buffer_store_dword v1, off, s[0:3], 0 offset:356
	buffer_store_dword v0, off, s[0:3], 0 offset:352
.LBB108_870:
	s_or_b64 exec, exec, s[8:9]
.LBB108_871:
	buffer_load_dword v0, off, s[0:3], 0
	buffer_load_dword v1, off, s[0:3], 0 offset:4
	buffer_load_dword v92, off, s[0:3], 0 offset:8
	buffer_load_dword v93, off, s[0:3], 0 offset:12
	buffer_load_dword v94, off, s[0:3], 0 offset:16
	buffer_load_dword v95, off, s[0:3], 0 offset:20
	buffer_load_dword v96, off, s[0:3], 0 offset:24
	buffer_load_dword v97, off, s[0:3], 0 offset:28
	buffer_load_dword v98, off, s[0:3], 0 offset:32
	buffer_load_dword v99, off, s[0:3], 0 offset:36
	buffer_load_dword v100, off, s[0:3], 0 offset:40
	buffer_load_dword v101, off, s[0:3], 0 offset:44
	buffer_load_dword v102, off, s[0:3], 0 offset:48
	buffer_load_dword v103, off, s[0:3], 0 offset:52
	buffer_load_dword v104, off, s[0:3], 0 offset:56
	buffer_load_dword v105, off, s[0:3], 0 offset:60
	s_waitcnt vmcnt(14)
	global_store_dwordx2 v[88:89], v[0:1], off
	s_waitcnt vmcnt(13)
	global_store_dwordx2 v[90:91], v[92:93], off
	;; [unrolled: 2-line block ×8, first 2 shown]
	buffer_load_dword v1, off, s[0:3], 0 offset:68
	buffer_load_dword v0, off, s[0:3], 0 offset:64
	s_waitcnt vmcnt(0)
	global_store_dwordx2 v[20:21], v[0:1], off
	buffer_load_dword v0, off, s[0:3], 0 offset:72
	s_nop 0
	buffer_load_dword v1, off, s[0:3], 0 offset:76
	s_waitcnt vmcnt(0)
	global_store_dwordx2 v[12:13], v[0:1], off
	buffer_load_dword v0, off, s[0:3], 0 offset:80
	s_nop 0
	;; [unrolled: 5-line block ×36, first 2 shown]
	buffer_load_dword v1, off, s[0:3], 0 offset:356
	s_waitcnt vmcnt(0)
	global_store_dwordx2 v[84:85], v[0:1], off
.LBB108_872:
	s_endpgm
	.section	.rodata,"a",@progbits
	.p2align	6, 0x0
	.amdhsa_kernel _ZN9rocsolver6v33100L18trti2_kernel_smallILi45EdPKPdEEv13rocblas_fill_17rocblas_diagonal_T1_iil
		.amdhsa_group_segment_fixed_size 728
		.amdhsa_private_segment_fixed_size 368
		.amdhsa_kernarg_size 32
		.amdhsa_user_sgpr_count 8
		.amdhsa_user_sgpr_private_segment_buffer 1
		.amdhsa_user_sgpr_dispatch_ptr 0
		.amdhsa_user_sgpr_queue_ptr 0
		.amdhsa_user_sgpr_kernarg_segment_ptr 1
		.amdhsa_user_sgpr_dispatch_id 0
		.amdhsa_user_sgpr_flat_scratch_init 1
		.amdhsa_user_sgpr_kernarg_preload_length 0
		.amdhsa_user_sgpr_kernarg_preload_offset 0
		.amdhsa_user_sgpr_private_segment_size 0
		.amdhsa_uses_dynamic_stack 0
		.amdhsa_system_sgpr_private_segment_wavefront_offset 1
		.amdhsa_system_sgpr_workgroup_id_x 1
		.amdhsa_system_sgpr_workgroup_id_y 0
		.amdhsa_system_sgpr_workgroup_id_z 0
		.amdhsa_system_sgpr_workgroup_info 0
		.amdhsa_system_vgpr_workitem_id 0
		.amdhsa_next_free_vgpr 164
		.amdhsa_next_free_sgpr 16
		.amdhsa_accum_offset 164
		.amdhsa_reserve_vcc 1
		.amdhsa_reserve_flat_scratch 0
		.amdhsa_float_round_mode_32 0
		.amdhsa_float_round_mode_16_64 0
		.amdhsa_float_denorm_mode_32 3
		.amdhsa_float_denorm_mode_16_64 3
		.amdhsa_dx10_clamp 1
		.amdhsa_ieee_mode 1
		.amdhsa_fp16_overflow 0
		.amdhsa_tg_split 0
		.amdhsa_exception_fp_ieee_invalid_op 0
		.amdhsa_exception_fp_denorm_src 0
		.amdhsa_exception_fp_ieee_div_zero 0
		.amdhsa_exception_fp_ieee_overflow 0
		.amdhsa_exception_fp_ieee_underflow 0
		.amdhsa_exception_fp_ieee_inexact 0
		.amdhsa_exception_int_div_zero 0
	.end_amdhsa_kernel
	.section	.text._ZN9rocsolver6v33100L18trti2_kernel_smallILi45EdPKPdEEv13rocblas_fill_17rocblas_diagonal_T1_iil,"axG",@progbits,_ZN9rocsolver6v33100L18trti2_kernel_smallILi45EdPKPdEEv13rocblas_fill_17rocblas_diagonal_T1_iil,comdat
.Lfunc_end108:
	.size	_ZN9rocsolver6v33100L18trti2_kernel_smallILi45EdPKPdEEv13rocblas_fill_17rocblas_diagonal_T1_iil, .Lfunc_end108-_ZN9rocsolver6v33100L18trti2_kernel_smallILi45EdPKPdEEv13rocblas_fill_17rocblas_diagonal_T1_iil
                                        ; -- End function
	.section	.AMDGPU.csdata,"",@progbits
; Kernel info:
; codeLenInByte = 26340
; NumSgprs: 20
; NumVgprs: 164
; NumAgprs: 0
; TotalNumVgprs: 164
; ScratchSize: 368
; MemoryBound: 0
; FloatMode: 240
; IeeeMode: 1
; LDSByteSize: 728 bytes/workgroup (compile time only)
; SGPRBlocks: 2
; VGPRBlocks: 20
; NumSGPRsForWavesPerEU: 20
; NumVGPRsForWavesPerEU: 164
; AccumOffset: 164
; Occupancy: 3
; WaveLimiterHint : 1
; COMPUTE_PGM_RSRC2:SCRATCH_EN: 1
; COMPUTE_PGM_RSRC2:USER_SGPR: 8
; COMPUTE_PGM_RSRC2:TRAP_HANDLER: 0
; COMPUTE_PGM_RSRC2:TGID_X_EN: 1
; COMPUTE_PGM_RSRC2:TGID_Y_EN: 0
; COMPUTE_PGM_RSRC2:TGID_Z_EN: 0
; COMPUTE_PGM_RSRC2:TIDIG_COMP_CNT: 0
; COMPUTE_PGM_RSRC3_GFX90A:ACCUM_OFFSET: 40
; COMPUTE_PGM_RSRC3_GFX90A:TG_SPLIT: 0
	.section	.text._ZN9rocsolver6v33100L18trti2_kernel_smallILi46EdPKPdEEv13rocblas_fill_17rocblas_diagonal_T1_iil,"axG",@progbits,_ZN9rocsolver6v33100L18trti2_kernel_smallILi46EdPKPdEEv13rocblas_fill_17rocblas_diagonal_T1_iil,comdat
	.globl	_ZN9rocsolver6v33100L18trti2_kernel_smallILi46EdPKPdEEv13rocblas_fill_17rocblas_diagonal_T1_iil ; -- Begin function _ZN9rocsolver6v33100L18trti2_kernel_smallILi46EdPKPdEEv13rocblas_fill_17rocblas_diagonal_T1_iil
	.p2align	8
	.type	_ZN9rocsolver6v33100L18trti2_kernel_smallILi46EdPKPdEEv13rocblas_fill_17rocblas_diagonal_T1_iil,@function
_ZN9rocsolver6v33100L18trti2_kernel_smallILi46EdPKPdEEv13rocblas_fill_17rocblas_diagonal_T1_iil: ; @_ZN9rocsolver6v33100L18trti2_kernel_smallILi46EdPKPdEEv13rocblas_fill_17rocblas_diagonal_T1_iil
; %bb.0:
	s_add_u32 s0, s0, s9
	s_addc_u32 s1, s1, 0
	v_cmp_gt_u32_e32 vcc, 46, v0
	s_and_saveexec_b64 s[6:7], vcc
	s_cbranch_execz .LBB109_892
; %bb.1:
	s_load_dwordx2 s[6:7], s[4:5], 0x10
	s_load_dwordx4 s[12:15], s[4:5], 0x0
	s_ashr_i32 s9, s8, 31
	s_lshl_b64 s[4:5], s[8:9], 3
	s_waitcnt lgkmcnt(0)
	s_ashr_i32 s9, s6, 31
	s_add_u32 s4, s14, s4
	s_addc_u32 s5, s15, s5
	s_load_dwordx2 s[4:5], s[4:5], 0x0
	s_mov_b32 s8, s6
	s_lshl_b64 s[8:9], s[8:9], 3
	s_waitcnt lgkmcnt(0)
	s_add_u32 s4, s4, s8
	s_addc_u32 s5, s5, s9
	s_add_i32 s6, s7, s7
	v_add_u32_e32 v4, s6, v0
	v_ashrrev_i32_e32 v5, 31, v4
	v_lshlrev_b64 v[2:3], 3, v[4:5]
	v_add_u32_e32 v6, s7, v4
	v_mov_b32_e32 v1, s5
	v_add_co_u32_e32 v2, vcc, s4, v2
	v_ashrrev_i32_e32 v7, 31, v6
	v_addc_co_u32_e32 v3, vcc, v1, v3, vcc
	v_lshlrev_b64 v[4:5], 3, v[6:7]
	v_add_u32_e32 v8, s7, v6
	v_add_co_u32_e32 v4, vcc, s4, v4
	v_ashrrev_i32_e32 v9, 31, v8
	v_addc_co_u32_e32 v5, vcc, v1, v5, vcc
	v_lshlrev_b64 v[6:7], 3, v[8:9]
	v_add_u32_e32 v10, s7, v8
	;; [unrolled: 5-line block ×5, first 2 shown]
	v_add_co_u32_e32 v14, vcc, s4, v14
	v_ashrrev_i32_e32 v13, 31, v12
	v_addc_co_u32_e32 v15, vcc, v1, v15, vcc
	v_lshlrev_b64 v[16:17], 3, v[12:13]
	v_add_co_u32_e32 v20, vcc, s4, v16
	v_add_u32_e32 v16, s7, v12
	v_addc_co_u32_e32 v21, vcc, v1, v17, vcc
	v_ashrrev_i32_e32 v17, 31, v16
	v_lshlrev_b64 v[12:13], 3, v[16:17]
	v_add_u32_e32 v18, s7, v16
	v_add_co_u32_e32 v12, vcc, s4, v12
	v_ashrrev_i32_e32 v19, 31, v18
	v_addc_co_u32_e32 v13, vcc, v1, v13, vcc
	v_lshlrev_b64 v[16:17], 3, v[18:19]
	v_add_u32_e32 v22, s7, v18
	v_add_co_u32_e32 v16, vcc, s4, v16
	v_ashrrev_i32_e32 v23, 31, v22
	v_addc_co_u32_e32 v17, vcc, v1, v17, vcc
	v_lshlrev_b64 v[18:19], 3, v[22:23]
	v_add_u32_e32 v24, s7, v22
	v_add_co_u32_e32 v18, vcc, s4, v18
	v_ashrrev_i32_e32 v25, 31, v24
	v_addc_co_u32_e32 v19, vcc, v1, v19, vcc
	v_lshlrev_b64 v[22:23], 3, v[24:25]
	v_add_u32_e32 v26, s7, v24
	v_add_co_u32_e32 v22, vcc, s4, v22
	v_ashrrev_i32_e32 v27, 31, v26
	v_addc_co_u32_e32 v23, vcc, v1, v23, vcc
	v_lshlrev_b64 v[24:25], 3, v[26:27]
	v_add_u32_e32 v28, s7, v26
	v_add_co_u32_e32 v24, vcc, s4, v24
	v_ashrrev_i32_e32 v29, 31, v28
	v_addc_co_u32_e32 v25, vcc, v1, v25, vcc
	v_lshlrev_b64 v[26:27], 3, v[28:29]
	v_add_u32_e32 v30, s7, v28
	v_add_co_u32_e32 v26, vcc, s4, v26
	v_ashrrev_i32_e32 v31, 31, v30
	v_addc_co_u32_e32 v27, vcc, v1, v27, vcc
	v_lshlrev_b64 v[28:29], 3, v[30:31]
	v_add_u32_e32 v32, s7, v30
	v_add_co_u32_e32 v28, vcc, s4, v28
	v_ashrrev_i32_e32 v33, 31, v32
	v_addc_co_u32_e32 v29, vcc, v1, v29, vcc
	v_lshlrev_b64 v[30:31], 3, v[32:33]
	v_add_u32_e32 v34, s7, v32
	v_add_co_u32_e32 v30, vcc, s4, v30
	v_ashrrev_i32_e32 v35, 31, v34
	v_addc_co_u32_e32 v31, vcc, v1, v31, vcc
	v_lshlrev_b64 v[32:33], 3, v[34:35]
	v_add_u32_e32 v36, s7, v34
	v_add_co_u32_e32 v32, vcc, s4, v32
	v_ashrrev_i32_e32 v37, 31, v36
	v_addc_co_u32_e32 v33, vcc, v1, v33, vcc
	v_lshlrev_b64 v[34:35], 3, v[36:37]
	v_add_u32_e32 v38, s7, v36
	v_add_co_u32_e32 v34, vcc, s4, v34
	v_ashrrev_i32_e32 v39, 31, v38
	v_addc_co_u32_e32 v35, vcc, v1, v35, vcc
	v_lshlrev_b64 v[36:37], 3, v[38:39]
	v_add_u32_e32 v40, s7, v38
	v_add_co_u32_e32 v36, vcc, s4, v36
	v_ashrrev_i32_e32 v41, 31, v40
	v_addc_co_u32_e32 v37, vcc, v1, v37, vcc
	v_lshlrev_b64 v[38:39], 3, v[40:41]
	v_add_u32_e32 v42, s7, v40
	v_add_co_u32_e32 v38, vcc, s4, v38
	v_ashrrev_i32_e32 v43, 31, v42
	v_addc_co_u32_e32 v39, vcc, v1, v39, vcc
	v_lshlrev_b64 v[40:41], 3, v[42:43]
	v_add_u32_e32 v44, s7, v42
	v_add_co_u32_e32 v40, vcc, s4, v40
	v_ashrrev_i32_e32 v45, 31, v44
	v_addc_co_u32_e32 v41, vcc, v1, v41, vcc
	v_lshlrev_b64 v[42:43], 3, v[44:45]
	v_add_u32_e32 v46, s7, v44
	v_add_co_u32_e32 v42, vcc, s4, v42
	v_ashrrev_i32_e32 v47, 31, v46
	v_addc_co_u32_e32 v43, vcc, v1, v43, vcc
	v_lshlrev_b64 v[44:45], 3, v[46:47]
	v_add_u32_e32 v48, s7, v46
	v_add_co_u32_e32 v44, vcc, s4, v44
	v_ashrrev_i32_e32 v49, 31, v48
	v_addc_co_u32_e32 v45, vcc, v1, v45, vcc
	v_lshlrev_b64 v[46:47], 3, v[48:49]
	v_add_u32_e32 v50, s7, v48
	v_add_co_u32_e32 v46, vcc, s4, v46
	v_ashrrev_i32_e32 v51, 31, v50
	v_addc_co_u32_e32 v47, vcc, v1, v47, vcc
	v_lshlrev_b64 v[48:49], 3, v[50:51]
	v_add_u32_e32 v52, s7, v50
	v_add_co_u32_e32 v48, vcc, s4, v48
	v_ashrrev_i32_e32 v53, 31, v52
	v_addc_co_u32_e32 v49, vcc, v1, v49, vcc
	v_lshlrev_b64 v[50:51], 3, v[52:53]
	v_add_u32_e32 v54, s7, v52
	v_add_co_u32_e32 v50, vcc, s4, v50
	v_ashrrev_i32_e32 v55, 31, v54
	v_addc_co_u32_e32 v51, vcc, v1, v51, vcc
	v_lshlrev_b64 v[52:53], 3, v[54:55]
	v_add_u32_e32 v56, s7, v54
	v_add_co_u32_e32 v52, vcc, s4, v52
	v_ashrrev_i32_e32 v57, 31, v56
	v_addc_co_u32_e32 v53, vcc, v1, v53, vcc
	v_lshlrev_b64 v[54:55], 3, v[56:57]
	v_add_u32_e32 v58, s7, v56
	v_add_co_u32_e32 v54, vcc, s4, v54
	v_ashrrev_i32_e32 v59, 31, v58
	v_addc_co_u32_e32 v55, vcc, v1, v55, vcc
	v_lshlrev_b64 v[56:57], 3, v[58:59]
	v_add_u32_e32 v60, s7, v58
	v_add_co_u32_e32 v56, vcc, s4, v56
	v_ashrrev_i32_e32 v61, 31, v60
	v_addc_co_u32_e32 v57, vcc, v1, v57, vcc
	v_lshlrev_b64 v[58:59], 3, v[60:61]
	v_add_u32_e32 v62, s7, v60
	v_add_co_u32_e32 v58, vcc, s4, v58
	v_ashrrev_i32_e32 v63, 31, v62
	v_addc_co_u32_e32 v59, vcc, v1, v59, vcc
	v_lshlrev_b64 v[60:61], 3, v[62:63]
	v_add_u32_e32 v64, s7, v62
	v_add_co_u32_e32 v60, vcc, s4, v60
	v_ashrrev_i32_e32 v65, 31, v64
	v_addc_co_u32_e32 v61, vcc, v1, v61, vcc
	v_lshlrev_b64 v[62:63], 3, v[64:65]
	v_add_u32_e32 v66, s7, v64
	v_add_co_u32_e32 v62, vcc, s4, v62
	v_ashrrev_i32_e32 v67, 31, v66
	v_addc_co_u32_e32 v63, vcc, v1, v63, vcc
	v_lshlrev_b64 v[64:65], 3, v[66:67]
	v_add_u32_e32 v68, s7, v66
	v_add_co_u32_e32 v64, vcc, s4, v64
	v_ashrrev_i32_e32 v69, 31, v68
	v_addc_co_u32_e32 v65, vcc, v1, v65, vcc
	v_lshlrev_b64 v[66:67], 3, v[68:69]
	v_add_u32_e32 v70, s7, v68
	v_add_co_u32_e32 v66, vcc, s4, v66
	v_ashrrev_i32_e32 v71, 31, v70
	v_addc_co_u32_e32 v67, vcc, v1, v67, vcc
	v_lshlrev_b64 v[68:69], 3, v[70:71]
	v_add_u32_e32 v72, s7, v70
	v_add_co_u32_e32 v68, vcc, s4, v68
	v_ashrrev_i32_e32 v73, 31, v72
	v_addc_co_u32_e32 v69, vcc, v1, v69, vcc
	v_lshlrev_b64 v[70:71], 3, v[72:73]
	v_add_u32_e32 v74, s7, v72
	v_add_co_u32_e32 v70, vcc, s4, v70
	v_ashrrev_i32_e32 v75, 31, v74
	v_addc_co_u32_e32 v71, vcc, v1, v71, vcc
	v_lshlrev_b64 v[72:73], 3, v[74:75]
	v_add_u32_e32 v76, s7, v74
	v_add_co_u32_e32 v72, vcc, s4, v72
	v_ashrrev_i32_e32 v77, 31, v76
	v_addc_co_u32_e32 v73, vcc, v1, v73, vcc
	v_lshlrev_b64 v[74:75], 3, v[76:77]
	v_add_co_u32_e32 v74, vcc, s4, v74
	v_addc_co_u32_e32 v75, vcc, v1, v75, vcc
	v_lshlrev_b32_e32 v1, 3, v0
	v_add_u32_e32 v78, s7, v76
	global_load_dwordx2 v[94:95], v1, s[4:5]
	global_load_dwordx2 v[98:99], v[2:3], off
	global_load_dwordx2 v[100:101], v[4:5], off
	v_mov_b32_e32 v76, s5
	v_add_co_u32_e32 v90, vcc, s4, v1
	s_ashr_i32 s9, s7, 31
	s_mov_b32 s8, s7
	v_addc_co_u32_e32 v91, vcc, 0, v76, vcc
	s_lshl_b64 s[8:9], s[8:9], 3
	v_mov_b32_e32 v76, s9
	v_add_co_u32_e32 v92, vcc, s8, v90
	v_addc_co_u32_e32 v93, vcc, v91, v76, vcc
	global_load_dwordx2 v[96:97], v[92:93], off
	global_load_dwordx2 v[102:103], v[6:7], off
	;; [unrolled: 1-line block ×8, first 2 shown]
	v_ashrrev_i32_e32 v79, 31, v78
	v_lshlrev_b64 v[76:77], 3, v[78:79]
	v_add_u32_e32 v78, s7, v78
	v_mov_b32_e32 v80, s5
	v_add_co_u32_e32 v76, vcc, s4, v76
	v_ashrrev_i32_e32 v79, 31, v78
	v_addc_co_u32_e32 v77, vcc, v80, v77, vcc
	v_lshlrev_b64 v[80:81], 3, v[78:79]
	v_add_u32_e32 v78, s7, v78
	v_mov_b32_e32 v82, s5
	v_add_co_u32_e32 v80, vcc, s4, v80
	v_ashrrev_i32_e32 v79, 31, v78
	v_addc_co_u32_e32 v81, vcc, v82, v81, vcc
	;; [unrolled: 6-line block ×6, first 2 shown]
	v_lshlrev_b64 v[78:79], 3, v[78:79]
	v_mov_b32_e32 v136, s5
	v_add_co_u32_e32 v78, vcc, s4, v78
	global_load_dwordx2 v[116:117], v[18:19], off
	global_load_dwordx2 v[118:119], v[22:23], off
	global_load_dwordx2 v[120:121], v[24:25], off
	global_load_dwordx2 v[122:123], v[26:27], off
	global_load_dwordx2 v[124:125], v[28:29], off
	global_load_dwordx2 v[126:127], v[30:31], off
	global_load_dwordx2 v[128:129], v[32:33], off
	global_load_dwordx2 v[130:131], v[34:35], off
	global_load_dwordx2 v[132:133], v[36:37], off
	global_load_dwordx2 v[134:135], v[38:39], off
	v_addc_co_u32_e32 v79, vcc, v136, v79, vcc
	global_load_dwordx2 v[136:137], v[40:41], off
	global_load_dwordx2 v[138:139], v[78:79], off
	;; [unrolled: 1-line block ×14, first 2 shown]
	s_cmpk_lg_i32 s13, 0x84
	s_waitcnt vmcnt(34)
	buffer_store_dword v95, off, s[0:3], 0 offset:4
	buffer_store_dword v94, off, s[0:3], 0
	global_load_dwordx2 v[94:95], v[46:47], off
	s_cselect_b64 s[8:9], -1, 0
	s_waitcnt vmcnt(34)
	buffer_store_dword v97, off, s[0:3], 0 offset:12
	buffer_store_dword v96, off, s[0:3], 0 offset:8
	global_load_dwordx2 v[96:97], v[50:51], off
	s_cmpk_eq_i32 s13, 0x84
	buffer_store_dword v99, off, s[0:3], 0 offset:20
	buffer_store_dword v98, off, s[0:3], 0 offset:16
	global_load_dwordx2 v[98:99], v[54:55], off
	s_nop 0
	buffer_store_dword v101, off, s[0:3], 0 offset:28
	buffer_store_dword v100, off, s[0:3], 0 offset:24
	global_load_dwordx2 v[100:101], v[58:59], off
	s_waitcnt vmcnt(42)
	buffer_store_dword v103, off, s[0:3], 0 offset:36
	buffer_store_dword v102, off, s[0:3], 0 offset:32
	global_load_dwordx2 v[102:103], v[62:63], off
	s_waitcnt vmcnt(44)
	;; [unrolled: 4-line block ×6, first 2 shown]
	buffer_store_dword v112, off, s[0:3], 0 offset:72
	buffer_store_dword v113, off, s[0:3], 0 offset:76
	global_load_dwordx2 v[112:113], v[84:85], off
	s_nop 0
	buffer_store_dword v114, off, s[0:3], 0 offset:80
	buffer_store_dword v115, off, s[0:3], 0 offset:84
	global_load_dwordx2 v[114:115], v[88:89], off
	s_waitcnt vmcnt(56)
	buffer_store_dword v116, off, s[0:3], 0 offset:88
	buffer_store_dword v117, off, s[0:3], 0 offset:92
	s_waitcnt vmcnt(57)
	buffer_store_dword v118, off, s[0:3], 0 offset:96
	buffer_store_dword v119, off, s[0:3], 0 offset:100
	;; [unrolled: 3-line block ×8, first 2 shown]
	buffer_store_dword v133, off, s[0:3], 0 offset:156
	buffer_store_dword v132, off, s[0:3], 0 offset:152
	s_waitcnt vmcnt(62)
	buffer_store_dword v135, off, s[0:3], 0 offset:164
	buffer_store_dword v134, off, s[0:3], 0 offset:160
	;; [unrolled: 1-line block ×6, first 2 shown]
	s_waitcnt vmcnt(62)
	buffer_store_dword v142, off, s[0:3], 0 offset:184
	buffer_store_dword v143, off, s[0:3], 0 offset:188
	s_waitcnt vmcnt(56)
	buffer_store_dword v94, off, s[0:3], 0 offset:192
	buffer_store_dword v95, off, s[0:3], 0 offset:196
	buffer_store_dword v145, off, s[0:3], 0 offset:204
	buffer_store_dword v144, off, s[0:3], 0 offset:200
	s_waitcnt vmcnt(57)
	buffer_store_dword v97, off, s[0:3], 0 offset:212
	buffer_store_dword v96, off, s[0:3], 0 offset:208
	;; [unrolled: 5-line block ×10, first 2 shown]
	buffer_store_dword v163, off, s[0:3], 0 offset:348
	buffer_store_dword v162, off, s[0:3], 0 offset:344
	;; [unrolled: 1-line block ×6, first 2 shown]
	v_mov_b32_e32 v94, 0
	v_mov_b32_e32 v140, 0
	;; [unrolled: 1-line block ×3, first 2 shown]
	s_cbranch_scc1 .LBB109_3
; %bb.2:
	v_lshl_add_u32 v104, v0, 3, v140
	buffer_load_dword v94, v104, s[0:3], 0 offen
	buffer_load_dword v95, v104, s[0:3], 0 offen offset:4
	s_waitcnt vmcnt(0)
	v_div_scale_f64 v[96:97], s[4:5], v[94:95], v[94:95], 1.0
	v_rcp_f64_e32 v[98:99], v[96:97]
	v_div_scale_f64 v[100:101], vcc, 1.0, v[94:95], 1.0
	v_fma_f64 v[102:103], -v[96:97], v[98:99], 1.0
	v_fmac_f64_e32 v[98:99], v[98:99], v[102:103]
	v_fma_f64 v[102:103], -v[96:97], v[98:99], 1.0
	v_fmac_f64_e32 v[98:99], v[98:99], v[102:103]
	v_mul_f64 v[102:103], v[100:101], v[98:99]
	v_fma_f64 v[96:97], -v[96:97], v[102:103], v[100:101]
	v_div_fmas_f64 v[96:97], v[96:97], v[98:99], v[102:103]
	v_div_fixup_f64 v[94:95], v[96:97], v[94:95], 1.0
	buffer_store_dword v94, v104, s[0:3], 0 offen
	buffer_store_dword v95, v104, s[0:3], 0 offen offset:4
	v_xor_b32_e32 v95, 0x80000000, v95
.LBB109_3:
	s_cmpk_eq_i32 s12, 0x79
	v_add_u32_e32 v96, 0x170, v1
	v_add_u32_e32 v97, 0, v1
	s_mov_b64 s[4:5], -1
	ds_write_b64 v1, v[94:95]
	s_cbranch_scc1 .LBB109_447
; %bb.4:
	buffer_load_dword v94, off, s[0:3], 0 offset:352
	buffer_load_dword v95, off, s[0:3], 0 offset:356
	v_cmp_eq_u32_e64 s[4:5], 45, v0
	s_waitcnt vmcnt(0)
	ds_write_b64 v96, v[94:95]
	s_waitcnt lgkmcnt(0)
	; wave barrier
	s_waitcnt lgkmcnt(0)
	s_and_saveexec_b64 s[6:7], s[4:5]
	s_cbranch_execz .LBB109_10
; %bb.5:
	s_and_b64 vcc, exec, s[8:9]
	s_cbranch_vccz .LBB109_7
; %bb.6:
	buffer_load_dword v94, v97, s[0:3], 0 offen
	buffer_load_dword v95, v97, s[0:3], 0 offen offset:4
	ds_read_b64 v[98:99], v96
	s_waitcnt vmcnt(0) lgkmcnt(0)
	v_mul_f64 v[94:95], v[94:95], v[98:99]
	s_cbranch_execz .LBB109_8
	s_branch .LBB109_9
.LBB109_7:
                                        ; implicit-def: $vgpr94_vgpr95
.LBB109_8:
	ds_read_b64 v[94:95], v96
.LBB109_9:
	v_mov_b32_e32 v98, 0
	ds_read_b64 v[98:99], v98 offset:352
	s_waitcnt lgkmcnt(0)
	v_mul_f64 v[94:95], v[94:95], v[98:99]
	buffer_store_dword v95, off, s[0:3], 0 offset:356
	buffer_store_dword v94, off, s[0:3], 0 offset:352
.LBB109_10:
	s_or_b64 exec, exec, s[6:7]
	buffer_load_dword v94, off, s[0:3], 0 offset:344
	buffer_load_dword v95, off, s[0:3], 0 offset:348
	v_or_b32_e32 v98, 8, v140
	v_add_u32_e32 v99, 16, v140
	v_add_u32_e32 v100, 24, v140
	;; [unrolled: 1-line block ×42, first 2 shown]
	v_cmp_lt_u32_e64 s[6:7], 43, v0
	s_waitcnt vmcnt(0)
	ds_write_b64 v96, v[94:95]
	s_waitcnt lgkmcnt(0)
	; wave barrier
	s_waitcnt lgkmcnt(0)
	s_and_saveexec_b64 s[10:11], s[6:7]
	s_cbranch_execz .LBB109_16
; %bb.11:
	s_andn2_b64 vcc, exec, s[8:9]
	s_cbranch_vccnz .LBB109_13
; %bb.12:
	buffer_load_dword v94, v97, s[0:3], 0 offen
	buffer_load_dword v95, v97, s[0:3], 0 offen offset:4
	ds_read_b64 v[142:143], v96
	s_waitcnt vmcnt(0) lgkmcnt(0)
	v_mul_f64 v[94:95], v[94:95], v[142:143]
	s_cbranch_execz .LBB109_14
	s_branch .LBB109_15
.LBB109_13:
                                        ; implicit-def: $vgpr94_vgpr95
.LBB109_14:
	ds_read_b64 v[94:95], v96
.LBB109_15:
	buffer_load_dword v146, off, s[0:3], 0 offset:352
	buffer_load_dword v147, off, s[0:3], 0 offset:356
	v_mov_b32_e32 v141, 0
	ds_read2_b64 v[142:145], v141 offset0:43 offset1:90
	s_waitcnt vmcnt(0) lgkmcnt(0)
	v_fma_f64 v[144:145], v[146:147], v[144:145], v[94:95]
	v_cndmask_b32_e64 v95, v95, v145, s[4:5]
	v_cndmask_b32_e64 v94, v94, v144, s[4:5]
	v_mul_f64 v[94:95], v[94:95], v[142:143]
	buffer_store_dword v95, off, s[0:3], 0 offset:348
	buffer_store_dword v94, off, s[0:3], 0 offset:344
.LBB109_16:
	s_or_b64 exec, exec, s[10:11]
	buffer_load_dword v94, off, s[0:3], 0 offset:336
	buffer_load_dword v95, off, s[0:3], 0 offset:340
	v_cmp_lt_u32_e64 s[4:5], 42, v0
	s_waitcnt vmcnt(0)
	ds_write_b64 v96, v[94:95]
	s_waitcnt lgkmcnt(0)
	; wave barrier
	s_waitcnt lgkmcnt(0)
	s_and_saveexec_b64 s[10:11], s[4:5]
	s_cbranch_execz .LBB109_26
; %bb.17:
	s_andn2_b64 vcc, exec, s[8:9]
	s_cbranch_vccnz .LBB109_19
; %bb.18:
	buffer_load_dword v94, v97, s[0:3], 0 offen
	buffer_load_dword v95, v97, s[0:3], 0 offen offset:4
	ds_read_b64 v[142:143], v96
	s_waitcnt vmcnt(0) lgkmcnt(0)
	v_mul_f64 v[94:95], v[94:95], v[142:143]
	s_cbranch_execz .LBB109_20
	s_branch .LBB109_21
.LBB109_19:
                                        ; implicit-def: $vgpr94_vgpr95
.LBB109_20:
	ds_read_b64 v[94:95], v96
.LBB109_21:
	s_and_saveexec_b64 s[12:13], s[6:7]
	s_cbranch_execz .LBB109_25
; %bb.22:
	v_subrev_u32_e32 v141, 43, v0
	s_movk_i32 s14, 0x2c8
	s_mov_b64 s[6:7], 0
.LBB109_23:                             ; =>This Inner Loop Header: Depth=1
	buffer_load_dword v142, v140, s[0:3], 0 offen
	buffer_load_dword v143, v140, s[0:3], 0 offen offset:4
	v_mov_b32_e32 v144, s14
	ds_read_b64 v[144:145], v144
	v_add_u32_e32 v141, -1, v141
	s_add_i32 s14, s14, 8
	v_cmp_eq_u32_e32 vcc, 0, v141
	v_add_u32_e32 v140, 8, v140
	s_or_b64 s[6:7], vcc, s[6:7]
	s_waitcnt vmcnt(0) lgkmcnt(0)
	v_fmac_f64_e32 v[94:95], v[142:143], v[144:145]
	s_andn2_b64 exec, exec, s[6:7]
	s_cbranch_execnz .LBB109_23
; %bb.24:
	s_or_b64 exec, exec, s[6:7]
.LBB109_25:
	s_or_b64 exec, exec, s[12:13]
	v_mov_b32_e32 v140, 0
	ds_read_b64 v[140:141], v140 offset:336
	s_waitcnt lgkmcnt(0)
	v_mul_f64 v[94:95], v[94:95], v[140:141]
	buffer_store_dword v95, off, s[0:3], 0 offset:340
	buffer_store_dword v94, off, s[0:3], 0 offset:336
.LBB109_26:
	s_or_b64 exec, exec, s[10:11]
	buffer_load_dword v94, off, s[0:3], 0 offset:328
	buffer_load_dword v95, off, s[0:3], 0 offset:332
	v_cmp_lt_u32_e64 s[6:7], 41, v0
	s_waitcnt vmcnt(0)
	ds_write_b64 v96, v[94:95]
	s_waitcnt lgkmcnt(0)
	; wave barrier
	s_waitcnt lgkmcnt(0)
	s_and_saveexec_b64 s[10:11], s[6:7]
	s_cbranch_execz .LBB109_36
; %bb.27:
	s_andn2_b64 vcc, exec, s[8:9]
	s_cbranch_vccnz .LBB109_29
; %bb.28:
	buffer_load_dword v94, v97, s[0:3], 0 offen
	buffer_load_dword v95, v97, s[0:3], 0 offen offset:4
	ds_read_b64 v[140:141], v96
	s_waitcnt vmcnt(0) lgkmcnt(0)
	v_mul_f64 v[94:95], v[94:95], v[140:141]
	s_cbranch_execz .LBB109_30
	s_branch .LBB109_31
.LBB109_29:
                                        ; implicit-def: $vgpr94_vgpr95
.LBB109_30:
	ds_read_b64 v[94:95], v96
.LBB109_31:
	s_and_saveexec_b64 s[12:13], s[4:5]
	s_cbranch_execz .LBB109_35
; %bb.32:
	v_subrev_u32_e32 v140, 42, v0
	s_movk_i32 s14, 0x2c0
	s_mov_b64 s[4:5], 0
.LBB109_33:                             ; =>This Inner Loop Header: Depth=1
	buffer_load_dword v142, v139, s[0:3], 0 offen
	buffer_load_dword v143, v139, s[0:3], 0 offen offset:4
	v_mov_b32_e32 v141, s14
	ds_read_b64 v[144:145], v141
	v_add_u32_e32 v140, -1, v140
	s_add_i32 s14, s14, 8
	v_cmp_eq_u32_e32 vcc, 0, v140
	v_add_u32_e32 v139, 8, v139
	s_or_b64 s[4:5], vcc, s[4:5]
	s_waitcnt vmcnt(0) lgkmcnt(0)
	v_fmac_f64_e32 v[94:95], v[142:143], v[144:145]
	s_andn2_b64 exec, exec, s[4:5]
	s_cbranch_execnz .LBB109_33
; %bb.34:
	s_or_b64 exec, exec, s[4:5]
.LBB109_35:
	s_or_b64 exec, exec, s[12:13]
	v_mov_b32_e32 v139, 0
	ds_read_b64 v[140:141], v139 offset:328
	s_waitcnt lgkmcnt(0)
	v_mul_f64 v[94:95], v[94:95], v[140:141]
	buffer_store_dword v95, off, s[0:3], 0 offset:332
	buffer_store_dword v94, off, s[0:3], 0 offset:328
.LBB109_36:
	;; [unrolled: 58-line block ×8, first 2 shown]
	s_or_b64 exec, exec, s[10:11]
	buffer_load_dword v94, off, s[0:3], 0 offset:272
	buffer_load_dword v95, off, s[0:3], 0 offset:276
	v_cmp_lt_u32_e64 s[4:5], 34, v0
	s_waitcnt vmcnt(0)
	ds_write_b64 v96, v[94:95]
	s_waitcnt lgkmcnt(0)
	; wave barrier
	s_waitcnt lgkmcnt(0)
	s_and_saveexec_b64 s[10:11], s[4:5]
	s_cbranch_execz .LBB109_106
; %bb.97:
	s_andn2_b64 vcc, exec, s[8:9]
	s_cbranch_vccnz .LBB109_99
; %bb.98:
	buffer_load_dword v94, v97, s[0:3], 0 offen
	buffer_load_dword v95, v97, s[0:3], 0 offen offset:4
	ds_read_b64 v[134:135], v96
	s_waitcnt vmcnt(0) lgkmcnt(0)
	v_mul_f64 v[94:95], v[94:95], v[134:135]
	s_cbranch_execz .LBB109_100
	s_branch .LBB109_101
.LBB109_99:
                                        ; implicit-def: $vgpr94_vgpr95
.LBB109_100:
	ds_read_b64 v[94:95], v96
.LBB109_101:
	s_and_saveexec_b64 s[12:13], s[6:7]
	s_cbranch_execz .LBB109_105
; %bb.102:
	v_subrev_u32_e32 v133, 35, v0
	s_movk_i32 s14, 0x288
	s_mov_b64 s[6:7], 0
.LBB109_103:                            ; =>This Inner Loop Header: Depth=1
	buffer_load_dword v134, v132, s[0:3], 0 offen
	buffer_load_dword v135, v132, s[0:3], 0 offen offset:4
	v_mov_b32_e32 v136, s14
	ds_read_b64 v[136:137], v136
	v_add_u32_e32 v133, -1, v133
	s_add_i32 s14, s14, 8
	v_cmp_eq_u32_e32 vcc, 0, v133
	v_add_u32_e32 v132, 8, v132
	s_or_b64 s[6:7], vcc, s[6:7]
	s_waitcnt vmcnt(0) lgkmcnt(0)
	v_fmac_f64_e32 v[94:95], v[134:135], v[136:137]
	s_andn2_b64 exec, exec, s[6:7]
	s_cbranch_execnz .LBB109_103
; %bb.104:
	s_or_b64 exec, exec, s[6:7]
.LBB109_105:
	s_or_b64 exec, exec, s[12:13]
	v_mov_b32_e32 v132, 0
	ds_read_b64 v[132:133], v132 offset:272
	s_waitcnt lgkmcnt(0)
	v_mul_f64 v[94:95], v[94:95], v[132:133]
	buffer_store_dword v95, off, s[0:3], 0 offset:276
	buffer_store_dword v94, off, s[0:3], 0 offset:272
.LBB109_106:
	s_or_b64 exec, exec, s[10:11]
	buffer_load_dword v94, off, s[0:3], 0 offset:264
	buffer_load_dword v95, off, s[0:3], 0 offset:268
	v_cmp_lt_u32_e64 s[6:7], 33, v0
	s_waitcnt vmcnt(0)
	ds_write_b64 v96, v[94:95]
	s_waitcnt lgkmcnt(0)
	; wave barrier
	s_waitcnt lgkmcnt(0)
	s_and_saveexec_b64 s[10:11], s[6:7]
	s_cbranch_execz .LBB109_116
; %bb.107:
	s_andn2_b64 vcc, exec, s[8:9]
	s_cbranch_vccnz .LBB109_109
; %bb.108:
	buffer_load_dword v94, v97, s[0:3], 0 offen
	buffer_load_dword v95, v97, s[0:3], 0 offen offset:4
	ds_read_b64 v[132:133], v96
	s_waitcnt vmcnt(0) lgkmcnt(0)
	v_mul_f64 v[94:95], v[94:95], v[132:133]
	s_cbranch_execz .LBB109_110
	s_branch .LBB109_111
.LBB109_109:
                                        ; implicit-def: $vgpr94_vgpr95
.LBB109_110:
	ds_read_b64 v[94:95], v96
.LBB109_111:
	s_and_saveexec_b64 s[12:13], s[4:5]
	s_cbranch_execz .LBB109_115
; %bb.112:
	v_subrev_u32_e32 v132, 34, v0
	s_movk_i32 s14, 0x280
	s_mov_b64 s[4:5], 0
.LBB109_113:                            ; =>This Inner Loop Header: Depth=1
	buffer_load_dword v134, v131, s[0:3], 0 offen
	buffer_load_dword v135, v131, s[0:3], 0 offen offset:4
	v_mov_b32_e32 v133, s14
	ds_read_b64 v[136:137], v133
	v_add_u32_e32 v132, -1, v132
	s_add_i32 s14, s14, 8
	v_cmp_eq_u32_e32 vcc, 0, v132
	v_add_u32_e32 v131, 8, v131
	s_or_b64 s[4:5], vcc, s[4:5]
	s_waitcnt vmcnt(0) lgkmcnt(0)
	v_fmac_f64_e32 v[94:95], v[134:135], v[136:137]
	s_andn2_b64 exec, exec, s[4:5]
	s_cbranch_execnz .LBB109_113
; %bb.114:
	s_or_b64 exec, exec, s[4:5]
.LBB109_115:
	s_or_b64 exec, exec, s[12:13]
	v_mov_b32_e32 v131, 0
	ds_read_b64 v[132:133], v131 offset:264
	s_waitcnt lgkmcnt(0)
	v_mul_f64 v[94:95], v[94:95], v[132:133]
	buffer_store_dword v95, off, s[0:3], 0 offset:268
	buffer_store_dword v94, off, s[0:3], 0 offset:264
.LBB109_116:
	;; [unrolled: 58-line block ×19, first 2 shown]
	s_or_b64 exec, exec, s[10:11]
	buffer_load_dword v94, off, s[0:3], 0 offset:120
	buffer_load_dword v95, off, s[0:3], 0 offset:124
	v_cmp_lt_u32_e64 s[6:7], 15, v0
	s_waitcnt vmcnt(0)
	ds_write_b64 v96, v[94:95]
	s_waitcnt lgkmcnt(0)
	; wave barrier
	s_waitcnt lgkmcnt(0)
	s_and_saveexec_b64 s[10:11], s[6:7]
	s_cbranch_execz .LBB109_296
; %bb.287:
	s_andn2_b64 vcc, exec, s[8:9]
	s_cbranch_vccnz .LBB109_289
; %bb.288:
	buffer_load_dword v94, v97, s[0:3], 0 offen
	buffer_load_dword v95, v97, s[0:3], 0 offen offset:4
	ds_read_b64 v[114:115], v96
	s_waitcnt vmcnt(0) lgkmcnt(0)
	v_mul_f64 v[94:95], v[94:95], v[114:115]
	s_cbranch_execz .LBB109_290
	s_branch .LBB109_291
.LBB109_289:
                                        ; implicit-def: $vgpr94_vgpr95
.LBB109_290:
	ds_read_b64 v[94:95], v96
.LBB109_291:
	s_and_saveexec_b64 s[12:13], s[4:5]
	s_cbranch_execz .LBB109_295
; %bb.292:
	v_add_u32_e32 v114, -16, v0
	s_movk_i32 s14, 0x1f0
	s_mov_b64 s[4:5], 0
.LBB109_293:                            ; =>This Inner Loop Header: Depth=1
	buffer_load_dword v116, v113, s[0:3], 0 offen
	buffer_load_dword v117, v113, s[0:3], 0 offen offset:4
	v_mov_b32_e32 v115, s14
	ds_read_b64 v[118:119], v115
	v_add_u32_e32 v114, -1, v114
	s_add_i32 s14, s14, 8
	v_cmp_eq_u32_e32 vcc, 0, v114
	v_add_u32_e32 v113, 8, v113
	s_or_b64 s[4:5], vcc, s[4:5]
	s_waitcnt vmcnt(0) lgkmcnt(0)
	v_fmac_f64_e32 v[94:95], v[116:117], v[118:119]
	s_andn2_b64 exec, exec, s[4:5]
	s_cbranch_execnz .LBB109_293
; %bb.294:
	s_or_b64 exec, exec, s[4:5]
.LBB109_295:
	s_or_b64 exec, exec, s[12:13]
	v_mov_b32_e32 v113, 0
	ds_read_b64 v[114:115], v113 offset:120
	s_waitcnt lgkmcnt(0)
	v_mul_f64 v[94:95], v[94:95], v[114:115]
	buffer_store_dword v95, off, s[0:3], 0 offset:124
	buffer_store_dword v94, off, s[0:3], 0 offset:120
.LBB109_296:
	s_or_b64 exec, exec, s[10:11]
	buffer_load_dword v94, off, s[0:3], 0 offset:112
	buffer_load_dword v95, off, s[0:3], 0 offset:116
	v_cmp_lt_u32_e64 s[4:5], 14, v0
	s_waitcnt vmcnt(0)
	ds_write_b64 v96, v[94:95]
	s_waitcnt lgkmcnt(0)
	; wave barrier
	s_waitcnt lgkmcnt(0)
	s_and_saveexec_b64 s[10:11], s[4:5]
	s_cbranch_execz .LBB109_306
; %bb.297:
	s_andn2_b64 vcc, exec, s[8:9]
	s_cbranch_vccnz .LBB109_299
; %bb.298:
	buffer_load_dword v94, v97, s[0:3], 0 offen
	buffer_load_dword v95, v97, s[0:3], 0 offen offset:4
	ds_read_b64 v[114:115], v96
	s_waitcnt vmcnt(0) lgkmcnt(0)
	v_mul_f64 v[94:95], v[94:95], v[114:115]
	s_cbranch_execz .LBB109_300
	s_branch .LBB109_301
.LBB109_299:
                                        ; implicit-def: $vgpr94_vgpr95
.LBB109_300:
	ds_read_b64 v[94:95], v96
.LBB109_301:
	s_and_saveexec_b64 s[12:13], s[6:7]
	s_cbranch_execz .LBB109_305
; %bb.302:
	v_add_u32_e32 v113, -15, v0
	s_movk_i32 s14, 0x1e8
	s_mov_b64 s[6:7], 0
.LBB109_303:                            ; =>This Inner Loop Header: Depth=1
	buffer_load_dword v114, v112, s[0:3], 0 offen
	buffer_load_dword v115, v112, s[0:3], 0 offen offset:4
	v_mov_b32_e32 v116, s14
	ds_read_b64 v[116:117], v116
	v_add_u32_e32 v113, -1, v113
	s_add_i32 s14, s14, 8
	v_cmp_eq_u32_e32 vcc, 0, v113
	v_add_u32_e32 v112, 8, v112
	s_or_b64 s[6:7], vcc, s[6:7]
	s_waitcnt vmcnt(0) lgkmcnt(0)
	v_fmac_f64_e32 v[94:95], v[114:115], v[116:117]
	s_andn2_b64 exec, exec, s[6:7]
	s_cbranch_execnz .LBB109_303
; %bb.304:
	s_or_b64 exec, exec, s[6:7]
.LBB109_305:
	s_or_b64 exec, exec, s[12:13]
	v_mov_b32_e32 v112, 0
	ds_read_b64 v[112:113], v112 offset:112
	s_waitcnt lgkmcnt(0)
	v_mul_f64 v[94:95], v[94:95], v[112:113]
	buffer_store_dword v95, off, s[0:3], 0 offset:116
	buffer_store_dword v94, off, s[0:3], 0 offset:112
.LBB109_306:
	;; [unrolled: 58-line block ×15, first 2 shown]
	s_or_b64 exec, exec, s[10:11]
	buffer_load_dword v94, off, s[0:3], 0
	buffer_load_dword v95, off, s[0:3], 0 offset:4
	v_cmp_ne_u32_e32 vcc, 0, v0
	s_waitcnt vmcnt(0)
	ds_write_b64 v96, v[94:95]
	s_waitcnt lgkmcnt(0)
	; wave barrier
	s_waitcnt lgkmcnt(0)
	s_and_saveexec_b64 s[4:5], vcc
	s_cbranch_execz .LBB109_446
; %bb.437:
	s_andn2_b64 vcc, exec, s[8:9]
	s_cbranch_vccnz .LBB109_439
; %bb.438:
	buffer_load_dword v94, v97, s[0:3], 0 offen
	buffer_load_dword v95, v97, s[0:3], 0 offen offset:4
	ds_read_b64 v[100:101], v96
	s_waitcnt vmcnt(0) lgkmcnt(0)
	v_mul_f64 v[94:95], v[94:95], v[100:101]
	s_cbranch_execz .LBB109_440
	s_branch .LBB109_441
.LBB109_439:
                                        ; implicit-def: $vgpr94_vgpr95
.LBB109_440:
	ds_read_b64 v[94:95], v96
.LBB109_441:
	s_and_saveexec_b64 s[10:11], s[6:7]
	s_cbranch_execz .LBB109_445
; %bb.442:
	v_add_u32_e32 v99, -1, v0
	s_movk_i32 s12, 0x178
	s_mov_b64 s[6:7], 0
.LBB109_443:                            ; =>This Inner Loop Header: Depth=1
	buffer_load_dword v100, v98, s[0:3], 0 offen
	buffer_load_dword v101, v98, s[0:3], 0 offen offset:4
	v_mov_b32_e32 v102, s12
	ds_read_b64 v[102:103], v102
	v_add_u32_e32 v99, -1, v99
	s_add_i32 s12, s12, 8
	v_cmp_eq_u32_e32 vcc, 0, v99
	v_add_u32_e32 v98, 8, v98
	s_or_b64 s[6:7], vcc, s[6:7]
	s_waitcnt vmcnt(0) lgkmcnt(0)
	v_fmac_f64_e32 v[94:95], v[100:101], v[102:103]
	s_andn2_b64 exec, exec, s[6:7]
	s_cbranch_execnz .LBB109_443
; %bb.444:
	s_or_b64 exec, exec, s[6:7]
.LBB109_445:
	s_or_b64 exec, exec, s[10:11]
	v_mov_b32_e32 v98, 0
	ds_read_b64 v[98:99], v98
	s_waitcnt lgkmcnt(0)
	v_mul_f64 v[94:95], v[94:95], v[98:99]
	buffer_store_dword v95, off, s[0:3], 0 offset:4
	buffer_store_dword v94, off, s[0:3], 0
.LBB109_446:
	s_or_b64 exec, exec, s[4:5]
	s_mov_b64 s[4:5], 0
.LBB109_447:
	s_and_b64 vcc, exec, s[4:5]
	s_cbranch_vccz .LBB109_891
; %bb.448:
	buffer_load_dword v94, off, s[0:3], 0 offset:8
	buffer_load_dword v95, off, s[0:3], 0 offset:12
	v_cmp_eq_u32_e64 s[6:7], 0, v0
	s_waitcnt vmcnt(0)
	ds_write_b64 v96, v[94:95]
	s_waitcnt lgkmcnt(0)
	; wave barrier
	s_waitcnt lgkmcnt(0)
	s_and_saveexec_b64 s[4:5], s[6:7]
	s_cbranch_execz .LBB109_454
; %bb.449:
	s_and_b64 vcc, exec, s[8:9]
	s_cbranch_vccz .LBB109_451
; %bb.450:
	buffer_load_dword v94, v97, s[0:3], 0 offen
	buffer_load_dword v95, v97, s[0:3], 0 offen offset:4
	ds_read_b64 v[98:99], v96
	s_waitcnt vmcnt(0) lgkmcnt(0)
	v_mul_f64 v[94:95], v[94:95], v[98:99]
	s_cbranch_execz .LBB109_452
	s_branch .LBB109_453
.LBB109_451:
                                        ; implicit-def: $vgpr94_vgpr95
.LBB109_452:
	ds_read_b64 v[94:95], v96
.LBB109_453:
	v_mov_b32_e32 v98, 0
	ds_read_b64 v[98:99], v98 offset:8
	s_waitcnt lgkmcnt(0)
	v_mul_f64 v[94:95], v[94:95], v[98:99]
	buffer_store_dword v95, off, s[0:3], 0 offset:12
	buffer_store_dword v94, off, s[0:3], 0 offset:8
.LBB109_454:
	s_or_b64 exec, exec, s[4:5]
	buffer_load_dword v94, off, s[0:3], 0 offset:16
	buffer_load_dword v95, off, s[0:3], 0 offset:20
	v_cndmask_b32_e64 v98, 0, 1, s[8:9]
	v_cmp_gt_u32_e32 vcc, 2, v0
	v_cmp_ne_u32_e64 s[4:5], 1, v98
	s_waitcnt vmcnt(0)
	ds_write_b64 v96, v[94:95]
	s_waitcnt lgkmcnt(0)
	; wave barrier
	s_waitcnt lgkmcnt(0)
	s_and_saveexec_b64 s[8:9], vcc
	s_cbranch_execz .LBB109_462
; %bb.455:
	s_and_b64 vcc, exec, s[4:5]
	s_cbranch_vccnz .LBB109_457
; %bb.456:
	buffer_load_dword v94, v97, s[0:3], 0 offen
	buffer_load_dword v95, v97, s[0:3], 0 offen offset:4
	ds_read_b64 v[98:99], v96
	s_waitcnt vmcnt(0) lgkmcnt(0)
	v_mul_f64 v[94:95], v[94:95], v[98:99]
	s_cbranch_execz .LBB109_458
	s_branch .LBB109_459
.LBB109_457:
                                        ; implicit-def: $vgpr94_vgpr95
.LBB109_458:
	ds_read_b64 v[94:95], v96
.LBB109_459:
	s_and_saveexec_b64 s[10:11], s[6:7]
	s_cbranch_execz .LBB109_461
; %bb.460:
	buffer_load_dword v98, v97, s[0:3], 0 offen offset:8
	buffer_load_dword v99, v97, s[0:3], 0 offen offset:12
	ds_read_b64 v[100:101], v96 offset:8
	s_waitcnt vmcnt(0) lgkmcnt(0)
	v_fmac_f64_e32 v[94:95], v[98:99], v[100:101]
.LBB109_461:
	s_or_b64 exec, exec, s[10:11]
	v_mov_b32_e32 v98, 0
	ds_read_b64 v[98:99], v98 offset:16
	s_waitcnt lgkmcnt(0)
	v_mul_f64 v[94:95], v[94:95], v[98:99]
	buffer_store_dword v95, off, s[0:3], 0 offset:20
	buffer_store_dword v94, off, s[0:3], 0 offset:16
.LBB109_462:
	s_or_b64 exec, exec, s[8:9]
	buffer_load_dword v94, off, s[0:3], 0 offset:24
	buffer_load_dword v95, off, s[0:3], 0 offset:28
	v_cmp_gt_u32_e32 vcc, 3, v0
	s_waitcnt vmcnt(0)
	ds_write_b64 v96, v[94:95]
	s_waitcnt lgkmcnt(0)
	; wave barrier
	s_waitcnt lgkmcnt(0)
	s_and_saveexec_b64 s[8:9], vcc
	s_cbranch_execz .LBB109_470
; %bb.463:
	s_and_b64 vcc, exec, s[4:5]
	s_cbranch_vccnz .LBB109_465
; %bb.464:
	buffer_load_dword v94, v97, s[0:3], 0 offen
	buffer_load_dword v95, v97, s[0:3], 0 offen offset:4
	ds_read_b64 v[98:99], v96
	s_waitcnt vmcnt(0) lgkmcnt(0)
	v_mul_f64 v[94:95], v[94:95], v[98:99]
	s_cbranch_execz .LBB109_466
	s_branch .LBB109_467
.LBB109_465:
                                        ; implicit-def: $vgpr94_vgpr95
.LBB109_466:
	ds_read_b64 v[94:95], v96
.LBB109_467:
	v_cmp_ne_u32_e32 vcc, 2, v0
	s_and_saveexec_b64 s[10:11], vcc
	s_cbranch_execz .LBB109_469
; %bb.468:
	buffer_load_dword v99, v97, s[0:3], 0 offen offset:12
	buffer_load_dword v100, off, s[0:3], 0 offset:16
	buffer_load_dword v98, v97, s[0:3], 0 offen offset:8
	buffer_load_dword v101, off, s[0:3], 0 offset:20
	v_mov_b32_e32 v104, 0
	ds_read_b64 v[102:103], v96 offset:8
	ds_read_b64 v[104:105], v104 offset:384
	s_waitcnt vmcnt(1) lgkmcnt(1)
	v_fmac_f64_e32 v[94:95], v[98:99], v[102:103]
	s_waitcnt vmcnt(0) lgkmcnt(0)
	v_fma_f64 v[98:99], v[100:101], v[104:105], v[94:95]
	v_cndmask_b32_e64 v95, v95, v99, s[6:7]
	v_cndmask_b32_e64 v94, v94, v98, s[6:7]
.LBB109_469:
	s_or_b64 exec, exec, s[10:11]
	v_mov_b32_e32 v98, 0
	ds_read_b64 v[98:99], v98 offset:24
	s_waitcnt lgkmcnt(0)
	v_mul_f64 v[94:95], v[94:95], v[98:99]
	buffer_store_dword v95, off, s[0:3], 0 offset:28
	buffer_store_dword v94, off, s[0:3], 0 offset:24
.LBB109_470:
	s_or_b64 exec, exec, s[8:9]
	buffer_load_dword v94, off, s[0:3], 0 offset:32
	buffer_load_dword v95, off, s[0:3], 0 offset:36
	v_cmp_gt_u32_e32 vcc, 4, v0
	s_waitcnt vmcnt(0)
	ds_write_b64 v96, v[94:95]
	s_waitcnt lgkmcnt(0)
	; wave barrier
	s_waitcnt lgkmcnt(0)
	s_and_saveexec_b64 s[6:7], vcc
	s_cbranch_execz .LBB109_480
; %bb.471:
	s_and_b64 vcc, exec, s[4:5]
	s_cbranch_vccnz .LBB109_473
; %bb.472:
	buffer_load_dword v94, v97, s[0:3], 0 offen
	buffer_load_dword v95, v97, s[0:3], 0 offen offset:4
	ds_read_b64 v[98:99], v96
	s_waitcnt vmcnt(0) lgkmcnt(0)
	v_mul_f64 v[94:95], v[94:95], v[98:99]
	s_cbranch_execz .LBB109_474
	s_branch .LBB109_475
.LBB109_473:
                                        ; implicit-def: $vgpr94_vgpr95
.LBB109_474:
	ds_read_b64 v[94:95], v96
.LBB109_475:
	v_cmp_ne_u32_e32 vcc, 3, v0
	s_and_saveexec_b64 s[8:9], vcc
	s_cbranch_execz .LBB109_479
; %bb.476:
	v_mov_b32_e32 v99, 0
	v_add_u32_e32 v98, 0x178, v1
	v_add3_u32 v99, v1, v99, 8
	s_mov_b64 s[10:11], 0
	v_mov_b32_e32 v100, v0
.LBB109_477:                            ; =>This Inner Loop Header: Depth=1
	buffer_load_dword v102, v99, s[0:3], 0 offen
	buffer_load_dword v103, v99, s[0:3], 0 offen offset:4
	ds_read_b64 v[104:105], v98
	v_add_u32_e32 v100, 1, v100
	v_cmp_lt_u32_e32 vcc, 2, v100
	v_add_u32_e32 v98, 8, v98
	v_add_u32_e32 v99, 8, v99
	s_or_b64 s[10:11], vcc, s[10:11]
	s_waitcnt vmcnt(0) lgkmcnt(0)
	v_fmac_f64_e32 v[94:95], v[102:103], v[104:105]
	s_andn2_b64 exec, exec, s[10:11]
	s_cbranch_execnz .LBB109_477
; %bb.478:
	s_or_b64 exec, exec, s[10:11]
.LBB109_479:
	s_or_b64 exec, exec, s[8:9]
	v_mov_b32_e32 v98, 0
	ds_read_b64 v[98:99], v98 offset:32
	s_waitcnt lgkmcnt(0)
	v_mul_f64 v[94:95], v[94:95], v[98:99]
	buffer_store_dword v95, off, s[0:3], 0 offset:36
	buffer_store_dword v94, off, s[0:3], 0 offset:32
.LBB109_480:
	s_or_b64 exec, exec, s[6:7]
	buffer_load_dword v94, off, s[0:3], 0 offset:40
	buffer_load_dword v95, off, s[0:3], 0 offset:44
	v_cmp_gt_u32_e32 vcc, 5, v0
	s_waitcnt vmcnt(0)
	ds_write_b64 v96, v[94:95]
	s_waitcnt lgkmcnt(0)
	; wave barrier
	s_waitcnt lgkmcnt(0)
	s_and_saveexec_b64 s[6:7], vcc
	s_cbranch_execz .LBB109_490
; %bb.481:
	s_and_b64 vcc, exec, s[4:5]
	s_cbranch_vccnz .LBB109_483
; %bb.482:
	buffer_load_dword v94, v97, s[0:3], 0 offen
	buffer_load_dword v95, v97, s[0:3], 0 offen offset:4
	ds_read_b64 v[98:99], v96
	s_waitcnt vmcnt(0) lgkmcnt(0)
	v_mul_f64 v[94:95], v[94:95], v[98:99]
	s_cbranch_execz .LBB109_484
	s_branch .LBB109_485
.LBB109_483:
                                        ; implicit-def: $vgpr94_vgpr95
.LBB109_484:
	ds_read_b64 v[94:95], v96
.LBB109_485:
	v_cmp_ne_u32_e32 vcc, 4, v0
	s_and_saveexec_b64 s[8:9], vcc
	s_cbranch_execz .LBB109_489
; %bb.486:
	v_mov_b32_e32 v99, 0
	v_add_u32_e32 v98, 0x178, v1
	v_add3_u32 v99, v1, v99, 8
	s_mov_b64 s[10:11], 0
	v_mov_b32_e32 v100, v0
.LBB109_487:                            ; =>This Inner Loop Header: Depth=1
	buffer_load_dword v102, v99, s[0:3], 0 offen
	buffer_load_dword v103, v99, s[0:3], 0 offen offset:4
	ds_read_b64 v[104:105], v98
	v_add_u32_e32 v100, 1, v100
	v_cmp_lt_u32_e32 vcc, 3, v100
	v_add_u32_e32 v98, 8, v98
	v_add_u32_e32 v99, 8, v99
	s_or_b64 s[10:11], vcc, s[10:11]
	s_waitcnt vmcnt(0) lgkmcnt(0)
	v_fmac_f64_e32 v[94:95], v[102:103], v[104:105]
	s_andn2_b64 exec, exec, s[10:11]
	s_cbranch_execnz .LBB109_487
; %bb.488:
	s_or_b64 exec, exec, s[10:11]
.LBB109_489:
	s_or_b64 exec, exec, s[8:9]
	v_mov_b32_e32 v98, 0
	ds_read_b64 v[98:99], v98 offset:40
	s_waitcnt lgkmcnt(0)
	v_mul_f64 v[94:95], v[94:95], v[98:99]
	buffer_store_dword v95, off, s[0:3], 0 offset:44
	buffer_store_dword v94, off, s[0:3], 0 offset:40
.LBB109_490:
	;; [unrolled: 60-line block ×40, first 2 shown]
	s_or_b64 exec, exec, s[6:7]
	buffer_load_dword v94, off, s[0:3], 0 offset:352
	buffer_load_dword v95, off, s[0:3], 0 offset:356
	v_cmp_gt_u32_e64 s[6:7], 44, v0
	s_waitcnt vmcnt(0)
	ds_write_b64 v96, v[94:95]
	s_waitcnt lgkmcnt(0)
	; wave barrier
	s_waitcnt lgkmcnt(0)
	s_and_saveexec_b64 s[8:9], s[6:7]
	s_cbranch_execz .LBB109_880
; %bb.871:
	s_and_b64 vcc, exec, s[4:5]
	s_cbranch_vccnz .LBB109_873
; %bb.872:
	buffer_load_dword v94, v97, s[0:3], 0 offen
	buffer_load_dword v95, v97, s[0:3], 0 offen offset:4
	ds_read_b64 v[98:99], v96
	s_waitcnt vmcnt(0) lgkmcnt(0)
	v_mul_f64 v[94:95], v[94:95], v[98:99]
	s_cbranch_execz .LBB109_874
	s_branch .LBB109_875
.LBB109_873:
                                        ; implicit-def: $vgpr94_vgpr95
.LBB109_874:
	ds_read_b64 v[94:95], v96
.LBB109_875:
	v_cmp_ne_u32_e32 vcc, 43, v0
	s_and_saveexec_b64 s[10:11], vcc
	s_cbranch_execz .LBB109_879
; %bb.876:
	v_mov_b32_e32 v99, 0
	v_add_u32_e32 v98, 0x178, v1
	v_add3_u32 v99, v1, v99, 8
	s_mov_b64 s[12:13], 0
	v_mov_b32_e32 v100, v0
.LBB109_877:                            ; =>This Inner Loop Header: Depth=1
	buffer_load_dword v102, v99, s[0:3], 0 offen
	buffer_load_dword v103, v99, s[0:3], 0 offen offset:4
	ds_read_b64 v[104:105], v98
	v_add_u32_e32 v100, 1, v100
	v_cmp_lt_u32_e32 vcc, 42, v100
	v_add_u32_e32 v98, 8, v98
	v_add_u32_e32 v99, 8, v99
	s_or_b64 s[12:13], vcc, s[12:13]
	s_waitcnt vmcnt(0) lgkmcnt(0)
	v_fmac_f64_e32 v[94:95], v[102:103], v[104:105]
	s_andn2_b64 exec, exec, s[12:13]
	s_cbranch_execnz .LBB109_877
; %bb.878:
	s_or_b64 exec, exec, s[12:13]
.LBB109_879:
	s_or_b64 exec, exec, s[10:11]
	v_mov_b32_e32 v98, 0
	ds_read_b64 v[98:99], v98 offset:352
	s_waitcnt lgkmcnt(0)
	v_mul_f64 v[94:95], v[94:95], v[98:99]
	buffer_store_dword v95, off, s[0:3], 0 offset:356
	buffer_store_dword v94, off, s[0:3], 0 offset:352
.LBB109_880:
	s_or_b64 exec, exec, s[8:9]
	buffer_load_dword v94, off, s[0:3], 0 offset:360
	buffer_load_dword v95, off, s[0:3], 0 offset:364
	v_cmp_ne_u32_e32 vcc, 45, v0
	s_waitcnt vmcnt(0)
	ds_write_b64 v96, v[94:95]
	s_waitcnt lgkmcnt(0)
	; wave barrier
	s_waitcnt lgkmcnt(0)
	s_and_saveexec_b64 s[8:9], vcc
	s_cbranch_execz .LBB109_890
; %bb.881:
	s_and_b64 vcc, exec, s[4:5]
	s_cbranch_vccnz .LBB109_883
; %bb.882:
	buffer_load_dword v94, v97, s[0:3], 0 offen
	buffer_load_dword v95, v97, s[0:3], 0 offen offset:4
	ds_read_b64 v[98:99], v96
	s_waitcnt vmcnt(0) lgkmcnt(0)
	v_mul_f64 v[94:95], v[94:95], v[98:99]
	s_cbranch_execz .LBB109_884
	s_branch .LBB109_885
.LBB109_883:
                                        ; implicit-def: $vgpr94_vgpr95
.LBB109_884:
	ds_read_b64 v[94:95], v96
.LBB109_885:
	s_and_saveexec_b64 s[4:5], s[6:7]
	s_cbranch_execz .LBB109_889
; %bb.886:
	v_mov_b32_e32 v97, 0
	v_add_u32_e32 v96, 0x178, v1
	v_add3_u32 v1, v1, v97, 8
	s_mov_b64 s[6:7], 0
.LBB109_887:                            ; =>This Inner Loop Header: Depth=1
	buffer_load_dword v98, v1, s[0:3], 0 offen
	buffer_load_dword v99, v1, s[0:3], 0 offen offset:4
	ds_read_b64 v[100:101], v96
	v_add_u32_e32 v0, 1, v0
	v_cmp_lt_u32_e32 vcc, 43, v0
	v_add_u32_e32 v96, 8, v96
	v_add_u32_e32 v1, 8, v1
	s_or_b64 s[6:7], vcc, s[6:7]
	s_waitcnt vmcnt(0) lgkmcnt(0)
	v_fmac_f64_e32 v[94:95], v[98:99], v[100:101]
	s_andn2_b64 exec, exec, s[6:7]
	s_cbranch_execnz .LBB109_887
; %bb.888:
	s_or_b64 exec, exec, s[6:7]
.LBB109_889:
	s_or_b64 exec, exec, s[4:5]
	v_mov_b32_e32 v0, 0
	ds_read_b64 v[0:1], v0 offset:360
	s_waitcnt lgkmcnt(0)
	v_mul_f64 v[0:1], v[94:95], v[0:1]
	buffer_store_dword v1, off, s[0:3], 0 offset:364
	buffer_store_dword v0, off, s[0:3], 0 offset:360
.LBB109_890:
	s_or_b64 exec, exec, s[8:9]
.LBB109_891:
	buffer_load_dword v0, off, s[0:3], 0
	buffer_load_dword v1, off, s[0:3], 0 offset:4
	buffer_load_dword v94, off, s[0:3], 0 offset:8
	;; [unrolled: 1-line block ×15, first 2 shown]
	s_waitcnt vmcnt(14)
	global_store_dwordx2 v[90:91], v[0:1], off
	s_waitcnt vmcnt(13)
	global_store_dwordx2 v[92:93], v[94:95], off
	;; [unrolled: 2-line block ×8, first 2 shown]
	buffer_load_dword v1, off, s[0:3], 0 offset:68
	buffer_load_dword v0, off, s[0:3], 0 offset:64
	s_waitcnt vmcnt(0)
	global_store_dwordx2 v[20:21], v[0:1], off
	buffer_load_dword v0, off, s[0:3], 0 offset:72
	s_nop 0
	buffer_load_dword v1, off, s[0:3], 0 offset:76
	s_waitcnt vmcnt(0)
	global_store_dwordx2 v[12:13], v[0:1], off
	buffer_load_dword v0, off, s[0:3], 0 offset:80
	s_nop 0
	;; [unrolled: 5-line block ×37, first 2 shown]
	buffer_load_dword v1, off, s[0:3], 0 offset:364
	s_waitcnt vmcnt(0)
	global_store_dwordx2 v[78:79], v[0:1], off
.LBB109_892:
	s_endpgm
	.section	.rodata,"a",@progbits
	.p2align	6, 0x0
	.amdhsa_kernel _ZN9rocsolver6v33100L18trti2_kernel_smallILi46EdPKPdEEv13rocblas_fill_17rocblas_diagonal_T1_iil
		.amdhsa_group_segment_fixed_size 736
		.amdhsa_private_segment_fixed_size 384
		.amdhsa_kernarg_size 32
		.amdhsa_user_sgpr_count 8
		.amdhsa_user_sgpr_private_segment_buffer 1
		.amdhsa_user_sgpr_dispatch_ptr 0
		.amdhsa_user_sgpr_queue_ptr 0
		.amdhsa_user_sgpr_kernarg_segment_ptr 1
		.amdhsa_user_sgpr_dispatch_id 0
		.amdhsa_user_sgpr_flat_scratch_init 1
		.amdhsa_user_sgpr_kernarg_preload_length 0
		.amdhsa_user_sgpr_kernarg_preload_offset 0
		.amdhsa_user_sgpr_private_segment_size 0
		.amdhsa_uses_dynamic_stack 0
		.amdhsa_system_sgpr_private_segment_wavefront_offset 1
		.amdhsa_system_sgpr_workgroup_id_x 1
		.amdhsa_system_sgpr_workgroup_id_y 0
		.amdhsa_system_sgpr_workgroup_id_z 0
		.amdhsa_system_sgpr_workgroup_info 0
		.amdhsa_system_vgpr_workitem_id 0
		.amdhsa_next_free_vgpr 164
		.amdhsa_next_free_sgpr 16
		.amdhsa_accum_offset 164
		.amdhsa_reserve_vcc 1
		.amdhsa_reserve_flat_scratch 0
		.amdhsa_float_round_mode_32 0
		.amdhsa_float_round_mode_16_64 0
		.amdhsa_float_denorm_mode_32 3
		.amdhsa_float_denorm_mode_16_64 3
		.amdhsa_dx10_clamp 1
		.amdhsa_ieee_mode 1
		.amdhsa_fp16_overflow 0
		.amdhsa_tg_split 0
		.amdhsa_exception_fp_ieee_invalid_op 0
		.amdhsa_exception_fp_denorm_src 0
		.amdhsa_exception_fp_ieee_div_zero 0
		.amdhsa_exception_fp_ieee_overflow 0
		.amdhsa_exception_fp_ieee_underflow 0
		.amdhsa_exception_fp_ieee_inexact 0
		.amdhsa_exception_int_div_zero 0
	.end_amdhsa_kernel
	.section	.text._ZN9rocsolver6v33100L18trti2_kernel_smallILi46EdPKPdEEv13rocblas_fill_17rocblas_diagonal_T1_iil,"axG",@progbits,_ZN9rocsolver6v33100L18trti2_kernel_smallILi46EdPKPdEEv13rocblas_fill_17rocblas_diagonal_T1_iil,comdat
.Lfunc_end109:
	.size	_ZN9rocsolver6v33100L18trti2_kernel_smallILi46EdPKPdEEv13rocblas_fill_17rocblas_diagonal_T1_iil, .Lfunc_end109-_ZN9rocsolver6v33100L18trti2_kernel_smallILi46EdPKPdEEv13rocblas_fill_17rocblas_diagonal_T1_iil
                                        ; -- End function
	.section	.AMDGPU.csdata,"",@progbits
; Kernel info:
; codeLenInByte = 26952
; NumSgprs: 20
; NumVgprs: 164
; NumAgprs: 0
; TotalNumVgprs: 164
; ScratchSize: 384
; MemoryBound: 0
; FloatMode: 240
; IeeeMode: 1
; LDSByteSize: 736 bytes/workgroup (compile time only)
; SGPRBlocks: 2
; VGPRBlocks: 20
; NumSGPRsForWavesPerEU: 20
; NumVGPRsForWavesPerEU: 164
; AccumOffset: 164
; Occupancy: 3
; WaveLimiterHint : 1
; COMPUTE_PGM_RSRC2:SCRATCH_EN: 1
; COMPUTE_PGM_RSRC2:USER_SGPR: 8
; COMPUTE_PGM_RSRC2:TRAP_HANDLER: 0
; COMPUTE_PGM_RSRC2:TGID_X_EN: 1
; COMPUTE_PGM_RSRC2:TGID_Y_EN: 0
; COMPUTE_PGM_RSRC2:TGID_Z_EN: 0
; COMPUTE_PGM_RSRC2:TIDIG_COMP_CNT: 0
; COMPUTE_PGM_RSRC3_GFX90A:ACCUM_OFFSET: 40
; COMPUTE_PGM_RSRC3_GFX90A:TG_SPLIT: 0
	.section	.text._ZN9rocsolver6v33100L18trti2_kernel_smallILi47EdPKPdEEv13rocblas_fill_17rocblas_diagonal_T1_iil,"axG",@progbits,_ZN9rocsolver6v33100L18trti2_kernel_smallILi47EdPKPdEEv13rocblas_fill_17rocblas_diagonal_T1_iil,comdat
	.globl	_ZN9rocsolver6v33100L18trti2_kernel_smallILi47EdPKPdEEv13rocblas_fill_17rocblas_diagonal_T1_iil ; -- Begin function _ZN9rocsolver6v33100L18trti2_kernel_smallILi47EdPKPdEEv13rocblas_fill_17rocblas_diagonal_T1_iil
	.p2align	8
	.type	_ZN9rocsolver6v33100L18trti2_kernel_smallILi47EdPKPdEEv13rocblas_fill_17rocblas_diagonal_T1_iil,@function
_ZN9rocsolver6v33100L18trti2_kernel_smallILi47EdPKPdEEv13rocblas_fill_17rocblas_diagonal_T1_iil: ; @_ZN9rocsolver6v33100L18trti2_kernel_smallILi47EdPKPdEEv13rocblas_fill_17rocblas_diagonal_T1_iil
; %bb.0:
	s_add_u32 s0, s0, s9
	s_addc_u32 s1, s1, 0
	v_cmp_gt_u32_e32 vcc, 47, v0
	s_and_saveexec_b64 s[6:7], vcc
	s_cbranch_execz .LBB110_912
; %bb.1:
	s_load_dwordx2 s[6:7], s[4:5], 0x10
	s_load_dwordx4 s[12:15], s[4:5], 0x0
	s_ashr_i32 s9, s8, 31
	s_lshl_b64 s[4:5], s[8:9], 3
	s_waitcnt lgkmcnt(0)
	s_ashr_i32 s9, s6, 31
	s_add_u32 s4, s14, s4
	s_addc_u32 s5, s15, s5
	s_load_dwordx2 s[4:5], s[4:5], 0x0
	s_mov_b32 s8, s6
	s_lshl_b64 s[8:9], s[8:9], 3
	s_waitcnt lgkmcnt(0)
	s_add_u32 s4, s4, s8
	s_addc_u32 s5, s5, s9
	s_add_i32 s6, s7, s7
	v_add_u32_e32 v4, s6, v0
	v_ashrrev_i32_e32 v5, 31, v4
	v_lshlrev_b64 v[2:3], 3, v[4:5]
	v_add_u32_e32 v6, s7, v4
	v_mov_b32_e32 v1, s5
	v_add_co_u32_e32 v2, vcc, s4, v2
	v_ashrrev_i32_e32 v7, 31, v6
	v_addc_co_u32_e32 v3, vcc, v1, v3, vcc
	v_lshlrev_b64 v[4:5], 3, v[6:7]
	v_add_u32_e32 v8, s7, v6
	v_add_co_u32_e32 v4, vcc, s4, v4
	v_ashrrev_i32_e32 v9, 31, v8
	v_addc_co_u32_e32 v5, vcc, v1, v5, vcc
	v_lshlrev_b64 v[6:7], 3, v[8:9]
	v_add_u32_e32 v10, s7, v8
	;; [unrolled: 5-line block ×5, first 2 shown]
	v_add_co_u32_e32 v14, vcc, s4, v14
	v_ashrrev_i32_e32 v13, 31, v12
	v_addc_co_u32_e32 v15, vcc, v1, v15, vcc
	v_lshlrev_b64 v[16:17], 3, v[12:13]
	v_add_co_u32_e32 v20, vcc, s4, v16
	v_add_u32_e32 v16, s7, v12
	v_addc_co_u32_e32 v21, vcc, v1, v17, vcc
	v_ashrrev_i32_e32 v17, 31, v16
	v_lshlrev_b64 v[12:13], 3, v[16:17]
	v_add_u32_e32 v18, s7, v16
	v_add_co_u32_e32 v12, vcc, s4, v12
	v_ashrrev_i32_e32 v19, 31, v18
	v_addc_co_u32_e32 v13, vcc, v1, v13, vcc
	v_lshlrev_b64 v[16:17], 3, v[18:19]
	v_add_u32_e32 v22, s7, v18
	v_add_co_u32_e32 v16, vcc, s4, v16
	v_ashrrev_i32_e32 v23, 31, v22
	v_addc_co_u32_e32 v17, vcc, v1, v17, vcc
	;; [unrolled: 5-line block ×30, first 2 shown]
	v_lshlrev_b64 v[76:77], 3, v[78:79]
	v_add_co_u32_e32 v76, vcc, s4, v76
	v_addc_co_u32_e32 v77, vcc, v1, v77, vcc
	v_lshlrev_b32_e32 v1, 3, v0
	global_load_dwordx2 v[96:97], v1, s[4:5]
	global_load_dwordx2 v[100:101], v[2:3], off
	global_load_dwordx2 v[102:103], v[4:5], off
	;; [unrolled: 1-line block ×3, first 2 shown]
	v_mov_b32_e32 v79, s5
	v_add_co_u32_e32 v92, vcc, s4, v1
	s_ashr_i32 s9, s7, 31
	s_mov_b32 s8, s7
	v_addc_co_u32_e32 v93, vcc, 0, v79, vcc
	s_lshl_b64 s[8:9], s[8:9], 3
	v_mov_b32_e32 v79, s9
	v_add_co_u32_e32 v94, vcc, s8, v92
	v_addc_co_u32_e32 v95, vcc, v93, v79, vcc
	global_load_dwordx2 v[98:99], v[94:95], off
	global_load_dwordx2 v[106:107], v[8:9], off
	;; [unrolled: 1-line block ×9, first 2 shown]
	v_add_u32_e32 v78, s7, v78
	v_ashrrev_i32_e32 v79, 31, v78
	v_lshlrev_b64 v[80:81], 3, v[78:79]
	v_add_u32_e32 v78, s7, v78
	v_mov_b32_e32 v82, s5
	v_add_co_u32_e32 v80, vcc, s4, v80
	v_ashrrev_i32_e32 v79, 31, v78
	v_addc_co_u32_e32 v81, vcc, v82, v81, vcc
	v_lshlrev_b64 v[82:83], 3, v[78:79]
	v_add_u32_e32 v78, s7, v78
	v_mov_b32_e32 v84, s5
	v_add_co_u32_e32 v82, vcc, s4, v82
	v_ashrrev_i32_e32 v79, 31, v78
	v_addc_co_u32_e32 v83, vcc, v84, v83, vcc
	;; [unrolled: 6-line block ×6, first 2 shown]
	global_load_dwordx2 v[122:123], v[24:25], off
	v_lshlrev_b64 v[78:79], 3, v[78:79]
	v_mov_b32_e32 v132, s5
	v_add_co_u32_e32 v78, vcc, s4, v78
	global_load_dwordx2 v[124:125], v[26:27], off
	global_load_dwordx2 v[126:127], v[28:29], off
	;; [unrolled: 1-line block ×4, first 2 shown]
	v_addc_co_u32_e32 v79, vcc, v132, v79, vcc
	global_load_dwordx2 v[132:133], v[34:35], off
	global_load_dwordx2 v[134:135], v[78:79], off
	;; [unrolled: 1-line block ×16, first 2 shown]
	s_cmpk_lg_i32 s13, 0x84
	s_waitcnt vmcnt(33)
	buffer_store_dword v97, off, s[0:3], 0 offset:4
	buffer_store_dword v96, off, s[0:3], 0
	global_load_dwordx2 v[96:97], v[40:41], off
	s_cselect_b64 s[8:9], -1, 0
	s_waitcnt vmcnt(32)
	buffer_store_dword v99, off, s[0:3], 0 offset:12
	buffer_store_dword v98, off, s[0:3], 0 offset:8
	global_load_dwordx2 v[98:99], v[44:45], off
	s_cmpk_eq_i32 s13, 0x84
	buffer_store_dword v101, off, s[0:3], 0 offset:20
	buffer_store_dword v100, off, s[0:3], 0 offset:16
	global_load_dwordx2 v[100:101], v[48:49], off
	s_nop 0
	buffer_store_dword v103, off, s[0:3], 0 offset:28
	buffer_store_dword v102, off, s[0:3], 0 offset:24
	global_load_dwordx2 v[102:103], v[52:53], off
	s_nop 0
	buffer_store_dword v105, off, s[0:3], 0 offset:36
	buffer_store_dword v104, off, s[0:3], 0 offset:32
	global_load_dwordx2 v[104:105], v[56:57], off
	s_waitcnt vmcnt(43)
	buffer_store_dword v107, off, s[0:3], 0 offset:44
	buffer_store_dword v106, off, s[0:3], 0 offset:40
	global_load_dwordx2 v[106:107], v[60:61], off
	s_waitcnt vmcnt(45)
	;; [unrolled: 4-line block ×5, first 2 shown]
	buffer_store_dword v114, off, s[0:3], 0 offset:72
	buffer_store_dword v115, off, s[0:3], 0 offset:76
	global_load_dwordx2 v[114:115], v[76:77], off
	s_nop 0
	buffer_store_dword v116, off, s[0:3], 0 offset:80
	buffer_store_dword v117, off, s[0:3], 0 offset:84
	global_load_dwordx2 v[116:117], v[82:83], off
	s_nop 0
	buffer_store_dword v118, off, s[0:3], 0 offset:88
	buffer_store_dword v119, off, s[0:3], 0 offset:92
	global_load_dwordx2 v[118:119], v[86:87], off
	s_nop 0
	buffer_store_dword v120, off, s[0:3], 0 offset:96
	buffer_store_dword v121, off, s[0:3], 0 offset:100
	global_load_dwordx2 v[120:121], v[90:91], off
	s_waitcnt vmcnt(59)
	buffer_store_dword v122, off, s[0:3], 0 offset:104
	buffer_store_dword v123, off, s[0:3], 0 offset:108
	s_waitcnt vmcnt(60)
	buffer_store_dword v125, off, s[0:3], 0 offset:116
	buffer_store_dword v124, off, s[0:3], 0 offset:112
	;; [unrolled: 3-line block ×5, first 2 shown]
	buffer_store_dword v132, off, s[0:3], 0 offset:144
	buffer_store_dword v133, off, s[0:3], 0 offset:148
	s_waitcnt vmcnt(62)
	buffer_store_dword v137, off, s[0:3], 0 offset:156
	buffer_store_dword v136, off, s[0:3], 0 offset:152
	buffer_store_dword v139, off, s[0:3], 0 offset:164
	buffer_store_dword v138, off, s[0:3], 0 offset:160
	s_waitcnt vmcnt(52)
	buffer_store_dword v96, off, s[0:3], 0 offset:168
	buffer_store_dword v97, off, s[0:3], 0 offset:172
	;; [unrolled: 5-line block ×14, first 2 shown]
	buffer_store_dword v134, off, s[0:3], 0 offset:368
	buffer_store_dword v135, off, s[0:3], 0 offset:372
	v_mov_b32_e32 v96, 0
	v_mov_b32_e32 v143, 0
	;; [unrolled: 1-line block ×3, first 2 shown]
	s_cbranch_scc1 .LBB110_3
; %bb.2:
	v_lshl_add_u32 v106, v0, 3, v143
	buffer_load_dword v96, v106, s[0:3], 0 offen
	buffer_load_dword v97, v106, s[0:3], 0 offen offset:4
	s_waitcnt vmcnt(0)
	v_div_scale_f64 v[98:99], s[4:5], v[96:97], v[96:97], 1.0
	v_rcp_f64_e32 v[100:101], v[98:99]
	v_div_scale_f64 v[102:103], vcc, 1.0, v[96:97], 1.0
	v_fma_f64 v[104:105], -v[98:99], v[100:101], 1.0
	v_fmac_f64_e32 v[100:101], v[100:101], v[104:105]
	v_fma_f64 v[104:105], -v[98:99], v[100:101], 1.0
	v_fmac_f64_e32 v[100:101], v[100:101], v[104:105]
	v_mul_f64 v[104:105], v[102:103], v[100:101]
	v_fma_f64 v[98:99], -v[98:99], v[104:105], v[102:103]
	v_div_fmas_f64 v[98:99], v[98:99], v[100:101], v[104:105]
	v_div_fixup_f64 v[96:97], v[98:99], v[96:97], 1.0
	buffer_store_dword v96, v106, s[0:3], 0 offen
	buffer_store_dword v97, v106, s[0:3], 0 offen offset:4
	v_xor_b32_e32 v97, 0x80000000, v97
.LBB110_3:
	s_cmpk_eq_i32 s12, 0x79
	v_add_u32_e32 v98, 0x180, v1
	v_add_u32_e32 v99, 0, v1
	s_mov_b64 s[4:5], -1
	ds_write_b64 v1, v[96:97]
	s_cbranch_scc1 .LBB110_457
; %bb.4:
	buffer_load_dword v96, off, s[0:3], 0 offset:360
	buffer_load_dword v97, off, s[0:3], 0 offset:364
	v_cmp_eq_u32_e64 s[4:5], 46, v0
	s_waitcnt vmcnt(0)
	ds_write_b64 v98, v[96:97]
	s_waitcnt lgkmcnt(0)
	; wave barrier
	s_waitcnt lgkmcnt(0)
	s_and_saveexec_b64 s[6:7], s[4:5]
	s_cbranch_execz .LBB110_10
; %bb.5:
	s_and_b64 vcc, exec, s[8:9]
	s_cbranch_vccz .LBB110_7
; %bb.6:
	buffer_load_dword v96, v99, s[0:3], 0 offen
	buffer_load_dword v97, v99, s[0:3], 0 offen offset:4
	ds_read_b64 v[100:101], v98
	s_waitcnt vmcnt(0) lgkmcnt(0)
	v_mul_f64 v[96:97], v[96:97], v[100:101]
	s_cbranch_execz .LBB110_8
	s_branch .LBB110_9
.LBB110_7:
                                        ; implicit-def: $vgpr96_vgpr97
.LBB110_8:
	ds_read_b64 v[96:97], v98
.LBB110_9:
	v_mov_b32_e32 v100, 0
	ds_read_b64 v[100:101], v100 offset:360
	s_waitcnt lgkmcnt(0)
	v_mul_f64 v[96:97], v[96:97], v[100:101]
	buffer_store_dword v97, off, s[0:3], 0 offset:364
	buffer_store_dword v96, off, s[0:3], 0 offset:360
.LBB110_10:
	s_or_b64 exec, exec, s[6:7]
	buffer_load_dword v96, off, s[0:3], 0 offset:352
	buffer_load_dword v97, off, s[0:3], 0 offset:356
	v_or_b32_e32 v100, 8, v143
	v_add_u32_e32 v101, 16, v143
	v_add_u32_e32 v102, 24, v143
	;; [unrolled: 1-line block ×43, first 2 shown]
	v_cmp_lt_u32_e64 s[6:7], 44, v0
	s_waitcnt vmcnt(0)
	ds_write_b64 v98, v[96:97]
	s_waitcnt lgkmcnt(0)
	; wave barrier
	s_waitcnt lgkmcnt(0)
	s_and_saveexec_b64 s[10:11], s[6:7]
	s_cbranch_execz .LBB110_16
; %bb.11:
	s_andn2_b64 vcc, exec, s[8:9]
	s_cbranch_vccnz .LBB110_13
; %bb.12:
	buffer_load_dword v96, v99, s[0:3], 0 offen
	buffer_load_dword v97, v99, s[0:3], 0 offen offset:4
	ds_read_b64 v[144:145], v98
	s_waitcnt vmcnt(0) lgkmcnt(0)
	v_mul_f64 v[96:97], v[96:97], v[144:145]
	s_cbranch_execz .LBB110_14
	s_branch .LBB110_15
.LBB110_13:
                                        ; implicit-def: $vgpr96_vgpr97
.LBB110_14:
	ds_read_b64 v[96:97], v98
.LBB110_15:
	buffer_load_dword v148, off, s[0:3], 0 offset:360
	buffer_load_dword v149, off, s[0:3], 0 offset:364
	v_mov_b32_e32 v144, 0
	ds_read2_b64 v[144:147], v144 offset0:44 offset1:93
	s_waitcnt vmcnt(0) lgkmcnt(0)
	v_fma_f64 v[146:147], v[148:149], v[146:147], v[96:97]
	v_cndmask_b32_e64 v97, v97, v147, s[4:5]
	v_cndmask_b32_e64 v96, v96, v146, s[4:5]
	v_mul_f64 v[96:97], v[96:97], v[144:145]
	buffer_store_dword v97, off, s[0:3], 0 offset:356
	buffer_store_dword v96, off, s[0:3], 0 offset:352
.LBB110_16:
	s_or_b64 exec, exec, s[10:11]
	buffer_load_dword v96, off, s[0:3], 0 offset:344
	buffer_load_dword v97, off, s[0:3], 0 offset:348
	v_cmp_lt_u32_e64 s[4:5], 43, v0
	s_waitcnt vmcnt(0)
	ds_write_b64 v98, v[96:97]
	s_waitcnt lgkmcnt(0)
	; wave barrier
	s_waitcnt lgkmcnt(0)
	s_and_saveexec_b64 s[10:11], s[4:5]
	s_cbranch_execz .LBB110_26
; %bb.17:
	s_andn2_b64 vcc, exec, s[8:9]
	s_cbranch_vccnz .LBB110_19
; %bb.18:
	buffer_load_dword v96, v99, s[0:3], 0 offen
	buffer_load_dword v97, v99, s[0:3], 0 offen offset:4
	ds_read_b64 v[144:145], v98
	s_waitcnt vmcnt(0) lgkmcnt(0)
	v_mul_f64 v[96:97], v[96:97], v[144:145]
	s_cbranch_execz .LBB110_20
	s_branch .LBB110_21
.LBB110_19:
                                        ; implicit-def: $vgpr96_vgpr97
.LBB110_20:
	ds_read_b64 v[96:97], v98
.LBB110_21:
	s_and_saveexec_b64 s[12:13], s[6:7]
	s_cbranch_execz .LBB110_25
; %bb.22:
	v_subrev_u32_e32 v144, 44, v0
	s_movk_i32 s14, 0x2e0
	s_mov_b64 s[6:7], 0
.LBB110_23:                             ; =>This Inner Loop Header: Depth=1
	buffer_load_dword v146, v143, s[0:3], 0 offen
	buffer_load_dword v147, v143, s[0:3], 0 offen offset:4
	v_mov_b32_e32 v145, s14
	ds_read_b64 v[148:149], v145
	v_add_u32_e32 v144, -1, v144
	s_add_i32 s14, s14, 8
	v_cmp_eq_u32_e32 vcc, 0, v144
	v_add_u32_e32 v143, 8, v143
	s_or_b64 s[6:7], vcc, s[6:7]
	s_waitcnt vmcnt(0) lgkmcnt(0)
	v_fmac_f64_e32 v[96:97], v[146:147], v[148:149]
	s_andn2_b64 exec, exec, s[6:7]
	s_cbranch_execnz .LBB110_23
; %bb.24:
	s_or_b64 exec, exec, s[6:7]
.LBB110_25:
	s_or_b64 exec, exec, s[12:13]
	v_mov_b32_e32 v143, 0
	ds_read_b64 v[144:145], v143 offset:344
	s_waitcnt lgkmcnt(0)
	v_mul_f64 v[96:97], v[96:97], v[144:145]
	buffer_store_dword v97, off, s[0:3], 0 offset:348
	buffer_store_dword v96, off, s[0:3], 0 offset:344
.LBB110_26:
	s_or_b64 exec, exec, s[10:11]
	buffer_load_dword v96, off, s[0:3], 0 offset:336
	buffer_load_dword v97, off, s[0:3], 0 offset:340
	v_cmp_lt_u32_e64 s[6:7], 42, v0
	s_waitcnt vmcnt(0)
	ds_write_b64 v98, v[96:97]
	s_waitcnt lgkmcnt(0)
	; wave barrier
	s_waitcnt lgkmcnt(0)
	s_and_saveexec_b64 s[10:11], s[6:7]
	s_cbranch_execz .LBB110_36
; %bb.27:
	s_andn2_b64 vcc, exec, s[8:9]
	s_cbranch_vccnz .LBB110_29
; %bb.28:
	buffer_load_dword v96, v99, s[0:3], 0 offen
	buffer_load_dword v97, v99, s[0:3], 0 offen offset:4
	ds_read_b64 v[144:145], v98
	s_waitcnt vmcnt(0) lgkmcnt(0)
	v_mul_f64 v[96:97], v[96:97], v[144:145]
	s_cbranch_execz .LBB110_30
	s_branch .LBB110_31
.LBB110_29:
                                        ; implicit-def: $vgpr96_vgpr97
.LBB110_30:
	ds_read_b64 v[96:97], v98
.LBB110_31:
	s_and_saveexec_b64 s[12:13], s[4:5]
	s_cbranch_execz .LBB110_35
; %bb.32:
	v_subrev_u32_e32 v143, 43, v0
	s_movk_i32 s14, 0x2d8
	s_mov_b64 s[4:5], 0
.LBB110_33:                             ; =>This Inner Loop Header: Depth=1
	buffer_load_dword v144, v142, s[0:3], 0 offen
	buffer_load_dword v145, v142, s[0:3], 0 offen offset:4
	v_mov_b32_e32 v146, s14
	ds_read_b64 v[146:147], v146
	v_add_u32_e32 v143, -1, v143
	s_add_i32 s14, s14, 8
	v_cmp_eq_u32_e32 vcc, 0, v143
	v_add_u32_e32 v142, 8, v142
	s_or_b64 s[4:5], vcc, s[4:5]
	s_waitcnt vmcnt(0) lgkmcnt(0)
	v_fmac_f64_e32 v[96:97], v[144:145], v[146:147]
	s_andn2_b64 exec, exec, s[4:5]
	s_cbranch_execnz .LBB110_33
; %bb.34:
	s_or_b64 exec, exec, s[4:5]
.LBB110_35:
	s_or_b64 exec, exec, s[12:13]
	v_mov_b32_e32 v142, 0
	ds_read_b64 v[142:143], v142 offset:336
	s_waitcnt lgkmcnt(0)
	v_mul_f64 v[96:97], v[96:97], v[142:143]
	buffer_store_dword v97, off, s[0:3], 0 offset:340
	buffer_store_dword v96, off, s[0:3], 0 offset:336
.LBB110_36:
	s_or_b64 exec, exec, s[10:11]
	buffer_load_dword v96, off, s[0:3], 0 offset:328
	buffer_load_dword v97, off, s[0:3], 0 offset:332
	v_cmp_lt_u32_e64 s[4:5], 41, v0
	s_waitcnt vmcnt(0)
	ds_write_b64 v98, v[96:97]
	s_waitcnt lgkmcnt(0)
	; wave barrier
	s_waitcnt lgkmcnt(0)
	s_and_saveexec_b64 s[10:11], s[4:5]
	s_cbranch_execz .LBB110_46
; %bb.37:
	s_andn2_b64 vcc, exec, s[8:9]
	s_cbranch_vccnz .LBB110_39
; %bb.38:
	buffer_load_dword v96, v99, s[0:3], 0 offen
	buffer_load_dword v97, v99, s[0:3], 0 offen offset:4
	ds_read_b64 v[142:143], v98
	s_waitcnt vmcnt(0) lgkmcnt(0)
	v_mul_f64 v[96:97], v[96:97], v[142:143]
	s_cbranch_execz .LBB110_40
	s_branch .LBB110_41
.LBB110_39:
                                        ; implicit-def: $vgpr96_vgpr97
.LBB110_40:
	ds_read_b64 v[96:97], v98
.LBB110_41:
	s_and_saveexec_b64 s[12:13], s[6:7]
	s_cbranch_execz .LBB110_45
; %bb.42:
	v_subrev_u32_e32 v142, 42, v0
	s_movk_i32 s14, 0x2d0
	s_mov_b64 s[6:7], 0
.LBB110_43:                             ; =>This Inner Loop Header: Depth=1
	buffer_load_dword v144, v141, s[0:3], 0 offen
	buffer_load_dword v145, v141, s[0:3], 0 offen offset:4
	v_mov_b32_e32 v143, s14
	ds_read_b64 v[146:147], v143
	v_add_u32_e32 v142, -1, v142
	s_add_i32 s14, s14, 8
	v_cmp_eq_u32_e32 vcc, 0, v142
	v_add_u32_e32 v141, 8, v141
	s_or_b64 s[6:7], vcc, s[6:7]
	s_waitcnt vmcnt(0) lgkmcnt(0)
	v_fmac_f64_e32 v[96:97], v[144:145], v[146:147]
	s_andn2_b64 exec, exec, s[6:7]
	s_cbranch_execnz .LBB110_43
; %bb.44:
	s_or_b64 exec, exec, s[6:7]
.LBB110_45:
	s_or_b64 exec, exec, s[12:13]
	v_mov_b32_e32 v141, 0
	ds_read_b64 v[142:143], v141 offset:328
	s_waitcnt lgkmcnt(0)
	v_mul_f64 v[96:97], v[96:97], v[142:143]
	buffer_store_dword v97, off, s[0:3], 0 offset:332
	buffer_store_dword v96, off, s[0:3], 0 offset:328
.LBB110_46:
	s_or_b64 exec, exec, s[10:11]
	buffer_load_dword v96, off, s[0:3], 0 offset:320
	buffer_load_dword v97, off, s[0:3], 0 offset:324
	v_cmp_lt_u32_e64 s[6:7], 40, v0
	s_waitcnt vmcnt(0)
	ds_write_b64 v98, v[96:97]
	s_waitcnt lgkmcnt(0)
	; wave barrier
	s_waitcnt lgkmcnt(0)
	s_and_saveexec_b64 s[10:11], s[6:7]
	s_cbranch_execz .LBB110_56
; %bb.47:
	s_andn2_b64 vcc, exec, s[8:9]
	s_cbranch_vccnz .LBB110_49
; %bb.48:
	buffer_load_dword v96, v99, s[0:3], 0 offen
	buffer_load_dword v97, v99, s[0:3], 0 offen offset:4
	ds_read_b64 v[142:143], v98
	s_waitcnt vmcnt(0) lgkmcnt(0)
	v_mul_f64 v[96:97], v[96:97], v[142:143]
	s_cbranch_execz .LBB110_50
	s_branch .LBB110_51
.LBB110_49:
                                        ; implicit-def: $vgpr96_vgpr97
.LBB110_50:
	ds_read_b64 v[96:97], v98
.LBB110_51:
	s_and_saveexec_b64 s[12:13], s[4:5]
	s_cbranch_execz .LBB110_55
; %bb.52:
	v_subrev_u32_e32 v141, 41, v0
	s_movk_i32 s14, 0x2c8
	s_mov_b64 s[4:5], 0
.LBB110_53:                             ; =>This Inner Loop Header: Depth=1
	buffer_load_dword v142, v140, s[0:3], 0 offen
	buffer_load_dword v143, v140, s[0:3], 0 offen offset:4
	v_mov_b32_e32 v144, s14
	ds_read_b64 v[144:145], v144
	v_add_u32_e32 v141, -1, v141
	s_add_i32 s14, s14, 8
	v_cmp_eq_u32_e32 vcc, 0, v141
	v_add_u32_e32 v140, 8, v140
	s_or_b64 s[4:5], vcc, s[4:5]
	s_waitcnt vmcnt(0) lgkmcnt(0)
	v_fmac_f64_e32 v[96:97], v[142:143], v[144:145]
	s_andn2_b64 exec, exec, s[4:5]
	s_cbranch_execnz .LBB110_53
; %bb.54:
	s_or_b64 exec, exec, s[4:5]
.LBB110_55:
	s_or_b64 exec, exec, s[12:13]
	v_mov_b32_e32 v140, 0
	ds_read_b64 v[140:141], v140 offset:320
	s_waitcnt lgkmcnt(0)
	v_mul_f64 v[96:97], v[96:97], v[140:141]
	buffer_store_dword v97, off, s[0:3], 0 offset:324
	buffer_store_dword v96, off, s[0:3], 0 offset:320
.LBB110_56:
	s_or_b64 exec, exec, s[10:11]
	buffer_load_dword v96, off, s[0:3], 0 offset:312
	buffer_load_dword v97, off, s[0:3], 0 offset:316
	v_cmp_lt_u32_e64 s[4:5], 39, v0
	s_waitcnt vmcnt(0)
	ds_write_b64 v98, v[96:97]
	s_waitcnt lgkmcnt(0)
	; wave barrier
	s_waitcnt lgkmcnt(0)
	s_and_saveexec_b64 s[10:11], s[4:5]
	s_cbranch_execz .LBB110_66
; %bb.57:
	s_andn2_b64 vcc, exec, s[8:9]
	s_cbranch_vccnz .LBB110_59
; %bb.58:
	buffer_load_dword v96, v99, s[0:3], 0 offen
	buffer_load_dword v97, v99, s[0:3], 0 offen offset:4
	ds_read_b64 v[140:141], v98
	s_waitcnt vmcnt(0) lgkmcnt(0)
	v_mul_f64 v[96:97], v[96:97], v[140:141]
	s_cbranch_execz .LBB110_60
	s_branch .LBB110_61
.LBB110_59:
                                        ; implicit-def: $vgpr96_vgpr97
.LBB110_60:
	ds_read_b64 v[96:97], v98
.LBB110_61:
	s_and_saveexec_b64 s[12:13], s[6:7]
	s_cbranch_execz .LBB110_65
; %bb.62:
	v_subrev_u32_e32 v140, 40, v0
	s_movk_i32 s14, 0x2c0
	s_mov_b64 s[6:7], 0
.LBB110_63:                             ; =>This Inner Loop Header: Depth=1
	buffer_load_dword v142, v139, s[0:3], 0 offen
	buffer_load_dword v143, v139, s[0:3], 0 offen offset:4
	v_mov_b32_e32 v141, s14
	ds_read_b64 v[144:145], v141
	v_add_u32_e32 v140, -1, v140
	s_add_i32 s14, s14, 8
	v_cmp_eq_u32_e32 vcc, 0, v140
	v_add_u32_e32 v139, 8, v139
	s_or_b64 s[6:7], vcc, s[6:7]
	s_waitcnt vmcnt(0) lgkmcnt(0)
	v_fmac_f64_e32 v[96:97], v[142:143], v[144:145]
	s_andn2_b64 exec, exec, s[6:7]
	s_cbranch_execnz .LBB110_63
; %bb.64:
	s_or_b64 exec, exec, s[6:7]
.LBB110_65:
	s_or_b64 exec, exec, s[12:13]
	v_mov_b32_e32 v139, 0
	ds_read_b64 v[140:141], v139 offset:312
	s_waitcnt lgkmcnt(0)
	v_mul_f64 v[96:97], v[96:97], v[140:141]
	buffer_store_dword v97, off, s[0:3], 0 offset:316
	buffer_store_dword v96, off, s[0:3], 0 offset:312
.LBB110_66:
	s_or_b64 exec, exec, s[10:11]
	buffer_load_dword v96, off, s[0:3], 0 offset:304
	buffer_load_dword v97, off, s[0:3], 0 offset:308
	v_cmp_lt_u32_e64 s[6:7], 38, v0
	s_waitcnt vmcnt(0)
	ds_write_b64 v98, v[96:97]
	s_waitcnt lgkmcnt(0)
	; wave barrier
	s_waitcnt lgkmcnt(0)
	s_and_saveexec_b64 s[10:11], s[6:7]
	s_cbranch_execz .LBB110_76
; %bb.67:
	s_andn2_b64 vcc, exec, s[8:9]
	s_cbranch_vccnz .LBB110_69
; %bb.68:
	buffer_load_dword v96, v99, s[0:3], 0 offen
	buffer_load_dword v97, v99, s[0:3], 0 offen offset:4
	ds_read_b64 v[140:141], v98
	s_waitcnt vmcnt(0) lgkmcnt(0)
	v_mul_f64 v[96:97], v[96:97], v[140:141]
	s_cbranch_execz .LBB110_70
	s_branch .LBB110_71
.LBB110_69:
                                        ; implicit-def: $vgpr96_vgpr97
.LBB110_70:
	ds_read_b64 v[96:97], v98
.LBB110_71:
	s_and_saveexec_b64 s[12:13], s[4:5]
	s_cbranch_execz .LBB110_75
; %bb.72:
	v_subrev_u32_e32 v139, 39, v0
	s_movk_i32 s14, 0x2b8
	s_mov_b64 s[4:5], 0
.LBB110_73:                             ; =>This Inner Loop Header: Depth=1
	buffer_load_dword v140, v138, s[0:3], 0 offen
	buffer_load_dword v141, v138, s[0:3], 0 offen offset:4
	v_mov_b32_e32 v142, s14
	ds_read_b64 v[142:143], v142
	v_add_u32_e32 v139, -1, v139
	s_add_i32 s14, s14, 8
	v_cmp_eq_u32_e32 vcc, 0, v139
	v_add_u32_e32 v138, 8, v138
	s_or_b64 s[4:5], vcc, s[4:5]
	s_waitcnt vmcnt(0) lgkmcnt(0)
	v_fmac_f64_e32 v[96:97], v[140:141], v[142:143]
	s_andn2_b64 exec, exec, s[4:5]
	s_cbranch_execnz .LBB110_73
; %bb.74:
	s_or_b64 exec, exec, s[4:5]
.LBB110_75:
	s_or_b64 exec, exec, s[12:13]
	v_mov_b32_e32 v138, 0
	ds_read_b64 v[138:139], v138 offset:304
	s_waitcnt lgkmcnt(0)
	v_mul_f64 v[96:97], v[96:97], v[138:139]
	buffer_store_dword v97, off, s[0:3], 0 offset:308
	buffer_store_dword v96, off, s[0:3], 0 offset:304
.LBB110_76:
	s_or_b64 exec, exec, s[10:11]
	buffer_load_dword v96, off, s[0:3], 0 offset:296
	buffer_load_dword v97, off, s[0:3], 0 offset:300
	v_cmp_lt_u32_e64 s[4:5], 37, v0
	s_waitcnt vmcnt(0)
	ds_write_b64 v98, v[96:97]
	s_waitcnt lgkmcnt(0)
	; wave barrier
	s_waitcnt lgkmcnt(0)
	s_and_saveexec_b64 s[10:11], s[4:5]
	s_cbranch_execz .LBB110_86
; %bb.77:
	s_andn2_b64 vcc, exec, s[8:9]
	s_cbranch_vccnz .LBB110_79
; %bb.78:
	buffer_load_dword v96, v99, s[0:3], 0 offen
	buffer_load_dword v97, v99, s[0:3], 0 offen offset:4
	ds_read_b64 v[138:139], v98
	s_waitcnt vmcnt(0) lgkmcnt(0)
	v_mul_f64 v[96:97], v[96:97], v[138:139]
	s_cbranch_execz .LBB110_80
	s_branch .LBB110_81
.LBB110_79:
                                        ; implicit-def: $vgpr96_vgpr97
.LBB110_80:
	ds_read_b64 v[96:97], v98
.LBB110_81:
	s_and_saveexec_b64 s[12:13], s[6:7]
	s_cbranch_execz .LBB110_85
; %bb.82:
	v_subrev_u32_e32 v138, 38, v0
	s_movk_i32 s14, 0x2b0
	s_mov_b64 s[6:7], 0
.LBB110_83:                             ; =>This Inner Loop Header: Depth=1
	buffer_load_dword v140, v137, s[0:3], 0 offen
	buffer_load_dword v141, v137, s[0:3], 0 offen offset:4
	v_mov_b32_e32 v139, s14
	ds_read_b64 v[142:143], v139
	v_add_u32_e32 v138, -1, v138
	s_add_i32 s14, s14, 8
	v_cmp_eq_u32_e32 vcc, 0, v138
	v_add_u32_e32 v137, 8, v137
	s_or_b64 s[6:7], vcc, s[6:7]
	s_waitcnt vmcnt(0) lgkmcnt(0)
	v_fmac_f64_e32 v[96:97], v[140:141], v[142:143]
	s_andn2_b64 exec, exec, s[6:7]
	s_cbranch_execnz .LBB110_83
; %bb.84:
	s_or_b64 exec, exec, s[6:7]
.LBB110_85:
	s_or_b64 exec, exec, s[12:13]
	v_mov_b32_e32 v137, 0
	ds_read_b64 v[138:139], v137 offset:296
	s_waitcnt lgkmcnt(0)
	v_mul_f64 v[96:97], v[96:97], v[138:139]
	buffer_store_dword v97, off, s[0:3], 0 offset:300
	buffer_store_dword v96, off, s[0:3], 0 offset:296
.LBB110_86:
	s_or_b64 exec, exec, s[10:11]
	buffer_load_dword v96, off, s[0:3], 0 offset:288
	buffer_load_dword v97, off, s[0:3], 0 offset:292
	v_cmp_lt_u32_e64 s[6:7], 36, v0
	s_waitcnt vmcnt(0)
	ds_write_b64 v98, v[96:97]
	s_waitcnt lgkmcnt(0)
	; wave barrier
	s_waitcnt lgkmcnt(0)
	s_and_saveexec_b64 s[10:11], s[6:7]
	s_cbranch_execz .LBB110_96
; %bb.87:
	s_andn2_b64 vcc, exec, s[8:9]
	s_cbranch_vccnz .LBB110_89
; %bb.88:
	buffer_load_dword v96, v99, s[0:3], 0 offen
	buffer_load_dword v97, v99, s[0:3], 0 offen offset:4
	ds_read_b64 v[138:139], v98
	s_waitcnt vmcnt(0) lgkmcnt(0)
	v_mul_f64 v[96:97], v[96:97], v[138:139]
	s_cbranch_execz .LBB110_90
	s_branch .LBB110_91
.LBB110_89:
                                        ; implicit-def: $vgpr96_vgpr97
.LBB110_90:
	ds_read_b64 v[96:97], v98
.LBB110_91:
	s_and_saveexec_b64 s[12:13], s[4:5]
	s_cbranch_execz .LBB110_95
; %bb.92:
	v_subrev_u32_e32 v137, 37, v0
	s_movk_i32 s14, 0x2a8
	s_mov_b64 s[4:5], 0
.LBB110_93:                             ; =>This Inner Loop Header: Depth=1
	buffer_load_dword v138, v136, s[0:3], 0 offen
	buffer_load_dword v139, v136, s[0:3], 0 offen offset:4
	v_mov_b32_e32 v140, s14
	ds_read_b64 v[140:141], v140
	v_add_u32_e32 v137, -1, v137
	s_add_i32 s14, s14, 8
	v_cmp_eq_u32_e32 vcc, 0, v137
	v_add_u32_e32 v136, 8, v136
	s_or_b64 s[4:5], vcc, s[4:5]
	s_waitcnt vmcnt(0) lgkmcnt(0)
	v_fmac_f64_e32 v[96:97], v[138:139], v[140:141]
	s_andn2_b64 exec, exec, s[4:5]
	s_cbranch_execnz .LBB110_93
; %bb.94:
	s_or_b64 exec, exec, s[4:5]
.LBB110_95:
	s_or_b64 exec, exec, s[12:13]
	v_mov_b32_e32 v136, 0
	ds_read_b64 v[136:137], v136 offset:288
	s_waitcnt lgkmcnt(0)
	v_mul_f64 v[96:97], v[96:97], v[136:137]
	buffer_store_dword v97, off, s[0:3], 0 offset:292
	buffer_store_dword v96, off, s[0:3], 0 offset:288
.LBB110_96:
	s_or_b64 exec, exec, s[10:11]
	buffer_load_dword v96, off, s[0:3], 0 offset:280
	buffer_load_dword v97, off, s[0:3], 0 offset:284
	v_cmp_lt_u32_e64 s[4:5], 35, v0
	s_waitcnt vmcnt(0)
	ds_write_b64 v98, v[96:97]
	s_waitcnt lgkmcnt(0)
	; wave barrier
	s_waitcnt lgkmcnt(0)
	s_and_saveexec_b64 s[10:11], s[4:5]
	s_cbranch_execz .LBB110_106
; %bb.97:
	s_andn2_b64 vcc, exec, s[8:9]
	s_cbranch_vccnz .LBB110_99
; %bb.98:
	buffer_load_dword v96, v99, s[0:3], 0 offen
	buffer_load_dword v97, v99, s[0:3], 0 offen offset:4
	ds_read_b64 v[136:137], v98
	s_waitcnt vmcnt(0) lgkmcnt(0)
	v_mul_f64 v[96:97], v[96:97], v[136:137]
	s_cbranch_execz .LBB110_100
	s_branch .LBB110_101
.LBB110_99:
                                        ; implicit-def: $vgpr96_vgpr97
.LBB110_100:
	ds_read_b64 v[96:97], v98
.LBB110_101:
	s_and_saveexec_b64 s[12:13], s[6:7]
	s_cbranch_execz .LBB110_105
; %bb.102:
	v_subrev_u32_e32 v136, 36, v0
	s_movk_i32 s14, 0x2a0
	s_mov_b64 s[6:7], 0
.LBB110_103:                            ; =>This Inner Loop Header: Depth=1
	buffer_load_dword v138, v135, s[0:3], 0 offen
	buffer_load_dword v139, v135, s[0:3], 0 offen offset:4
	v_mov_b32_e32 v137, s14
	ds_read_b64 v[140:141], v137
	v_add_u32_e32 v136, -1, v136
	s_add_i32 s14, s14, 8
	v_cmp_eq_u32_e32 vcc, 0, v136
	v_add_u32_e32 v135, 8, v135
	s_or_b64 s[6:7], vcc, s[6:7]
	s_waitcnt vmcnt(0) lgkmcnt(0)
	v_fmac_f64_e32 v[96:97], v[138:139], v[140:141]
	s_andn2_b64 exec, exec, s[6:7]
	s_cbranch_execnz .LBB110_103
; %bb.104:
	s_or_b64 exec, exec, s[6:7]
.LBB110_105:
	s_or_b64 exec, exec, s[12:13]
	v_mov_b32_e32 v135, 0
	ds_read_b64 v[136:137], v135 offset:280
	s_waitcnt lgkmcnt(0)
	v_mul_f64 v[96:97], v[96:97], v[136:137]
	buffer_store_dword v97, off, s[0:3], 0 offset:284
	buffer_store_dword v96, off, s[0:3], 0 offset:280
.LBB110_106:
	s_or_b64 exec, exec, s[10:11]
	buffer_load_dword v96, off, s[0:3], 0 offset:272
	buffer_load_dword v97, off, s[0:3], 0 offset:276
	v_cmp_lt_u32_e64 s[6:7], 34, v0
	s_waitcnt vmcnt(0)
	ds_write_b64 v98, v[96:97]
	s_waitcnt lgkmcnt(0)
	; wave barrier
	s_waitcnt lgkmcnt(0)
	s_and_saveexec_b64 s[10:11], s[6:7]
	s_cbranch_execz .LBB110_116
; %bb.107:
	s_andn2_b64 vcc, exec, s[8:9]
	s_cbranch_vccnz .LBB110_109
; %bb.108:
	buffer_load_dword v96, v99, s[0:3], 0 offen
	buffer_load_dword v97, v99, s[0:3], 0 offen offset:4
	ds_read_b64 v[136:137], v98
	s_waitcnt vmcnt(0) lgkmcnt(0)
	v_mul_f64 v[96:97], v[96:97], v[136:137]
	s_cbranch_execz .LBB110_110
	s_branch .LBB110_111
.LBB110_109:
                                        ; implicit-def: $vgpr96_vgpr97
.LBB110_110:
	ds_read_b64 v[96:97], v98
.LBB110_111:
	s_and_saveexec_b64 s[12:13], s[4:5]
	s_cbranch_execz .LBB110_115
; %bb.112:
	v_subrev_u32_e32 v135, 35, v0
	s_movk_i32 s14, 0x298
	s_mov_b64 s[4:5], 0
.LBB110_113:                            ; =>This Inner Loop Header: Depth=1
	buffer_load_dword v136, v134, s[0:3], 0 offen
	buffer_load_dword v137, v134, s[0:3], 0 offen offset:4
	v_mov_b32_e32 v138, s14
	ds_read_b64 v[138:139], v138
	v_add_u32_e32 v135, -1, v135
	s_add_i32 s14, s14, 8
	v_cmp_eq_u32_e32 vcc, 0, v135
	v_add_u32_e32 v134, 8, v134
	s_or_b64 s[4:5], vcc, s[4:5]
	s_waitcnt vmcnt(0) lgkmcnt(0)
	v_fmac_f64_e32 v[96:97], v[136:137], v[138:139]
	s_andn2_b64 exec, exec, s[4:5]
	s_cbranch_execnz .LBB110_113
; %bb.114:
	s_or_b64 exec, exec, s[4:5]
.LBB110_115:
	s_or_b64 exec, exec, s[12:13]
	v_mov_b32_e32 v134, 0
	ds_read_b64 v[134:135], v134 offset:272
	s_waitcnt lgkmcnt(0)
	v_mul_f64 v[96:97], v[96:97], v[134:135]
	buffer_store_dword v97, off, s[0:3], 0 offset:276
	buffer_store_dword v96, off, s[0:3], 0 offset:272
.LBB110_116:
	;; [unrolled: 58-line block ×20, first 2 shown]
	s_or_b64 exec, exec, s[10:11]
	buffer_load_dword v96, off, s[0:3], 0 offset:120
	buffer_load_dword v97, off, s[0:3], 0 offset:124
	v_cmp_lt_u32_e64 s[4:5], 15, v0
	s_waitcnt vmcnt(0)
	ds_write_b64 v98, v[96:97]
	s_waitcnt lgkmcnt(0)
	; wave barrier
	s_waitcnt lgkmcnt(0)
	s_and_saveexec_b64 s[10:11], s[4:5]
	s_cbranch_execz .LBB110_306
; %bb.297:
	s_andn2_b64 vcc, exec, s[8:9]
	s_cbranch_vccnz .LBB110_299
; %bb.298:
	buffer_load_dword v96, v99, s[0:3], 0 offen
	buffer_load_dword v97, v99, s[0:3], 0 offen offset:4
	ds_read_b64 v[116:117], v98
	s_waitcnt vmcnt(0) lgkmcnt(0)
	v_mul_f64 v[96:97], v[96:97], v[116:117]
	s_cbranch_execz .LBB110_300
	s_branch .LBB110_301
.LBB110_299:
                                        ; implicit-def: $vgpr96_vgpr97
.LBB110_300:
	ds_read_b64 v[96:97], v98
.LBB110_301:
	s_and_saveexec_b64 s[12:13], s[6:7]
	s_cbranch_execz .LBB110_305
; %bb.302:
	v_add_u32_e32 v116, -16, v0
	s_movk_i32 s14, 0x200
	s_mov_b64 s[6:7], 0
.LBB110_303:                            ; =>This Inner Loop Header: Depth=1
	buffer_load_dword v118, v115, s[0:3], 0 offen
	buffer_load_dword v119, v115, s[0:3], 0 offen offset:4
	v_mov_b32_e32 v117, s14
	ds_read_b64 v[120:121], v117
	v_add_u32_e32 v116, -1, v116
	s_add_i32 s14, s14, 8
	v_cmp_eq_u32_e32 vcc, 0, v116
	v_add_u32_e32 v115, 8, v115
	s_or_b64 s[6:7], vcc, s[6:7]
	s_waitcnt vmcnt(0) lgkmcnt(0)
	v_fmac_f64_e32 v[96:97], v[118:119], v[120:121]
	s_andn2_b64 exec, exec, s[6:7]
	s_cbranch_execnz .LBB110_303
; %bb.304:
	s_or_b64 exec, exec, s[6:7]
.LBB110_305:
	s_or_b64 exec, exec, s[12:13]
	v_mov_b32_e32 v115, 0
	ds_read_b64 v[116:117], v115 offset:120
	s_waitcnt lgkmcnt(0)
	v_mul_f64 v[96:97], v[96:97], v[116:117]
	buffer_store_dword v97, off, s[0:3], 0 offset:124
	buffer_store_dword v96, off, s[0:3], 0 offset:120
.LBB110_306:
	s_or_b64 exec, exec, s[10:11]
	buffer_load_dword v96, off, s[0:3], 0 offset:112
	buffer_load_dword v97, off, s[0:3], 0 offset:116
	v_cmp_lt_u32_e64 s[6:7], 14, v0
	s_waitcnt vmcnt(0)
	ds_write_b64 v98, v[96:97]
	s_waitcnt lgkmcnt(0)
	; wave barrier
	s_waitcnt lgkmcnt(0)
	s_and_saveexec_b64 s[10:11], s[6:7]
	s_cbranch_execz .LBB110_316
; %bb.307:
	s_andn2_b64 vcc, exec, s[8:9]
	s_cbranch_vccnz .LBB110_309
; %bb.308:
	buffer_load_dword v96, v99, s[0:3], 0 offen
	buffer_load_dword v97, v99, s[0:3], 0 offen offset:4
	ds_read_b64 v[116:117], v98
	s_waitcnt vmcnt(0) lgkmcnt(0)
	v_mul_f64 v[96:97], v[96:97], v[116:117]
	s_cbranch_execz .LBB110_310
	s_branch .LBB110_311
.LBB110_309:
                                        ; implicit-def: $vgpr96_vgpr97
.LBB110_310:
	ds_read_b64 v[96:97], v98
.LBB110_311:
	s_and_saveexec_b64 s[12:13], s[4:5]
	s_cbranch_execz .LBB110_315
; %bb.312:
	v_add_u32_e32 v115, -15, v0
	s_movk_i32 s14, 0x1f8
	s_mov_b64 s[4:5], 0
.LBB110_313:                            ; =>This Inner Loop Header: Depth=1
	buffer_load_dword v116, v114, s[0:3], 0 offen
	buffer_load_dword v117, v114, s[0:3], 0 offen offset:4
	v_mov_b32_e32 v118, s14
	ds_read_b64 v[118:119], v118
	v_add_u32_e32 v115, -1, v115
	s_add_i32 s14, s14, 8
	v_cmp_eq_u32_e32 vcc, 0, v115
	v_add_u32_e32 v114, 8, v114
	s_or_b64 s[4:5], vcc, s[4:5]
	s_waitcnt vmcnt(0) lgkmcnt(0)
	v_fmac_f64_e32 v[96:97], v[116:117], v[118:119]
	s_andn2_b64 exec, exec, s[4:5]
	s_cbranch_execnz .LBB110_313
; %bb.314:
	s_or_b64 exec, exec, s[4:5]
.LBB110_315:
	s_or_b64 exec, exec, s[12:13]
	v_mov_b32_e32 v114, 0
	ds_read_b64 v[114:115], v114 offset:112
	s_waitcnt lgkmcnt(0)
	v_mul_f64 v[96:97], v[96:97], v[114:115]
	buffer_store_dword v97, off, s[0:3], 0 offset:116
	buffer_store_dword v96, off, s[0:3], 0 offset:112
.LBB110_316:
	;; [unrolled: 58-line block ×15, first 2 shown]
	s_or_b64 exec, exec, s[10:11]
	buffer_load_dword v96, off, s[0:3], 0
	buffer_load_dword v97, off, s[0:3], 0 offset:4
	v_cmp_ne_u32_e32 vcc, 0, v0
	s_waitcnt vmcnt(0)
	ds_write_b64 v98, v[96:97]
	s_waitcnt lgkmcnt(0)
	; wave barrier
	s_waitcnt lgkmcnt(0)
	s_and_saveexec_b64 s[6:7], vcc
	s_cbranch_execz .LBB110_456
; %bb.447:
	s_andn2_b64 vcc, exec, s[8:9]
	s_cbranch_vccnz .LBB110_449
; %bb.448:
	buffer_load_dword v96, v99, s[0:3], 0 offen
	buffer_load_dword v97, v99, s[0:3], 0 offen offset:4
	ds_read_b64 v[102:103], v98
	s_waitcnt vmcnt(0) lgkmcnt(0)
	v_mul_f64 v[96:97], v[96:97], v[102:103]
	s_cbranch_execz .LBB110_450
	s_branch .LBB110_451
.LBB110_449:
                                        ; implicit-def: $vgpr96_vgpr97
.LBB110_450:
	ds_read_b64 v[96:97], v98
.LBB110_451:
	s_and_saveexec_b64 s[10:11], s[4:5]
	s_cbranch_execz .LBB110_455
; %bb.452:
	v_add_u32_e32 v101, -1, v0
	s_movk_i32 s12, 0x188
	s_mov_b64 s[4:5], 0
.LBB110_453:                            ; =>This Inner Loop Header: Depth=1
	buffer_load_dword v102, v100, s[0:3], 0 offen
	buffer_load_dword v103, v100, s[0:3], 0 offen offset:4
	v_mov_b32_e32 v104, s12
	ds_read_b64 v[104:105], v104
	v_add_u32_e32 v101, -1, v101
	s_add_i32 s12, s12, 8
	v_cmp_eq_u32_e32 vcc, 0, v101
	v_add_u32_e32 v100, 8, v100
	s_or_b64 s[4:5], vcc, s[4:5]
	s_waitcnt vmcnt(0) lgkmcnt(0)
	v_fmac_f64_e32 v[96:97], v[102:103], v[104:105]
	s_andn2_b64 exec, exec, s[4:5]
	s_cbranch_execnz .LBB110_453
; %bb.454:
	s_or_b64 exec, exec, s[4:5]
.LBB110_455:
	s_or_b64 exec, exec, s[10:11]
	v_mov_b32_e32 v100, 0
	ds_read_b64 v[100:101], v100
	s_waitcnt lgkmcnt(0)
	v_mul_f64 v[96:97], v[96:97], v[100:101]
	buffer_store_dword v97, off, s[0:3], 0 offset:4
	buffer_store_dword v96, off, s[0:3], 0
.LBB110_456:
	s_or_b64 exec, exec, s[6:7]
	s_mov_b64 s[4:5], 0
.LBB110_457:
	s_and_b64 vcc, exec, s[4:5]
	s_cbranch_vccz .LBB110_911
; %bb.458:
	buffer_load_dword v96, off, s[0:3], 0 offset:8
	buffer_load_dword v97, off, s[0:3], 0 offset:12
	v_cmp_eq_u32_e64 s[6:7], 0, v0
	s_waitcnt vmcnt(0)
	ds_write_b64 v98, v[96:97]
	s_waitcnt lgkmcnt(0)
	; wave barrier
	s_waitcnt lgkmcnt(0)
	s_and_saveexec_b64 s[4:5], s[6:7]
	s_cbranch_execz .LBB110_464
; %bb.459:
	s_and_b64 vcc, exec, s[8:9]
	s_cbranch_vccz .LBB110_461
; %bb.460:
	buffer_load_dword v96, v99, s[0:3], 0 offen
	buffer_load_dword v97, v99, s[0:3], 0 offen offset:4
	ds_read_b64 v[100:101], v98
	s_waitcnt vmcnt(0) lgkmcnt(0)
	v_mul_f64 v[96:97], v[96:97], v[100:101]
	s_cbranch_execz .LBB110_462
	s_branch .LBB110_463
.LBB110_461:
                                        ; implicit-def: $vgpr96_vgpr97
.LBB110_462:
	ds_read_b64 v[96:97], v98
.LBB110_463:
	v_mov_b32_e32 v100, 0
	ds_read_b64 v[100:101], v100 offset:8
	s_waitcnt lgkmcnt(0)
	v_mul_f64 v[96:97], v[96:97], v[100:101]
	buffer_store_dword v97, off, s[0:3], 0 offset:12
	buffer_store_dword v96, off, s[0:3], 0 offset:8
.LBB110_464:
	s_or_b64 exec, exec, s[4:5]
	buffer_load_dword v96, off, s[0:3], 0 offset:16
	buffer_load_dword v97, off, s[0:3], 0 offset:20
	v_cndmask_b32_e64 v100, 0, 1, s[8:9]
	v_cmp_gt_u32_e32 vcc, 2, v0
	v_cmp_ne_u32_e64 s[4:5], 1, v100
	s_waitcnt vmcnt(0)
	ds_write_b64 v98, v[96:97]
	s_waitcnt lgkmcnt(0)
	; wave barrier
	s_waitcnt lgkmcnt(0)
	s_and_saveexec_b64 s[8:9], vcc
	s_cbranch_execz .LBB110_472
; %bb.465:
	s_and_b64 vcc, exec, s[4:5]
	s_cbranch_vccnz .LBB110_467
; %bb.466:
	buffer_load_dword v96, v99, s[0:3], 0 offen
	buffer_load_dword v97, v99, s[0:3], 0 offen offset:4
	ds_read_b64 v[100:101], v98
	s_waitcnt vmcnt(0) lgkmcnt(0)
	v_mul_f64 v[96:97], v[96:97], v[100:101]
	s_cbranch_execz .LBB110_468
	s_branch .LBB110_469
.LBB110_467:
                                        ; implicit-def: $vgpr96_vgpr97
.LBB110_468:
	ds_read_b64 v[96:97], v98
.LBB110_469:
	s_and_saveexec_b64 s[10:11], s[6:7]
	s_cbranch_execz .LBB110_471
; %bb.470:
	buffer_load_dword v100, v99, s[0:3], 0 offen offset:8
	buffer_load_dword v101, v99, s[0:3], 0 offen offset:12
	ds_read_b64 v[102:103], v98 offset:8
	s_waitcnt vmcnt(0) lgkmcnt(0)
	v_fmac_f64_e32 v[96:97], v[100:101], v[102:103]
.LBB110_471:
	s_or_b64 exec, exec, s[10:11]
	v_mov_b32_e32 v100, 0
	ds_read_b64 v[100:101], v100 offset:16
	s_waitcnt lgkmcnt(0)
	v_mul_f64 v[96:97], v[96:97], v[100:101]
	buffer_store_dword v97, off, s[0:3], 0 offset:20
	buffer_store_dword v96, off, s[0:3], 0 offset:16
.LBB110_472:
	s_or_b64 exec, exec, s[8:9]
	buffer_load_dword v96, off, s[0:3], 0 offset:24
	buffer_load_dword v97, off, s[0:3], 0 offset:28
	v_cmp_gt_u32_e32 vcc, 3, v0
	s_waitcnt vmcnt(0)
	ds_write_b64 v98, v[96:97]
	s_waitcnt lgkmcnt(0)
	; wave barrier
	s_waitcnt lgkmcnt(0)
	s_and_saveexec_b64 s[8:9], vcc
	s_cbranch_execz .LBB110_480
; %bb.473:
	s_and_b64 vcc, exec, s[4:5]
	s_cbranch_vccnz .LBB110_475
; %bb.474:
	buffer_load_dword v96, v99, s[0:3], 0 offen
	buffer_load_dword v97, v99, s[0:3], 0 offen offset:4
	ds_read_b64 v[100:101], v98
	s_waitcnt vmcnt(0) lgkmcnt(0)
	v_mul_f64 v[96:97], v[96:97], v[100:101]
	s_cbranch_execz .LBB110_476
	s_branch .LBB110_477
.LBB110_475:
                                        ; implicit-def: $vgpr96_vgpr97
.LBB110_476:
	ds_read_b64 v[96:97], v98
.LBB110_477:
	v_cmp_ne_u32_e32 vcc, 2, v0
	s_and_saveexec_b64 s[10:11], vcc
	s_cbranch_execz .LBB110_479
; %bb.478:
	buffer_load_dword v101, v99, s[0:3], 0 offen offset:12
	buffer_load_dword v102, off, s[0:3], 0 offset:16
	buffer_load_dword v100, v99, s[0:3], 0 offen offset:8
	buffer_load_dword v103, off, s[0:3], 0 offset:20
	v_mov_b32_e32 v106, 0
	ds_read_b64 v[104:105], v98 offset:8
	ds_read_b64 v[106:107], v106 offset:400
	s_waitcnt vmcnt(1) lgkmcnt(1)
	v_fmac_f64_e32 v[96:97], v[100:101], v[104:105]
	s_waitcnt vmcnt(0) lgkmcnt(0)
	v_fma_f64 v[100:101], v[102:103], v[106:107], v[96:97]
	v_cndmask_b32_e64 v97, v97, v101, s[6:7]
	v_cndmask_b32_e64 v96, v96, v100, s[6:7]
.LBB110_479:
	s_or_b64 exec, exec, s[10:11]
	v_mov_b32_e32 v100, 0
	ds_read_b64 v[100:101], v100 offset:24
	s_waitcnt lgkmcnt(0)
	v_mul_f64 v[96:97], v[96:97], v[100:101]
	buffer_store_dword v97, off, s[0:3], 0 offset:28
	buffer_store_dword v96, off, s[0:3], 0 offset:24
.LBB110_480:
	s_or_b64 exec, exec, s[8:9]
	buffer_load_dword v96, off, s[0:3], 0 offset:32
	buffer_load_dword v97, off, s[0:3], 0 offset:36
	v_cmp_gt_u32_e32 vcc, 4, v0
	s_waitcnt vmcnt(0)
	ds_write_b64 v98, v[96:97]
	s_waitcnt lgkmcnt(0)
	; wave barrier
	s_waitcnt lgkmcnt(0)
	s_and_saveexec_b64 s[6:7], vcc
	s_cbranch_execz .LBB110_490
; %bb.481:
	s_and_b64 vcc, exec, s[4:5]
	s_cbranch_vccnz .LBB110_483
; %bb.482:
	buffer_load_dword v96, v99, s[0:3], 0 offen
	buffer_load_dword v97, v99, s[0:3], 0 offen offset:4
	ds_read_b64 v[100:101], v98
	s_waitcnt vmcnt(0) lgkmcnt(0)
	v_mul_f64 v[96:97], v[96:97], v[100:101]
	s_cbranch_execz .LBB110_484
	s_branch .LBB110_485
.LBB110_483:
                                        ; implicit-def: $vgpr96_vgpr97
.LBB110_484:
	ds_read_b64 v[96:97], v98
.LBB110_485:
	v_cmp_ne_u32_e32 vcc, 3, v0
	s_and_saveexec_b64 s[8:9], vcc
	s_cbranch_execz .LBB110_489
; %bb.486:
	v_mov_b32_e32 v101, 0
	v_add_u32_e32 v100, 0x188, v1
	v_add3_u32 v101, v1, v101, 8
	s_mov_b64 s[10:11], 0
	v_mov_b32_e32 v102, v0
.LBB110_487:                            ; =>This Inner Loop Header: Depth=1
	buffer_load_dword v104, v101, s[0:3], 0 offen
	buffer_load_dword v105, v101, s[0:3], 0 offen offset:4
	ds_read_b64 v[106:107], v100
	v_add_u32_e32 v102, 1, v102
	v_cmp_lt_u32_e32 vcc, 2, v102
	v_add_u32_e32 v100, 8, v100
	v_add_u32_e32 v101, 8, v101
	s_or_b64 s[10:11], vcc, s[10:11]
	s_waitcnt vmcnt(0) lgkmcnt(0)
	v_fmac_f64_e32 v[96:97], v[104:105], v[106:107]
	s_andn2_b64 exec, exec, s[10:11]
	s_cbranch_execnz .LBB110_487
; %bb.488:
	s_or_b64 exec, exec, s[10:11]
.LBB110_489:
	s_or_b64 exec, exec, s[8:9]
	v_mov_b32_e32 v100, 0
	ds_read_b64 v[100:101], v100 offset:32
	s_waitcnt lgkmcnt(0)
	v_mul_f64 v[96:97], v[96:97], v[100:101]
	buffer_store_dword v97, off, s[0:3], 0 offset:36
	buffer_store_dword v96, off, s[0:3], 0 offset:32
.LBB110_490:
	s_or_b64 exec, exec, s[6:7]
	buffer_load_dword v96, off, s[0:3], 0 offset:40
	buffer_load_dword v97, off, s[0:3], 0 offset:44
	v_cmp_gt_u32_e32 vcc, 5, v0
	s_waitcnt vmcnt(0)
	ds_write_b64 v98, v[96:97]
	s_waitcnt lgkmcnt(0)
	; wave barrier
	s_waitcnt lgkmcnt(0)
	s_and_saveexec_b64 s[6:7], vcc
	s_cbranch_execz .LBB110_500
; %bb.491:
	s_and_b64 vcc, exec, s[4:5]
	s_cbranch_vccnz .LBB110_493
; %bb.492:
	buffer_load_dword v96, v99, s[0:3], 0 offen
	buffer_load_dword v97, v99, s[0:3], 0 offen offset:4
	ds_read_b64 v[100:101], v98
	s_waitcnt vmcnt(0) lgkmcnt(0)
	v_mul_f64 v[96:97], v[96:97], v[100:101]
	s_cbranch_execz .LBB110_494
	s_branch .LBB110_495
.LBB110_493:
                                        ; implicit-def: $vgpr96_vgpr97
.LBB110_494:
	ds_read_b64 v[96:97], v98
.LBB110_495:
	v_cmp_ne_u32_e32 vcc, 4, v0
	s_and_saveexec_b64 s[8:9], vcc
	s_cbranch_execz .LBB110_499
; %bb.496:
	v_mov_b32_e32 v101, 0
	v_add_u32_e32 v100, 0x188, v1
	v_add3_u32 v101, v1, v101, 8
	s_mov_b64 s[10:11], 0
	v_mov_b32_e32 v102, v0
.LBB110_497:                            ; =>This Inner Loop Header: Depth=1
	buffer_load_dword v104, v101, s[0:3], 0 offen
	buffer_load_dword v105, v101, s[0:3], 0 offen offset:4
	ds_read_b64 v[106:107], v100
	v_add_u32_e32 v102, 1, v102
	v_cmp_lt_u32_e32 vcc, 3, v102
	v_add_u32_e32 v100, 8, v100
	v_add_u32_e32 v101, 8, v101
	s_or_b64 s[10:11], vcc, s[10:11]
	s_waitcnt vmcnt(0) lgkmcnt(0)
	v_fmac_f64_e32 v[96:97], v[104:105], v[106:107]
	s_andn2_b64 exec, exec, s[10:11]
	s_cbranch_execnz .LBB110_497
; %bb.498:
	s_or_b64 exec, exec, s[10:11]
.LBB110_499:
	s_or_b64 exec, exec, s[8:9]
	v_mov_b32_e32 v100, 0
	ds_read_b64 v[100:101], v100 offset:40
	s_waitcnt lgkmcnt(0)
	v_mul_f64 v[96:97], v[96:97], v[100:101]
	buffer_store_dword v97, off, s[0:3], 0 offset:44
	buffer_store_dword v96, off, s[0:3], 0 offset:40
.LBB110_500:
	;; [unrolled: 60-line block ×41, first 2 shown]
	s_or_b64 exec, exec, s[6:7]
	buffer_load_dword v96, off, s[0:3], 0 offset:360
	buffer_load_dword v97, off, s[0:3], 0 offset:364
	v_cmp_gt_u32_e64 s[6:7], 45, v0
	s_waitcnt vmcnt(0)
	ds_write_b64 v98, v[96:97]
	s_waitcnt lgkmcnt(0)
	; wave barrier
	s_waitcnt lgkmcnt(0)
	s_and_saveexec_b64 s[8:9], s[6:7]
	s_cbranch_execz .LBB110_900
; %bb.891:
	s_and_b64 vcc, exec, s[4:5]
	s_cbranch_vccnz .LBB110_893
; %bb.892:
	buffer_load_dword v96, v99, s[0:3], 0 offen
	buffer_load_dword v97, v99, s[0:3], 0 offen offset:4
	ds_read_b64 v[100:101], v98
	s_waitcnt vmcnt(0) lgkmcnt(0)
	v_mul_f64 v[96:97], v[96:97], v[100:101]
	s_cbranch_execz .LBB110_894
	s_branch .LBB110_895
.LBB110_893:
                                        ; implicit-def: $vgpr96_vgpr97
.LBB110_894:
	ds_read_b64 v[96:97], v98
.LBB110_895:
	v_cmp_ne_u32_e32 vcc, 44, v0
	s_and_saveexec_b64 s[10:11], vcc
	s_cbranch_execz .LBB110_899
; %bb.896:
	v_mov_b32_e32 v101, 0
	v_add_u32_e32 v100, 0x188, v1
	v_add3_u32 v101, v1, v101, 8
	s_mov_b64 s[12:13], 0
	v_mov_b32_e32 v102, v0
.LBB110_897:                            ; =>This Inner Loop Header: Depth=1
	buffer_load_dword v104, v101, s[0:3], 0 offen
	buffer_load_dword v105, v101, s[0:3], 0 offen offset:4
	ds_read_b64 v[106:107], v100
	v_add_u32_e32 v102, 1, v102
	v_cmp_lt_u32_e32 vcc, 43, v102
	v_add_u32_e32 v100, 8, v100
	v_add_u32_e32 v101, 8, v101
	s_or_b64 s[12:13], vcc, s[12:13]
	s_waitcnt vmcnt(0) lgkmcnt(0)
	v_fmac_f64_e32 v[96:97], v[104:105], v[106:107]
	s_andn2_b64 exec, exec, s[12:13]
	s_cbranch_execnz .LBB110_897
; %bb.898:
	s_or_b64 exec, exec, s[12:13]
.LBB110_899:
	s_or_b64 exec, exec, s[10:11]
	v_mov_b32_e32 v100, 0
	ds_read_b64 v[100:101], v100 offset:360
	s_waitcnt lgkmcnt(0)
	v_mul_f64 v[96:97], v[96:97], v[100:101]
	buffer_store_dword v97, off, s[0:3], 0 offset:364
	buffer_store_dword v96, off, s[0:3], 0 offset:360
.LBB110_900:
	s_or_b64 exec, exec, s[8:9]
	buffer_load_dword v96, off, s[0:3], 0 offset:368
	buffer_load_dword v97, off, s[0:3], 0 offset:372
	v_cmp_ne_u32_e32 vcc, 46, v0
	s_waitcnt vmcnt(0)
	ds_write_b64 v98, v[96:97]
	s_waitcnt lgkmcnt(0)
	; wave barrier
	s_waitcnt lgkmcnt(0)
	s_and_saveexec_b64 s[8:9], vcc
	s_cbranch_execz .LBB110_910
; %bb.901:
	s_and_b64 vcc, exec, s[4:5]
	s_cbranch_vccnz .LBB110_903
; %bb.902:
	buffer_load_dword v96, v99, s[0:3], 0 offen
	buffer_load_dword v97, v99, s[0:3], 0 offen offset:4
	ds_read_b64 v[100:101], v98
	s_waitcnt vmcnt(0) lgkmcnt(0)
	v_mul_f64 v[96:97], v[96:97], v[100:101]
	s_cbranch_execz .LBB110_904
	s_branch .LBB110_905
.LBB110_903:
                                        ; implicit-def: $vgpr96_vgpr97
.LBB110_904:
	ds_read_b64 v[96:97], v98
.LBB110_905:
	s_and_saveexec_b64 s[4:5], s[6:7]
	s_cbranch_execz .LBB110_909
; %bb.906:
	v_mov_b32_e32 v99, 0
	v_add_u32_e32 v98, 0x188, v1
	v_add3_u32 v1, v1, v99, 8
	s_mov_b64 s[6:7], 0
.LBB110_907:                            ; =>This Inner Loop Header: Depth=1
	buffer_load_dword v100, v1, s[0:3], 0 offen
	buffer_load_dword v101, v1, s[0:3], 0 offen offset:4
	ds_read_b64 v[102:103], v98
	v_add_u32_e32 v0, 1, v0
	v_cmp_lt_u32_e32 vcc, 44, v0
	v_add_u32_e32 v98, 8, v98
	v_add_u32_e32 v1, 8, v1
	s_or_b64 s[6:7], vcc, s[6:7]
	s_waitcnt vmcnt(0) lgkmcnt(0)
	v_fmac_f64_e32 v[96:97], v[100:101], v[102:103]
	s_andn2_b64 exec, exec, s[6:7]
	s_cbranch_execnz .LBB110_907
; %bb.908:
	s_or_b64 exec, exec, s[6:7]
.LBB110_909:
	s_or_b64 exec, exec, s[4:5]
	v_mov_b32_e32 v0, 0
	ds_read_b64 v[0:1], v0 offset:368
	s_waitcnt lgkmcnt(0)
	v_mul_f64 v[0:1], v[96:97], v[0:1]
	buffer_store_dword v1, off, s[0:3], 0 offset:372
	buffer_store_dword v0, off, s[0:3], 0 offset:368
.LBB110_910:
	s_or_b64 exec, exec, s[8:9]
.LBB110_911:
	buffer_load_dword v0, off, s[0:3], 0
	buffer_load_dword v1, off, s[0:3], 0 offset:4
	buffer_load_dword v96, off, s[0:3], 0 offset:8
	buffer_load_dword v97, off, s[0:3], 0 offset:12
	buffer_load_dword v98, off, s[0:3], 0 offset:16
	buffer_load_dword v99, off, s[0:3], 0 offset:20
	buffer_load_dword v100, off, s[0:3], 0 offset:24
	buffer_load_dword v101, off, s[0:3], 0 offset:28
	buffer_load_dword v102, off, s[0:3], 0 offset:32
	buffer_load_dword v103, off, s[0:3], 0 offset:36
	buffer_load_dword v104, off, s[0:3], 0 offset:40
	buffer_load_dword v105, off, s[0:3], 0 offset:44
	buffer_load_dword v106, off, s[0:3], 0 offset:48
	buffer_load_dword v107, off, s[0:3], 0 offset:52
	buffer_load_dword v108, off, s[0:3], 0 offset:56
	buffer_load_dword v109, off, s[0:3], 0 offset:60
	s_waitcnt vmcnt(14)
	global_store_dwordx2 v[92:93], v[0:1], off
	s_waitcnt vmcnt(13)
	global_store_dwordx2 v[94:95], v[96:97], off
	;; [unrolled: 2-line block ×8, first 2 shown]
	buffer_load_dword v1, off, s[0:3], 0 offset:68
	buffer_load_dword v0, off, s[0:3], 0 offset:64
	s_waitcnt vmcnt(0)
	global_store_dwordx2 v[20:21], v[0:1], off
	buffer_load_dword v0, off, s[0:3], 0 offset:72
	s_nop 0
	buffer_load_dword v1, off, s[0:3], 0 offset:76
	s_waitcnt vmcnt(0)
	global_store_dwordx2 v[12:13], v[0:1], off
	buffer_load_dword v0, off, s[0:3], 0 offset:80
	s_nop 0
	;; [unrolled: 5-line block ×38, first 2 shown]
	buffer_load_dword v1, off, s[0:3], 0 offset:372
	s_waitcnt vmcnt(0)
	global_store_dwordx2 v[78:79], v[0:1], off
.LBB110_912:
	s_endpgm
	.section	.rodata,"a",@progbits
	.p2align	6, 0x0
	.amdhsa_kernel _ZN9rocsolver6v33100L18trti2_kernel_smallILi47EdPKPdEEv13rocblas_fill_17rocblas_diagonal_T1_iil
		.amdhsa_group_segment_fixed_size 760
		.amdhsa_private_segment_fixed_size 384
		.amdhsa_kernarg_size 32
		.amdhsa_user_sgpr_count 8
		.amdhsa_user_sgpr_private_segment_buffer 1
		.amdhsa_user_sgpr_dispatch_ptr 0
		.amdhsa_user_sgpr_queue_ptr 0
		.amdhsa_user_sgpr_kernarg_segment_ptr 1
		.amdhsa_user_sgpr_dispatch_id 0
		.amdhsa_user_sgpr_flat_scratch_init 1
		.amdhsa_user_sgpr_kernarg_preload_length 0
		.amdhsa_user_sgpr_kernarg_preload_offset 0
		.amdhsa_user_sgpr_private_segment_size 0
		.amdhsa_uses_dynamic_stack 0
		.amdhsa_system_sgpr_private_segment_wavefront_offset 1
		.amdhsa_system_sgpr_workgroup_id_x 1
		.amdhsa_system_sgpr_workgroup_id_y 0
		.amdhsa_system_sgpr_workgroup_id_z 0
		.amdhsa_system_sgpr_workgroup_info 0
		.amdhsa_system_vgpr_workitem_id 0
		.amdhsa_next_free_vgpr 164
		.amdhsa_next_free_sgpr 16
		.amdhsa_accum_offset 164
		.amdhsa_reserve_vcc 1
		.amdhsa_reserve_flat_scratch 0
		.amdhsa_float_round_mode_32 0
		.amdhsa_float_round_mode_16_64 0
		.amdhsa_float_denorm_mode_32 3
		.amdhsa_float_denorm_mode_16_64 3
		.amdhsa_dx10_clamp 1
		.amdhsa_ieee_mode 1
		.amdhsa_fp16_overflow 0
		.amdhsa_tg_split 0
		.amdhsa_exception_fp_ieee_invalid_op 0
		.amdhsa_exception_fp_denorm_src 0
		.amdhsa_exception_fp_ieee_div_zero 0
		.amdhsa_exception_fp_ieee_overflow 0
		.amdhsa_exception_fp_ieee_underflow 0
		.amdhsa_exception_fp_ieee_inexact 0
		.amdhsa_exception_int_div_zero 0
	.end_amdhsa_kernel
	.section	.text._ZN9rocsolver6v33100L18trti2_kernel_smallILi47EdPKPdEEv13rocblas_fill_17rocblas_diagonal_T1_iil,"axG",@progbits,_ZN9rocsolver6v33100L18trti2_kernel_smallILi47EdPKPdEEv13rocblas_fill_17rocblas_diagonal_T1_iil,comdat
.Lfunc_end110:
	.size	_ZN9rocsolver6v33100L18trti2_kernel_smallILi47EdPKPdEEv13rocblas_fill_17rocblas_diagonal_T1_iil, .Lfunc_end110-_ZN9rocsolver6v33100L18trti2_kernel_smallILi47EdPKPdEEv13rocblas_fill_17rocblas_diagonal_T1_iil
                                        ; -- End function
	.section	.AMDGPU.csdata,"",@progbits
; Kernel info:
; codeLenInByte = 27552
; NumSgprs: 20
; NumVgprs: 164
; NumAgprs: 0
; TotalNumVgprs: 164
; ScratchSize: 384
; MemoryBound: 0
; FloatMode: 240
; IeeeMode: 1
; LDSByteSize: 760 bytes/workgroup (compile time only)
; SGPRBlocks: 2
; VGPRBlocks: 20
; NumSGPRsForWavesPerEU: 20
; NumVGPRsForWavesPerEU: 164
; AccumOffset: 164
; Occupancy: 3
; WaveLimiterHint : 1
; COMPUTE_PGM_RSRC2:SCRATCH_EN: 1
; COMPUTE_PGM_RSRC2:USER_SGPR: 8
; COMPUTE_PGM_RSRC2:TRAP_HANDLER: 0
; COMPUTE_PGM_RSRC2:TGID_X_EN: 1
; COMPUTE_PGM_RSRC2:TGID_Y_EN: 0
; COMPUTE_PGM_RSRC2:TGID_Z_EN: 0
; COMPUTE_PGM_RSRC2:TIDIG_COMP_CNT: 0
; COMPUTE_PGM_RSRC3_GFX90A:ACCUM_OFFSET: 40
; COMPUTE_PGM_RSRC3_GFX90A:TG_SPLIT: 0
	.section	.text._ZN9rocsolver6v33100L18trti2_kernel_smallILi48EdPKPdEEv13rocblas_fill_17rocblas_diagonal_T1_iil,"axG",@progbits,_ZN9rocsolver6v33100L18trti2_kernel_smallILi48EdPKPdEEv13rocblas_fill_17rocblas_diagonal_T1_iil,comdat
	.globl	_ZN9rocsolver6v33100L18trti2_kernel_smallILi48EdPKPdEEv13rocblas_fill_17rocblas_diagonal_T1_iil ; -- Begin function _ZN9rocsolver6v33100L18trti2_kernel_smallILi48EdPKPdEEv13rocblas_fill_17rocblas_diagonal_T1_iil
	.p2align	8
	.type	_ZN9rocsolver6v33100L18trti2_kernel_smallILi48EdPKPdEEv13rocblas_fill_17rocblas_diagonal_T1_iil,@function
_ZN9rocsolver6v33100L18trti2_kernel_smallILi48EdPKPdEEv13rocblas_fill_17rocblas_diagonal_T1_iil: ; @_ZN9rocsolver6v33100L18trti2_kernel_smallILi48EdPKPdEEv13rocblas_fill_17rocblas_diagonal_T1_iil
; %bb.0:
	s_add_u32 s0, s0, s9
	s_addc_u32 s1, s1, 0
	v_cmp_gt_u32_e32 vcc, 48, v0
	s_and_saveexec_b64 s[6:7], vcc
	s_cbranch_execz .LBB111_932
; %bb.1:
	s_load_dwordx2 s[6:7], s[4:5], 0x10
	s_load_dwordx4 s[12:15], s[4:5], 0x0
	s_ashr_i32 s9, s8, 31
	s_lshl_b64 s[4:5], s[8:9], 3
	s_waitcnt lgkmcnt(0)
	s_ashr_i32 s9, s6, 31
	s_add_u32 s4, s14, s4
	s_addc_u32 s5, s15, s5
	s_load_dwordx2 s[4:5], s[4:5], 0x0
	s_mov_b32 s8, s6
	s_lshl_b64 s[8:9], s[8:9], 3
	s_waitcnt lgkmcnt(0)
	s_add_u32 s4, s4, s8
	s_addc_u32 s5, s5, s9
	s_add_i32 s6, s7, s7
	v_add_u32_e32 v4, s6, v0
	v_ashrrev_i32_e32 v5, 31, v4
	v_lshlrev_b64 v[2:3], 3, v[4:5]
	v_add_u32_e32 v6, s7, v4
	v_mov_b32_e32 v1, s5
	v_add_co_u32_e32 v2, vcc, s4, v2
	v_ashrrev_i32_e32 v7, 31, v6
	v_addc_co_u32_e32 v3, vcc, v1, v3, vcc
	v_lshlrev_b64 v[4:5], 3, v[6:7]
	v_add_u32_e32 v8, s7, v6
	v_add_co_u32_e32 v4, vcc, s4, v4
	v_ashrrev_i32_e32 v9, 31, v8
	v_addc_co_u32_e32 v5, vcc, v1, v5, vcc
	v_lshlrev_b64 v[6:7], 3, v[8:9]
	v_add_u32_e32 v10, s7, v8
	;; [unrolled: 5-line block ×5, first 2 shown]
	v_add_co_u32_e32 v14, vcc, s4, v14
	v_ashrrev_i32_e32 v13, 31, v12
	v_addc_co_u32_e32 v15, vcc, v1, v15, vcc
	v_lshlrev_b64 v[16:17], 3, v[12:13]
	v_add_co_u32_e32 v20, vcc, s4, v16
	v_add_u32_e32 v16, s7, v12
	v_addc_co_u32_e32 v21, vcc, v1, v17, vcc
	v_ashrrev_i32_e32 v17, 31, v16
	v_lshlrev_b64 v[12:13], 3, v[16:17]
	v_add_u32_e32 v18, s7, v16
	v_add_co_u32_e32 v12, vcc, s4, v12
	v_ashrrev_i32_e32 v19, 31, v18
	v_addc_co_u32_e32 v13, vcc, v1, v13, vcc
	v_lshlrev_b64 v[16:17], 3, v[18:19]
	v_add_u32_e32 v22, s7, v18
	v_add_co_u32_e32 v16, vcc, s4, v16
	v_ashrrev_i32_e32 v23, 31, v22
	v_addc_co_u32_e32 v17, vcc, v1, v17, vcc
	;; [unrolled: 5-line block ×30, first 2 shown]
	v_lshlrev_b64 v[76:77], 3, v[78:79]
	v_add_co_u32_e32 v76, vcc, s4, v76
	v_add_u32_e32 v78, s7, v78
	v_addc_co_u32_e32 v77, vcc, v1, v77, vcc
	v_ashrrev_i32_e32 v79, 31, v78
	v_lshlrev_b32_e32 v1, 3, v0
	v_lshlrev_b64 v[80:81], 3, v[78:79]
	global_load_dwordx2 v[98:99], v1, s[4:5]
	global_load_dwordx2 v[102:103], v[2:3], off
	global_load_dwordx2 v[104:105], v[4:5], off
	;; [unrolled: 1-line block ×3, first 2 shown]
	v_mov_b32_e32 v79, s5
	v_add_co_u32_e32 v94, vcc, s4, v1
	s_ashr_i32 s9, s7, 31
	s_mov_b32 s8, s7
	v_addc_co_u32_e32 v95, vcc, 0, v79, vcc
	s_lshl_b64 s[8:9], s[8:9], 3
	v_mov_b32_e32 v79, s9
	v_add_co_u32_e32 v96, vcc, s8, v94
	v_addc_co_u32_e32 v97, vcc, v95, v79, vcc
	global_load_dwordx2 v[100:101], v[96:97], off
	global_load_dwordx2 v[108:109], v[8:9], off
	;; [unrolled: 1-line block ×11, first 2 shown]
	v_add_u32_e32 v78, s7, v78
	v_mov_b32_e32 v82, s5
	v_add_co_u32_e32 v80, vcc, s4, v80
	v_ashrrev_i32_e32 v79, 31, v78
	v_addc_co_u32_e32 v81, vcc, v82, v81, vcc
	v_lshlrev_b64 v[82:83], 3, v[78:79]
	v_add_u32_e32 v78, s7, v78
	v_mov_b32_e32 v84, s5
	v_add_co_u32_e32 v82, vcc, s4, v82
	v_ashrrev_i32_e32 v79, 31, v78
	v_addc_co_u32_e32 v83, vcc, v84, v83, vcc
	v_lshlrev_b64 v[84:85], 3, v[78:79]
	;; [unrolled: 6-line block ×7, first 2 shown]
	v_add_co_u32_e32 v78, vcc, s4, v78
	v_addc_co_u32_e32 v79, vcc, v128, v79, vcc
	global_load_dwordx2 v[128:129], v[28:29], off
	global_load_dwordx2 v[130:131], v[78:79], off
	;; [unrolled: 1-line block ×18, first 2 shown]
	s_cmpk_lg_i32 s13, 0x84
	s_waitcnt vmcnt(32)
	buffer_store_dword v99, off, s[0:3], 0 offset:4
	buffer_store_dword v98, off, s[0:3], 0
	global_load_dwordx2 v[98:99], v[34:35], off
	s_cselect_b64 s[8:9], -1, 0
	s_waitcnt vmcnt(31)
	buffer_store_dword v101, off, s[0:3], 0 offset:12
	buffer_store_dword v100, off, s[0:3], 0 offset:8
	global_load_dwordx2 v[100:101], v[38:39], off
	s_cmpk_eq_i32 s13, 0x84
	buffer_store_dword v103, off, s[0:3], 0 offset:20
	buffer_store_dword v102, off, s[0:3], 0 offset:16
	global_load_dwordx2 v[102:103], v[42:43], off
	s_nop 0
	buffer_store_dword v105, off, s[0:3], 0 offset:28
	buffer_store_dword v104, off, s[0:3], 0 offset:24
	global_load_dwordx2 v[104:105], v[46:47], off
	s_nop 0
	buffer_store_dword v107, off, s[0:3], 0 offset:36
	buffer_store_dword v106, off, s[0:3], 0 offset:32
	global_load_dwordx2 v[106:107], v[50:51], off
	s_waitcnt vmcnt(42)
	buffer_store_dword v109, off, s[0:3], 0 offset:44
	buffer_store_dword v108, off, s[0:3], 0 offset:40
	global_load_dwordx2 v[108:109], v[54:55], off
	s_waitcnt vmcnt(44)
	;; [unrolled: 4-line block ×6, first 2 shown]
	buffer_store_dword v118, off, s[0:3], 0 offset:80
	buffer_store_dword v119, off, s[0:3], 0 offset:84
	global_load_dwordx2 v[118:119], v[74:75], off
	s_nop 0
	buffer_store_dword v120, off, s[0:3], 0 offset:88
	buffer_store_dword v121, off, s[0:3], 0 offset:92
	global_load_dwordx2 v[120:121], v[80:81], off
	s_waitcnt vmcnt(56)
	buffer_store_dword v122, off, s[0:3], 0 offset:96
	buffer_store_dword v123, off, s[0:3], 0 offset:100
	global_load_dwordx2 v[122:123], v[84:85], off
	s_waitcnt vmcnt(58)
	buffer_store_dword v124, off, s[0:3], 0 offset:104
	buffer_store_dword v125, off, s[0:3], 0 offset:108
	global_load_dwordx2 v[124:125], v[88:89], off
	s_waitcnt vmcnt(60)
	buffer_store_dword v127, off, s[0:3], 0 offset:116
	buffer_store_dword v126, off, s[0:3], 0 offset:112
	global_load_dwordx2 v[126:127], v[92:93], off
	s_waitcnt vmcnt(62)
	buffer_store_dword v128, off, s[0:3], 0 offset:120
	buffer_store_dword v129, off, s[0:3], 0 offset:124
	s_waitcnt vmcnt(62)
	buffer_store_dword v132, off, s[0:3], 0 offset:128
	buffer_store_dword v133, off, s[0:3], 0 offset:132
	s_waitcnt vmcnt(62)
	;; [unrolled: 3-line block ×3, first 2 shown]
	buffer_store_dword v98, off, s[0:3], 0 offset:144
	buffer_store_dword v99, off, s[0:3], 0 offset:148
	buffer_store_dword v137, off, s[0:3], 0 offset:156
	buffer_store_dword v136, off, s[0:3], 0 offset:152
	s_waitcnt vmcnt(49)
	buffer_store_dword v101, off, s[0:3], 0 offset:164
	buffer_store_dword v100, off, s[0:3], 0 offset:160
	buffer_store_dword v138, off, s[0:3], 0 offset:168
	buffer_store_dword v139, off, s[0:3], 0 offset:172
	s_waitcnt vmcnt(50)
	;; [unrolled: 5-line block ×14, first 2 shown]
	buffer_store_dword v126, off, s[0:3], 0 offset:368
	buffer_store_dword v127, off, s[0:3], 0 offset:372
	buffer_store_dword v130, off, s[0:3], 0 offset:376
	buffer_store_dword v131, off, s[0:3], 0 offset:380
	v_mov_b32_e32 v98, 0
	v_mov_b32_e32 v146, 0
	;; [unrolled: 1-line block ×3, first 2 shown]
	s_cbranch_scc1 .LBB111_3
; %bb.2:
	v_lshl_add_u32 v108, v0, 3, v146
	buffer_load_dword v98, v108, s[0:3], 0 offen
	buffer_load_dword v99, v108, s[0:3], 0 offen offset:4
	s_waitcnt vmcnt(0)
	v_div_scale_f64 v[100:101], s[4:5], v[98:99], v[98:99], 1.0
	v_rcp_f64_e32 v[102:103], v[100:101]
	v_div_scale_f64 v[104:105], vcc, 1.0, v[98:99], 1.0
	v_fma_f64 v[106:107], -v[100:101], v[102:103], 1.0
	v_fmac_f64_e32 v[102:103], v[102:103], v[106:107]
	v_fma_f64 v[106:107], -v[100:101], v[102:103], 1.0
	v_fmac_f64_e32 v[102:103], v[102:103], v[106:107]
	v_mul_f64 v[106:107], v[104:105], v[102:103]
	v_fma_f64 v[100:101], -v[100:101], v[106:107], v[104:105]
	v_div_fmas_f64 v[100:101], v[100:101], v[102:103], v[106:107]
	v_div_fixup_f64 v[98:99], v[100:101], v[98:99], 1.0
	buffer_store_dword v98, v108, s[0:3], 0 offen
	buffer_store_dword v99, v108, s[0:3], 0 offen offset:4
	v_xor_b32_e32 v99, 0x80000000, v99
.LBB111_3:
	s_cmpk_eq_i32 s12, 0x79
	v_add_u32_e32 v100, 0x180, v1
	v_add_u32_e32 v101, 0, v1
	s_mov_b64 s[4:5], -1
	ds_write_b64 v1, v[98:99]
	s_cbranch_scc1 .LBB111_467
; %bb.4:
	buffer_load_dword v98, off, s[0:3], 0 offset:368
	buffer_load_dword v99, off, s[0:3], 0 offset:372
	v_cmp_eq_u32_e64 s[4:5], 47, v0
	s_waitcnt vmcnt(0)
	ds_write_b64 v100, v[98:99]
	s_waitcnt lgkmcnt(0)
	; wave barrier
	s_waitcnt lgkmcnt(0)
	s_and_saveexec_b64 s[6:7], s[4:5]
	s_cbranch_execz .LBB111_10
; %bb.5:
	s_and_b64 vcc, exec, s[8:9]
	s_cbranch_vccz .LBB111_7
; %bb.6:
	buffer_load_dword v98, v101, s[0:3], 0 offen
	buffer_load_dword v99, v101, s[0:3], 0 offen offset:4
	ds_read_b64 v[102:103], v100
	s_waitcnt vmcnt(0) lgkmcnt(0)
	v_mul_f64 v[98:99], v[98:99], v[102:103]
	s_cbranch_execz .LBB111_8
	s_branch .LBB111_9
.LBB111_7:
                                        ; implicit-def: $vgpr98_vgpr99
.LBB111_8:
	ds_read_b64 v[98:99], v100
.LBB111_9:
	v_mov_b32_e32 v102, 0
	ds_read_b64 v[102:103], v102 offset:368
	s_waitcnt lgkmcnt(0)
	v_mul_f64 v[98:99], v[98:99], v[102:103]
	buffer_store_dword v99, off, s[0:3], 0 offset:372
	buffer_store_dword v98, off, s[0:3], 0 offset:368
.LBB111_10:
	s_or_b64 exec, exec, s[6:7]
	buffer_load_dword v98, off, s[0:3], 0 offset:360
	buffer_load_dword v99, off, s[0:3], 0 offset:364
	v_or_b32_e32 v102, 8, v146
	v_add_u32_e32 v103, 16, v146
	v_add_u32_e32 v104, 24, v146
	;; [unrolled: 1-line block ×44, first 2 shown]
	v_cmp_lt_u32_e64 s[6:7], 45, v0
	s_waitcnt vmcnt(0)
	ds_write_b64 v100, v[98:99]
	s_waitcnt lgkmcnt(0)
	; wave barrier
	s_waitcnt lgkmcnt(0)
	s_and_saveexec_b64 s[10:11], s[6:7]
	s_cbranch_execz .LBB111_16
; %bb.11:
	s_andn2_b64 vcc, exec, s[8:9]
	s_cbranch_vccnz .LBB111_13
; %bb.12:
	buffer_load_dword v98, v101, s[0:3], 0 offen
	buffer_load_dword v99, v101, s[0:3], 0 offen offset:4
	ds_read_b64 v[148:149], v100
	s_waitcnt vmcnt(0) lgkmcnt(0)
	v_mul_f64 v[98:99], v[98:99], v[148:149]
	s_cbranch_execz .LBB111_14
	s_branch .LBB111_15
.LBB111_13:
                                        ; implicit-def: $vgpr98_vgpr99
.LBB111_14:
	ds_read_b64 v[98:99], v100
.LBB111_15:
	buffer_load_dword v152, off, s[0:3], 0 offset:368
	buffer_load_dword v153, off, s[0:3], 0 offset:372
	v_mov_b32_e32 v147, 0
	ds_read2_b64 v[148:151], v147 offset0:45 offset1:94
	s_waitcnt vmcnt(0) lgkmcnt(0)
	v_fma_f64 v[150:151], v[152:153], v[150:151], v[98:99]
	v_cndmask_b32_e64 v99, v99, v151, s[4:5]
	v_cndmask_b32_e64 v98, v98, v150, s[4:5]
	v_mul_f64 v[98:99], v[98:99], v[148:149]
	buffer_store_dword v99, off, s[0:3], 0 offset:364
	buffer_store_dword v98, off, s[0:3], 0 offset:360
.LBB111_16:
	s_or_b64 exec, exec, s[10:11]
	buffer_load_dword v98, off, s[0:3], 0 offset:352
	buffer_load_dword v99, off, s[0:3], 0 offset:356
	v_cmp_lt_u32_e64 s[4:5], 44, v0
	s_waitcnt vmcnt(0)
	ds_write_b64 v100, v[98:99]
	s_waitcnt lgkmcnt(0)
	; wave barrier
	s_waitcnt lgkmcnt(0)
	s_and_saveexec_b64 s[10:11], s[4:5]
	s_cbranch_execz .LBB111_26
; %bb.17:
	s_andn2_b64 vcc, exec, s[8:9]
	s_cbranch_vccnz .LBB111_19
; %bb.18:
	buffer_load_dword v98, v101, s[0:3], 0 offen
	buffer_load_dword v99, v101, s[0:3], 0 offen offset:4
	ds_read_b64 v[148:149], v100
	s_waitcnt vmcnt(0) lgkmcnt(0)
	v_mul_f64 v[98:99], v[98:99], v[148:149]
	s_cbranch_execz .LBB111_20
	s_branch .LBB111_21
.LBB111_19:
                                        ; implicit-def: $vgpr98_vgpr99
.LBB111_20:
	ds_read_b64 v[98:99], v100
.LBB111_21:
	s_and_saveexec_b64 s[12:13], s[6:7]
	s_cbranch_execz .LBB111_25
; %bb.22:
	v_subrev_u32_e32 v147, 45, v0
	s_movk_i32 s14, 0x2e8
	s_mov_b64 s[6:7], 0
.LBB111_23:                             ; =>This Inner Loop Header: Depth=1
	buffer_load_dword v148, v146, s[0:3], 0 offen
	buffer_load_dword v149, v146, s[0:3], 0 offen offset:4
	v_mov_b32_e32 v150, s14
	ds_read_b64 v[150:151], v150
	v_add_u32_e32 v147, -1, v147
	s_add_i32 s14, s14, 8
	v_cmp_eq_u32_e32 vcc, 0, v147
	v_add_u32_e32 v146, 8, v146
	s_or_b64 s[6:7], vcc, s[6:7]
	s_waitcnt vmcnt(0) lgkmcnt(0)
	v_fmac_f64_e32 v[98:99], v[148:149], v[150:151]
	s_andn2_b64 exec, exec, s[6:7]
	s_cbranch_execnz .LBB111_23
; %bb.24:
	s_or_b64 exec, exec, s[6:7]
.LBB111_25:
	s_or_b64 exec, exec, s[12:13]
	v_mov_b32_e32 v146, 0
	ds_read_b64 v[146:147], v146 offset:352
	s_waitcnt lgkmcnt(0)
	v_mul_f64 v[98:99], v[98:99], v[146:147]
	buffer_store_dword v99, off, s[0:3], 0 offset:356
	buffer_store_dword v98, off, s[0:3], 0 offset:352
.LBB111_26:
	s_or_b64 exec, exec, s[10:11]
	buffer_load_dword v98, off, s[0:3], 0 offset:344
	buffer_load_dword v99, off, s[0:3], 0 offset:348
	v_cmp_lt_u32_e64 s[6:7], 43, v0
	s_waitcnt vmcnt(0)
	ds_write_b64 v100, v[98:99]
	s_waitcnt lgkmcnt(0)
	; wave barrier
	s_waitcnt lgkmcnt(0)
	s_and_saveexec_b64 s[10:11], s[6:7]
	s_cbranch_execz .LBB111_36
; %bb.27:
	s_andn2_b64 vcc, exec, s[8:9]
	s_cbranch_vccnz .LBB111_29
; %bb.28:
	buffer_load_dword v98, v101, s[0:3], 0 offen
	buffer_load_dword v99, v101, s[0:3], 0 offen offset:4
	ds_read_b64 v[146:147], v100
	s_waitcnt vmcnt(0) lgkmcnt(0)
	v_mul_f64 v[98:99], v[98:99], v[146:147]
	s_cbranch_execz .LBB111_30
	s_branch .LBB111_31
.LBB111_29:
                                        ; implicit-def: $vgpr98_vgpr99
.LBB111_30:
	ds_read_b64 v[98:99], v100
.LBB111_31:
	s_and_saveexec_b64 s[12:13], s[4:5]
	s_cbranch_execz .LBB111_35
; %bb.32:
	v_subrev_u32_e32 v146, 44, v0
	s_movk_i32 s14, 0x2e0
	s_mov_b64 s[4:5], 0
.LBB111_33:                             ; =>This Inner Loop Header: Depth=1
	buffer_load_dword v148, v145, s[0:3], 0 offen
	buffer_load_dword v149, v145, s[0:3], 0 offen offset:4
	v_mov_b32_e32 v147, s14
	ds_read_b64 v[150:151], v147
	v_add_u32_e32 v146, -1, v146
	s_add_i32 s14, s14, 8
	v_cmp_eq_u32_e32 vcc, 0, v146
	v_add_u32_e32 v145, 8, v145
	s_or_b64 s[4:5], vcc, s[4:5]
	s_waitcnt vmcnt(0) lgkmcnt(0)
	v_fmac_f64_e32 v[98:99], v[148:149], v[150:151]
	s_andn2_b64 exec, exec, s[4:5]
	s_cbranch_execnz .LBB111_33
; %bb.34:
	s_or_b64 exec, exec, s[4:5]
.LBB111_35:
	s_or_b64 exec, exec, s[12:13]
	v_mov_b32_e32 v145, 0
	ds_read_b64 v[146:147], v145 offset:344
	s_waitcnt lgkmcnt(0)
	v_mul_f64 v[98:99], v[98:99], v[146:147]
	buffer_store_dword v99, off, s[0:3], 0 offset:348
	buffer_store_dword v98, off, s[0:3], 0 offset:344
.LBB111_36:
	;; [unrolled: 58-line block ×8, first 2 shown]
	s_or_b64 exec, exec, s[10:11]
	buffer_load_dword v98, off, s[0:3], 0 offset:288
	buffer_load_dword v99, off, s[0:3], 0 offset:292
	v_cmp_lt_u32_e64 s[4:5], 36, v0
	s_waitcnt vmcnt(0)
	ds_write_b64 v100, v[98:99]
	s_waitcnt lgkmcnt(0)
	; wave barrier
	s_waitcnt lgkmcnt(0)
	s_and_saveexec_b64 s[10:11], s[4:5]
	s_cbranch_execz .LBB111_106
; %bb.97:
	s_andn2_b64 vcc, exec, s[8:9]
	s_cbranch_vccnz .LBB111_99
; %bb.98:
	buffer_load_dword v98, v101, s[0:3], 0 offen
	buffer_load_dword v99, v101, s[0:3], 0 offen offset:4
	ds_read_b64 v[140:141], v100
	s_waitcnt vmcnt(0) lgkmcnt(0)
	v_mul_f64 v[98:99], v[98:99], v[140:141]
	s_cbranch_execz .LBB111_100
	s_branch .LBB111_101
.LBB111_99:
                                        ; implicit-def: $vgpr98_vgpr99
.LBB111_100:
	ds_read_b64 v[98:99], v100
.LBB111_101:
	s_and_saveexec_b64 s[12:13], s[6:7]
	s_cbranch_execz .LBB111_105
; %bb.102:
	v_subrev_u32_e32 v139, 37, v0
	s_movk_i32 s14, 0x2a8
	s_mov_b64 s[6:7], 0
.LBB111_103:                            ; =>This Inner Loop Header: Depth=1
	buffer_load_dword v140, v138, s[0:3], 0 offen
	buffer_load_dword v141, v138, s[0:3], 0 offen offset:4
	v_mov_b32_e32 v142, s14
	ds_read_b64 v[142:143], v142
	v_add_u32_e32 v139, -1, v139
	s_add_i32 s14, s14, 8
	v_cmp_eq_u32_e32 vcc, 0, v139
	v_add_u32_e32 v138, 8, v138
	s_or_b64 s[6:7], vcc, s[6:7]
	s_waitcnt vmcnt(0) lgkmcnt(0)
	v_fmac_f64_e32 v[98:99], v[140:141], v[142:143]
	s_andn2_b64 exec, exec, s[6:7]
	s_cbranch_execnz .LBB111_103
; %bb.104:
	s_or_b64 exec, exec, s[6:7]
.LBB111_105:
	s_or_b64 exec, exec, s[12:13]
	v_mov_b32_e32 v138, 0
	ds_read_b64 v[138:139], v138 offset:288
	s_waitcnt lgkmcnt(0)
	v_mul_f64 v[98:99], v[98:99], v[138:139]
	buffer_store_dword v99, off, s[0:3], 0 offset:292
	buffer_store_dword v98, off, s[0:3], 0 offset:288
.LBB111_106:
	s_or_b64 exec, exec, s[10:11]
	buffer_load_dword v98, off, s[0:3], 0 offset:280
	buffer_load_dword v99, off, s[0:3], 0 offset:284
	v_cmp_lt_u32_e64 s[6:7], 35, v0
	s_waitcnt vmcnt(0)
	ds_write_b64 v100, v[98:99]
	s_waitcnt lgkmcnt(0)
	; wave barrier
	s_waitcnt lgkmcnt(0)
	s_and_saveexec_b64 s[10:11], s[6:7]
	s_cbranch_execz .LBB111_116
; %bb.107:
	s_andn2_b64 vcc, exec, s[8:9]
	s_cbranch_vccnz .LBB111_109
; %bb.108:
	buffer_load_dword v98, v101, s[0:3], 0 offen
	buffer_load_dword v99, v101, s[0:3], 0 offen offset:4
	ds_read_b64 v[138:139], v100
	s_waitcnt vmcnt(0) lgkmcnt(0)
	v_mul_f64 v[98:99], v[98:99], v[138:139]
	s_cbranch_execz .LBB111_110
	s_branch .LBB111_111
.LBB111_109:
                                        ; implicit-def: $vgpr98_vgpr99
.LBB111_110:
	ds_read_b64 v[98:99], v100
.LBB111_111:
	s_and_saveexec_b64 s[12:13], s[4:5]
	s_cbranch_execz .LBB111_115
; %bb.112:
	v_subrev_u32_e32 v138, 36, v0
	s_movk_i32 s14, 0x2a0
	s_mov_b64 s[4:5], 0
.LBB111_113:                            ; =>This Inner Loop Header: Depth=1
	buffer_load_dword v140, v137, s[0:3], 0 offen
	buffer_load_dword v141, v137, s[0:3], 0 offen offset:4
	v_mov_b32_e32 v139, s14
	ds_read_b64 v[142:143], v139
	v_add_u32_e32 v138, -1, v138
	s_add_i32 s14, s14, 8
	v_cmp_eq_u32_e32 vcc, 0, v138
	v_add_u32_e32 v137, 8, v137
	s_or_b64 s[4:5], vcc, s[4:5]
	s_waitcnt vmcnt(0) lgkmcnt(0)
	v_fmac_f64_e32 v[98:99], v[140:141], v[142:143]
	s_andn2_b64 exec, exec, s[4:5]
	s_cbranch_execnz .LBB111_113
; %bb.114:
	s_or_b64 exec, exec, s[4:5]
.LBB111_115:
	s_or_b64 exec, exec, s[12:13]
	v_mov_b32_e32 v137, 0
	ds_read_b64 v[138:139], v137 offset:280
	s_waitcnt lgkmcnt(0)
	v_mul_f64 v[98:99], v[98:99], v[138:139]
	buffer_store_dword v99, off, s[0:3], 0 offset:284
	buffer_store_dword v98, off, s[0:3], 0 offset:280
.LBB111_116:
	;; [unrolled: 58-line block ×21, first 2 shown]
	s_or_b64 exec, exec, s[10:11]
	buffer_load_dword v98, off, s[0:3], 0 offset:120
	buffer_load_dword v99, off, s[0:3], 0 offset:124
	v_cmp_lt_u32_e64 s[6:7], 15, v0
	s_waitcnt vmcnt(0)
	ds_write_b64 v100, v[98:99]
	s_waitcnt lgkmcnt(0)
	; wave barrier
	s_waitcnt lgkmcnt(0)
	s_and_saveexec_b64 s[10:11], s[6:7]
	s_cbranch_execz .LBB111_316
; %bb.307:
	s_andn2_b64 vcc, exec, s[8:9]
	s_cbranch_vccnz .LBB111_309
; %bb.308:
	buffer_load_dword v98, v101, s[0:3], 0 offen
	buffer_load_dword v99, v101, s[0:3], 0 offen offset:4
	ds_read_b64 v[118:119], v100
	s_waitcnt vmcnt(0) lgkmcnt(0)
	v_mul_f64 v[98:99], v[98:99], v[118:119]
	s_cbranch_execz .LBB111_310
	s_branch .LBB111_311
.LBB111_309:
                                        ; implicit-def: $vgpr98_vgpr99
.LBB111_310:
	ds_read_b64 v[98:99], v100
.LBB111_311:
	s_and_saveexec_b64 s[12:13], s[4:5]
	s_cbranch_execz .LBB111_315
; %bb.312:
	v_add_u32_e32 v118, -16, v0
	s_movk_i32 s14, 0x200
	s_mov_b64 s[4:5], 0
.LBB111_313:                            ; =>This Inner Loop Header: Depth=1
	buffer_load_dword v120, v117, s[0:3], 0 offen
	buffer_load_dword v121, v117, s[0:3], 0 offen offset:4
	v_mov_b32_e32 v119, s14
	ds_read_b64 v[122:123], v119
	v_add_u32_e32 v118, -1, v118
	s_add_i32 s14, s14, 8
	v_cmp_eq_u32_e32 vcc, 0, v118
	v_add_u32_e32 v117, 8, v117
	s_or_b64 s[4:5], vcc, s[4:5]
	s_waitcnt vmcnt(0) lgkmcnt(0)
	v_fmac_f64_e32 v[98:99], v[120:121], v[122:123]
	s_andn2_b64 exec, exec, s[4:5]
	s_cbranch_execnz .LBB111_313
; %bb.314:
	s_or_b64 exec, exec, s[4:5]
.LBB111_315:
	s_or_b64 exec, exec, s[12:13]
	v_mov_b32_e32 v117, 0
	ds_read_b64 v[118:119], v117 offset:120
	s_waitcnt lgkmcnt(0)
	v_mul_f64 v[98:99], v[98:99], v[118:119]
	buffer_store_dword v99, off, s[0:3], 0 offset:124
	buffer_store_dword v98, off, s[0:3], 0 offset:120
.LBB111_316:
	s_or_b64 exec, exec, s[10:11]
	buffer_load_dword v98, off, s[0:3], 0 offset:112
	buffer_load_dword v99, off, s[0:3], 0 offset:116
	v_cmp_lt_u32_e64 s[4:5], 14, v0
	s_waitcnt vmcnt(0)
	ds_write_b64 v100, v[98:99]
	s_waitcnt lgkmcnt(0)
	; wave barrier
	s_waitcnt lgkmcnt(0)
	s_and_saveexec_b64 s[10:11], s[4:5]
	s_cbranch_execz .LBB111_326
; %bb.317:
	s_andn2_b64 vcc, exec, s[8:9]
	s_cbranch_vccnz .LBB111_319
; %bb.318:
	buffer_load_dword v98, v101, s[0:3], 0 offen
	buffer_load_dword v99, v101, s[0:3], 0 offen offset:4
	ds_read_b64 v[118:119], v100
	s_waitcnt vmcnt(0) lgkmcnt(0)
	v_mul_f64 v[98:99], v[98:99], v[118:119]
	s_cbranch_execz .LBB111_320
	s_branch .LBB111_321
.LBB111_319:
                                        ; implicit-def: $vgpr98_vgpr99
.LBB111_320:
	ds_read_b64 v[98:99], v100
.LBB111_321:
	s_and_saveexec_b64 s[12:13], s[6:7]
	s_cbranch_execz .LBB111_325
; %bb.322:
	v_add_u32_e32 v117, -15, v0
	s_movk_i32 s14, 0x1f8
	s_mov_b64 s[6:7], 0
.LBB111_323:                            ; =>This Inner Loop Header: Depth=1
	buffer_load_dword v118, v116, s[0:3], 0 offen
	buffer_load_dword v119, v116, s[0:3], 0 offen offset:4
	v_mov_b32_e32 v120, s14
	ds_read_b64 v[120:121], v120
	v_add_u32_e32 v117, -1, v117
	s_add_i32 s14, s14, 8
	v_cmp_eq_u32_e32 vcc, 0, v117
	v_add_u32_e32 v116, 8, v116
	s_or_b64 s[6:7], vcc, s[6:7]
	s_waitcnt vmcnt(0) lgkmcnt(0)
	v_fmac_f64_e32 v[98:99], v[118:119], v[120:121]
	s_andn2_b64 exec, exec, s[6:7]
	s_cbranch_execnz .LBB111_323
; %bb.324:
	s_or_b64 exec, exec, s[6:7]
.LBB111_325:
	s_or_b64 exec, exec, s[12:13]
	v_mov_b32_e32 v116, 0
	ds_read_b64 v[116:117], v116 offset:112
	s_waitcnt lgkmcnt(0)
	v_mul_f64 v[98:99], v[98:99], v[116:117]
	buffer_store_dword v99, off, s[0:3], 0 offset:116
	buffer_store_dword v98, off, s[0:3], 0 offset:112
.LBB111_326:
	;; [unrolled: 58-line block ×15, first 2 shown]
	s_or_b64 exec, exec, s[10:11]
	buffer_load_dword v98, off, s[0:3], 0
	buffer_load_dword v99, off, s[0:3], 0 offset:4
	v_cmp_ne_u32_e32 vcc, 0, v0
	s_waitcnt vmcnt(0)
	ds_write_b64 v100, v[98:99]
	s_waitcnt lgkmcnt(0)
	; wave barrier
	s_waitcnt lgkmcnt(0)
	s_and_saveexec_b64 s[4:5], vcc
	s_cbranch_execz .LBB111_466
; %bb.457:
	s_andn2_b64 vcc, exec, s[8:9]
	s_cbranch_vccnz .LBB111_459
; %bb.458:
	buffer_load_dword v98, v101, s[0:3], 0 offen
	buffer_load_dword v99, v101, s[0:3], 0 offen offset:4
	ds_read_b64 v[104:105], v100
	s_waitcnt vmcnt(0) lgkmcnt(0)
	v_mul_f64 v[98:99], v[98:99], v[104:105]
	s_cbranch_execz .LBB111_460
	s_branch .LBB111_461
.LBB111_459:
                                        ; implicit-def: $vgpr98_vgpr99
.LBB111_460:
	ds_read_b64 v[98:99], v100
.LBB111_461:
	s_and_saveexec_b64 s[10:11], s[6:7]
	s_cbranch_execz .LBB111_465
; %bb.462:
	v_add_u32_e32 v103, -1, v0
	s_movk_i32 s12, 0x188
	s_mov_b64 s[6:7], 0
.LBB111_463:                            ; =>This Inner Loop Header: Depth=1
	buffer_load_dword v104, v102, s[0:3], 0 offen
	buffer_load_dword v105, v102, s[0:3], 0 offen offset:4
	v_mov_b32_e32 v106, s12
	ds_read_b64 v[106:107], v106
	v_add_u32_e32 v103, -1, v103
	s_add_i32 s12, s12, 8
	v_cmp_eq_u32_e32 vcc, 0, v103
	v_add_u32_e32 v102, 8, v102
	s_or_b64 s[6:7], vcc, s[6:7]
	s_waitcnt vmcnt(0) lgkmcnt(0)
	v_fmac_f64_e32 v[98:99], v[104:105], v[106:107]
	s_andn2_b64 exec, exec, s[6:7]
	s_cbranch_execnz .LBB111_463
; %bb.464:
	s_or_b64 exec, exec, s[6:7]
.LBB111_465:
	s_or_b64 exec, exec, s[10:11]
	v_mov_b32_e32 v102, 0
	ds_read_b64 v[102:103], v102
	s_waitcnt lgkmcnt(0)
	v_mul_f64 v[98:99], v[98:99], v[102:103]
	buffer_store_dword v99, off, s[0:3], 0 offset:4
	buffer_store_dword v98, off, s[0:3], 0
.LBB111_466:
	s_or_b64 exec, exec, s[4:5]
	s_mov_b64 s[4:5], 0
.LBB111_467:
	s_and_b64 vcc, exec, s[4:5]
	s_cbranch_vccz .LBB111_931
; %bb.468:
	buffer_load_dword v98, off, s[0:3], 0 offset:8
	buffer_load_dword v99, off, s[0:3], 0 offset:12
	v_cmp_eq_u32_e64 s[6:7], 0, v0
	s_waitcnt vmcnt(0)
	ds_write_b64 v100, v[98:99]
	s_waitcnt lgkmcnt(0)
	; wave barrier
	s_waitcnt lgkmcnt(0)
	s_and_saveexec_b64 s[4:5], s[6:7]
	s_cbranch_execz .LBB111_474
; %bb.469:
	s_and_b64 vcc, exec, s[8:9]
	s_cbranch_vccz .LBB111_471
; %bb.470:
	buffer_load_dword v98, v101, s[0:3], 0 offen
	buffer_load_dword v99, v101, s[0:3], 0 offen offset:4
	ds_read_b64 v[102:103], v100
	s_waitcnt vmcnt(0) lgkmcnt(0)
	v_mul_f64 v[98:99], v[98:99], v[102:103]
	s_cbranch_execz .LBB111_472
	s_branch .LBB111_473
.LBB111_471:
                                        ; implicit-def: $vgpr98_vgpr99
.LBB111_472:
	ds_read_b64 v[98:99], v100
.LBB111_473:
	v_mov_b32_e32 v102, 0
	ds_read_b64 v[102:103], v102 offset:8
	s_waitcnt lgkmcnt(0)
	v_mul_f64 v[98:99], v[98:99], v[102:103]
	buffer_store_dword v99, off, s[0:3], 0 offset:12
	buffer_store_dword v98, off, s[0:3], 0 offset:8
.LBB111_474:
	s_or_b64 exec, exec, s[4:5]
	buffer_load_dword v98, off, s[0:3], 0 offset:16
	buffer_load_dword v99, off, s[0:3], 0 offset:20
	v_cndmask_b32_e64 v102, 0, 1, s[8:9]
	v_cmp_gt_u32_e32 vcc, 2, v0
	v_cmp_ne_u32_e64 s[4:5], 1, v102
	s_waitcnt vmcnt(0)
	ds_write_b64 v100, v[98:99]
	s_waitcnt lgkmcnt(0)
	; wave barrier
	s_waitcnt lgkmcnt(0)
	s_and_saveexec_b64 s[8:9], vcc
	s_cbranch_execz .LBB111_482
; %bb.475:
	s_and_b64 vcc, exec, s[4:5]
	s_cbranch_vccnz .LBB111_477
; %bb.476:
	buffer_load_dword v98, v101, s[0:3], 0 offen
	buffer_load_dword v99, v101, s[0:3], 0 offen offset:4
	ds_read_b64 v[102:103], v100
	s_waitcnt vmcnt(0) lgkmcnt(0)
	v_mul_f64 v[98:99], v[98:99], v[102:103]
	s_cbranch_execz .LBB111_478
	s_branch .LBB111_479
.LBB111_477:
                                        ; implicit-def: $vgpr98_vgpr99
.LBB111_478:
	ds_read_b64 v[98:99], v100
.LBB111_479:
	s_and_saveexec_b64 s[10:11], s[6:7]
	s_cbranch_execz .LBB111_481
; %bb.480:
	buffer_load_dword v102, v101, s[0:3], 0 offen offset:8
	buffer_load_dword v103, v101, s[0:3], 0 offen offset:12
	ds_read_b64 v[104:105], v100 offset:8
	s_waitcnt vmcnt(0) lgkmcnt(0)
	v_fmac_f64_e32 v[98:99], v[102:103], v[104:105]
.LBB111_481:
	s_or_b64 exec, exec, s[10:11]
	v_mov_b32_e32 v102, 0
	ds_read_b64 v[102:103], v102 offset:16
	s_waitcnt lgkmcnt(0)
	v_mul_f64 v[98:99], v[98:99], v[102:103]
	buffer_store_dword v99, off, s[0:3], 0 offset:20
	buffer_store_dword v98, off, s[0:3], 0 offset:16
.LBB111_482:
	s_or_b64 exec, exec, s[8:9]
	buffer_load_dword v98, off, s[0:3], 0 offset:24
	buffer_load_dword v99, off, s[0:3], 0 offset:28
	v_cmp_gt_u32_e32 vcc, 3, v0
	s_waitcnt vmcnt(0)
	ds_write_b64 v100, v[98:99]
	s_waitcnt lgkmcnt(0)
	; wave barrier
	s_waitcnt lgkmcnt(0)
	s_and_saveexec_b64 s[8:9], vcc
	s_cbranch_execz .LBB111_490
; %bb.483:
	s_and_b64 vcc, exec, s[4:5]
	s_cbranch_vccnz .LBB111_485
; %bb.484:
	buffer_load_dword v98, v101, s[0:3], 0 offen
	buffer_load_dword v99, v101, s[0:3], 0 offen offset:4
	ds_read_b64 v[102:103], v100
	s_waitcnt vmcnt(0) lgkmcnt(0)
	v_mul_f64 v[98:99], v[98:99], v[102:103]
	s_cbranch_execz .LBB111_486
	s_branch .LBB111_487
.LBB111_485:
                                        ; implicit-def: $vgpr98_vgpr99
.LBB111_486:
	ds_read_b64 v[98:99], v100
.LBB111_487:
	v_cmp_ne_u32_e32 vcc, 2, v0
	s_and_saveexec_b64 s[10:11], vcc
	s_cbranch_execz .LBB111_489
; %bb.488:
	buffer_load_dword v103, v101, s[0:3], 0 offen offset:12
	buffer_load_dword v104, off, s[0:3], 0 offset:16
	buffer_load_dword v102, v101, s[0:3], 0 offen offset:8
	buffer_load_dword v105, off, s[0:3], 0 offset:20
	v_mov_b32_e32 v108, 0
	ds_read_b64 v[106:107], v100 offset:8
	ds_read_b64 v[108:109], v108 offset:400
	s_waitcnt vmcnt(1) lgkmcnt(1)
	v_fmac_f64_e32 v[98:99], v[102:103], v[106:107]
	s_waitcnt vmcnt(0) lgkmcnt(0)
	v_fma_f64 v[102:103], v[104:105], v[108:109], v[98:99]
	v_cndmask_b32_e64 v99, v99, v103, s[6:7]
	v_cndmask_b32_e64 v98, v98, v102, s[6:7]
.LBB111_489:
	s_or_b64 exec, exec, s[10:11]
	v_mov_b32_e32 v102, 0
	ds_read_b64 v[102:103], v102 offset:24
	s_waitcnt lgkmcnt(0)
	v_mul_f64 v[98:99], v[98:99], v[102:103]
	buffer_store_dword v99, off, s[0:3], 0 offset:28
	buffer_store_dword v98, off, s[0:3], 0 offset:24
.LBB111_490:
	s_or_b64 exec, exec, s[8:9]
	buffer_load_dword v98, off, s[0:3], 0 offset:32
	buffer_load_dword v99, off, s[0:3], 0 offset:36
	v_cmp_gt_u32_e32 vcc, 4, v0
	s_waitcnt vmcnt(0)
	ds_write_b64 v100, v[98:99]
	s_waitcnt lgkmcnt(0)
	; wave barrier
	s_waitcnt lgkmcnt(0)
	s_and_saveexec_b64 s[6:7], vcc
	s_cbranch_execz .LBB111_500
; %bb.491:
	s_and_b64 vcc, exec, s[4:5]
	s_cbranch_vccnz .LBB111_493
; %bb.492:
	buffer_load_dword v98, v101, s[0:3], 0 offen
	buffer_load_dword v99, v101, s[0:3], 0 offen offset:4
	ds_read_b64 v[102:103], v100
	s_waitcnt vmcnt(0) lgkmcnt(0)
	v_mul_f64 v[98:99], v[98:99], v[102:103]
	s_cbranch_execz .LBB111_494
	s_branch .LBB111_495
.LBB111_493:
                                        ; implicit-def: $vgpr98_vgpr99
.LBB111_494:
	ds_read_b64 v[98:99], v100
.LBB111_495:
	v_cmp_ne_u32_e32 vcc, 3, v0
	s_and_saveexec_b64 s[8:9], vcc
	s_cbranch_execz .LBB111_499
; %bb.496:
	v_mov_b32_e32 v103, 0
	v_add_u32_e32 v102, 0x188, v1
	v_add3_u32 v103, v1, v103, 8
	s_mov_b64 s[10:11], 0
	v_mov_b32_e32 v104, v0
.LBB111_497:                            ; =>This Inner Loop Header: Depth=1
	buffer_load_dword v106, v103, s[0:3], 0 offen
	buffer_load_dword v107, v103, s[0:3], 0 offen offset:4
	ds_read_b64 v[108:109], v102
	v_add_u32_e32 v104, 1, v104
	v_cmp_lt_u32_e32 vcc, 2, v104
	v_add_u32_e32 v102, 8, v102
	v_add_u32_e32 v103, 8, v103
	s_or_b64 s[10:11], vcc, s[10:11]
	s_waitcnt vmcnt(0) lgkmcnt(0)
	v_fmac_f64_e32 v[98:99], v[106:107], v[108:109]
	s_andn2_b64 exec, exec, s[10:11]
	s_cbranch_execnz .LBB111_497
; %bb.498:
	s_or_b64 exec, exec, s[10:11]
.LBB111_499:
	s_or_b64 exec, exec, s[8:9]
	v_mov_b32_e32 v102, 0
	ds_read_b64 v[102:103], v102 offset:32
	s_waitcnt lgkmcnt(0)
	v_mul_f64 v[98:99], v[98:99], v[102:103]
	buffer_store_dword v99, off, s[0:3], 0 offset:36
	buffer_store_dword v98, off, s[0:3], 0 offset:32
.LBB111_500:
	s_or_b64 exec, exec, s[6:7]
	buffer_load_dword v98, off, s[0:3], 0 offset:40
	buffer_load_dword v99, off, s[0:3], 0 offset:44
	v_cmp_gt_u32_e32 vcc, 5, v0
	s_waitcnt vmcnt(0)
	ds_write_b64 v100, v[98:99]
	s_waitcnt lgkmcnt(0)
	; wave barrier
	s_waitcnt lgkmcnt(0)
	s_and_saveexec_b64 s[6:7], vcc
	s_cbranch_execz .LBB111_510
; %bb.501:
	s_and_b64 vcc, exec, s[4:5]
	s_cbranch_vccnz .LBB111_503
; %bb.502:
	buffer_load_dword v98, v101, s[0:3], 0 offen
	buffer_load_dword v99, v101, s[0:3], 0 offen offset:4
	ds_read_b64 v[102:103], v100
	s_waitcnt vmcnt(0) lgkmcnt(0)
	v_mul_f64 v[98:99], v[98:99], v[102:103]
	s_cbranch_execz .LBB111_504
	s_branch .LBB111_505
.LBB111_503:
                                        ; implicit-def: $vgpr98_vgpr99
.LBB111_504:
	ds_read_b64 v[98:99], v100
.LBB111_505:
	v_cmp_ne_u32_e32 vcc, 4, v0
	s_and_saveexec_b64 s[8:9], vcc
	s_cbranch_execz .LBB111_509
; %bb.506:
	v_mov_b32_e32 v103, 0
	v_add_u32_e32 v102, 0x188, v1
	v_add3_u32 v103, v1, v103, 8
	s_mov_b64 s[10:11], 0
	v_mov_b32_e32 v104, v0
.LBB111_507:                            ; =>This Inner Loop Header: Depth=1
	buffer_load_dword v106, v103, s[0:3], 0 offen
	buffer_load_dword v107, v103, s[0:3], 0 offen offset:4
	ds_read_b64 v[108:109], v102
	v_add_u32_e32 v104, 1, v104
	v_cmp_lt_u32_e32 vcc, 3, v104
	v_add_u32_e32 v102, 8, v102
	v_add_u32_e32 v103, 8, v103
	s_or_b64 s[10:11], vcc, s[10:11]
	s_waitcnt vmcnt(0) lgkmcnt(0)
	v_fmac_f64_e32 v[98:99], v[106:107], v[108:109]
	s_andn2_b64 exec, exec, s[10:11]
	s_cbranch_execnz .LBB111_507
; %bb.508:
	s_or_b64 exec, exec, s[10:11]
.LBB111_509:
	s_or_b64 exec, exec, s[8:9]
	v_mov_b32_e32 v102, 0
	ds_read_b64 v[102:103], v102 offset:40
	s_waitcnt lgkmcnt(0)
	v_mul_f64 v[98:99], v[98:99], v[102:103]
	buffer_store_dword v99, off, s[0:3], 0 offset:44
	buffer_store_dword v98, off, s[0:3], 0 offset:40
.LBB111_510:
	;; [unrolled: 60-line block ×42, first 2 shown]
	s_or_b64 exec, exec, s[6:7]
	buffer_load_dword v98, off, s[0:3], 0 offset:368
	buffer_load_dword v99, off, s[0:3], 0 offset:372
	v_cmp_gt_u32_e64 s[6:7], 46, v0
	s_waitcnt vmcnt(0)
	ds_write_b64 v100, v[98:99]
	s_waitcnt lgkmcnt(0)
	; wave barrier
	s_waitcnt lgkmcnt(0)
	s_and_saveexec_b64 s[8:9], s[6:7]
	s_cbranch_execz .LBB111_920
; %bb.911:
	s_and_b64 vcc, exec, s[4:5]
	s_cbranch_vccnz .LBB111_913
; %bb.912:
	buffer_load_dword v98, v101, s[0:3], 0 offen
	buffer_load_dword v99, v101, s[0:3], 0 offen offset:4
	ds_read_b64 v[102:103], v100
	s_waitcnt vmcnt(0) lgkmcnt(0)
	v_mul_f64 v[98:99], v[98:99], v[102:103]
	s_cbranch_execz .LBB111_914
	s_branch .LBB111_915
.LBB111_913:
                                        ; implicit-def: $vgpr98_vgpr99
.LBB111_914:
	ds_read_b64 v[98:99], v100
.LBB111_915:
	v_cmp_ne_u32_e32 vcc, 45, v0
	s_and_saveexec_b64 s[10:11], vcc
	s_cbranch_execz .LBB111_919
; %bb.916:
	v_mov_b32_e32 v103, 0
	v_add_u32_e32 v102, 0x188, v1
	v_add3_u32 v103, v1, v103, 8
	s_mov_b64 s[12:13], 0
	v_mov_b32_e32 v104, v0
.LBB111_917:                            ; =>This Inner Loop Header: Depth=1
	buffer_load_dword v106, v103, s[0:3], 0 offen
	buffer_load_dword v107, v103, s[0:3], 0 offen offset:4
	ds_read_b64 v[108:109], v102
	v_add_u32_e32 v104, 1, v104
	v_cmp_lt_u32_e32 vcc, 44, v104
	v_add_u32_e32 v102, 8, v102
	v_add_u32_e32 v103, 8, v103
	s_or_b64 s[12:13], vcc, s[12:13]
	s_waitcnt vmcnt(0) lgkmcnt(0)
	v_fmac_f64_e32 v[98:99], v[106:107], v[108:109]
	s_andn2_b64 exec, exec, s[12:13]
	s_cbranch_execnz .LBB111_917
; %bb.918:
	s_or_b64 exec, exec, s[12:13]
.LBB111_919:
	s_or_b64 exec, exec, s[10:11]
	v_mov_b32_e32 v102, 0
	ds_read_b64 v[102:103], v102 offset:368
	s_waitcnt lgkmcnt(0)
	v_mul_f64 v[98:99], v[98:99], v[102:103]
	buffer_store_dword v99, off, s[0:3], 0 offset:372
	buffer_store_dword v98, off, s[0:3], 0 offset:368
.LBB111_920:
	s_or_b64 exec, exec, s[8:9]
	buffer_load_dword v98, off, s[0:3], 0 offset:376
	buffer_load_dword v99, off, s[0:3], 0 offset:380
	v_cmp_ne_u32_e32 vcc, 47, v0
	s_waitcnt vmcnt(0)
	ds_write_b64 v100, v[98:99]
	s_waitcnt lgkmcnt(0)
	; wave barrier
	s_waitcnt lgkmcnt(0)
	s_and_saveexec_b64 s[8:9], vcc
	s_cbranch_execz .LBB111_930
; %bb.921:
	s_and_b64 vcc, exec, s[4:5]
	s_cbranch_vccnz .LBB111_923
; %bb.922:
	buffer_load_dword v98, v101, s[0:3], 0 offen
	buffer_load_dword v99, v101, s[0:3], 0 offen offset:4
	ds_read_b64 v[102:103], v100
	s_waitcnt vmcnt(0) lgkmcnt(0)
	v_mul_f64 v[98:99], v[98:99], v[102:103]
	s_cbranch_execz .LBB111_924
	s_branch .LBB111_925
.LBB111_923:
                                        ; implicit-def: $vgpr98_vgpr99
.LBB111_924:
	ds_read_b64 v[98:99], v100
.LBB111_925:
	s_and_saveexec_b64 s[4:5], s[6:7]
	s_cbranch_execz .LBB111_929
; %bb.926:
	v_mov_b32_e32 v101, 0
	v_add_u32_e32 v100, 0x188, v1
	v_add3_u32 v1, v1, v101, 8
	s_mov_b64 s[6:7], 0
.LBB111_927:                            ; =>This Inner Loop Header: Depth=1
	buffer_load_dword v102, v1, s[0:3], 0 offen
	buffer_load_dword v103, v1, s[0:3], 0 offen offset:4
	ds_read_b64 v[104:105], v100
	v_add_u32_e32 v0, 1, v0
	v_cmp_lt_u32_e32 vcc, 45, v0
	v_add_u32_e32 v100, 8, v100
	v_add_u32_e32 v1, 8, v1
	s_or_b64 s[6:7], vcc, s[6:7]
	s_waitcnt vmcnt(0) lgkmcnt(0)
	v_fmac_f64_e32 v[98:99], v[102:103], v[104:105]
	s_andn2_b64 exec, exec, s[6:7]
	s_cbranch_execnz .LBB111_927
; %bb.928:
	s_or_b64 exec, exec, s[6:7]
.LBB111_929:
	s_or_b64 exec, exec, s[4:5]
	v_mov_b32_e32 v0, 0
	ds_read_b64 v[0:1], v0 offset:376
	s_waitcnt lgkmcnt(0)
	v_mul_f64 v[0:1], v[98:99], v[0:1]
	buffer_store_dword v1, off, s[0:3], 0 offset:380
	buffer_store_dword v0, off, s[0:3], 0 offset:376
.LBB111_930:
	s_or_b64 exec, exec, s[8:9]
.LBB111_931:
	buffer_load_dword v0, off, s[0:3], 0
	buffer_load_dword v1, off, s[0:3], 0 offset:4
	buffer_load_dword v98, off, s[0:3], 0 offset:8
	buffer_load_dword v99, off, s[0:3], 0 offset:12
	buffer_load_dword v100, off, s[0:3], 0 offset:16
	buffer_load_dword v101, off, s[0:3], 0 offset:20
	buffer_load_dword v102, off, s[0:3], 0 offset:24
	buffer_load_dword v103, off, s[0:3], 0 offset:28
	buffer_load_dword v104, off, s[0:3], 0 offset:32
	buffer_load_dword v105, off, s[0:3], 0 offset:36
	buffer_load_dword v106, off, s[0:3], 0 offset:40
	buffer_load_dword v107, off, s[0:3], 0 offset:44
	buffer_load_dword v108, off, s[0:3], 0 offset:48
	buffer_load_dword v109, off, s[0:3], 0 offset:52
	buffer_load_dword v110, off, s[0:3], 0 offset:56
	buffer_load_dword v111, off, s[0:3], 0 offset:60
	s_waitcnt vmcnt(14)
	global_store_dwordx2 v[94:95], v[0:1], off
	s_waitcnt vmcnt(13)
	global_store_dwordx2 v[96:97], v[98:99], off
	;; [unrolled: 2-line block ×8, first 2 shown]
	buffer_load_dword v1, off, s[0:3], 0 offset:68
	buffer_load_dword v0, off, s[0:3], 0 offset:64
	s_waitcnt vmcnt(0)
	global_store_dwordx2 v[20:21], v[0:1], off
	buffer_load_dword v0, off, s[0:3], 0 offset:72
	s_nop 0
	buffer_load_dword v1, off, s[0:3], 0 offset:76
	s_waitcnt vmcnt(0)
	global_store_dwordx2 v[12:13], v[0:1], off
	buffer_load_dword v0, off, s[0:3], 0 offset:80
	s_nop 0
	;; [unrolled: 5-line block ×39, first 2 shown]
	buffer_load_dword v1, off, s[0:3], 0 offset:380
	s_waitcnt vmcnt(0)
	global_store_dwordx2 v[78:79], v[0:1], off
.LBB111_932:
	s_endpgm
	.section	.rodata,"a",@progbits
	.p2align	6, 0x0
	.amdhsa_kernel _ZN9rocsolver6v33100L18trti2_kernel_smallILi48EdPKPdEEv13rocblas_fill_17rocblas_diagonal_T1_iil
		.amdhsa_group_segment_fixed_size 768
		.amdhsa_private_segment_fixed_size 400
		.amdhsa_kernarg_size 32
		.amdhsa_user_sgpr_count 8
		.amdhsa_user_sgpr_private_segment_buffer 1
		.amdhsa_user_sgpr_dispatch_ptr 0
		.amdhsa_user_sgpr_queue_ptr 0
		.amdhsa_user_sgpr_kernarg_segment_ptr 1
		.amdhsa_user_sgpr_dispatch_id 0
		.amdhsa_user_sgpr_flat_scratch_init 1
		.amdhsa_user_sgpr_kernarg_preload_length 0
		.amdhsa_user_sgpr_kernarg_preload_offset 0
		.amdhsa_user_sgpr_private_segment_size 0
		.amdhsa_uses_dynamic_stack 0
		.amdhsa_system_sgpr_private_segment_wavefront_offset 1
		.amdhsa_system_sgpr_workgroup_id_x 1
		.amdhsa_system_sgpr_workgroup_id_y 0
		.amdhsa_system_sgpr_workgroup_id_z 0
		.amdhsa_system_sgpr_workgroup_info 0
		.amdhsa_system_vgpr_workitem_id 0
		.amdhsa_next_free_vgpr 164
		.amdhsa_next_free_sgpr 16
		.amdhsa_accum_offset 164
		.amdhsa_reserve_vcc 1
		.amdhsa_reserve_flat_scratch 0
		.amdhsa_float_round_mode_32 0
		.amdhsa_float_round_mode_16_64 0
		.amdhsa_float_denorm_mode_32 3
		.amdhsa_float_denorm_mode_16_64 3
		.amdhsa_dx10_clamp 1
		.amdhsa_ieee_mode 1
		.amdhsa_fp16_overflow 0
		.amdhsa_tg_split 0
		.amdhsa_exception_fp_ieee_invalid_op 0
		.amdhsa_exception_fp_denorm_src 0
		.amdhsa_exception_fp_ieee_div_zero 0
		.amdhsa_exception_fp_ieee_overflow 0
		.amdhsa_exception_fp_ieee_underflow 0
		.amdhsa_exception_fp_ieee_inexact 0
		.amdhsa_exception_int_div_zero 0
	.end_amdhsa_kernel
	.section	.text._ZN9rocsolver6v33100L18trti2_kernel_smallILi48EdPKPdEEv13rocblas_fill_17rocblas_diagonal_T1_iil,"axG",@progbits,_ZN9rocsolver6v33100L18trti2_kernel_smallILi48EdPKPdEEv13rocblas_fill_17rocblas_diagonal_T1_iil,comdat
.Lfunc_end111:
	.size	_ZN9rocsolver6v33100L18trti2_kernel_smallILi48EdPKPdEEv13rocblas_fill_17rocblas_diagonal_T1_iil, .Lfunc_end111-_ZN9rocsolver6v33100L18trti2_kernel_smallILi48EdPKPdEEv13rocblas_fill_17rocblas_diagonal_T1_iil
                                        ; -- End function
	.section	.AMDGPU.csdata,"",@progbits
; Kernel info:
; codeLenInByte = 28152
; NumSgprs: 20
; NumVgprs: 164
; NumAgprs: 0
; TotalNumVgprs: 164
; ScratchSize: 400
; MemoryBound: 0
; FloatMode: 240
; IeeeMode: 1
; LDSByteSize: 768 bytes/workgroup (compile time only)
; SGPRBlocks: 2
; VGPRBlocks: 20
; NumSGPRsForWavesPerEU: 20
; NumVGPRsForWavesPerEU: 164
; AccumOffset: 164
; Occupancy: 3
; WaveLimiterHint : 1
; COMPUTE_PGM_RSRC2:SCRATCH_EN: 1
; COMPUTE_PGM_RSRC2:USER_SGPR: 8
; COMPUTE_PGM_RSRC2:TRAP_HANDLER: 0
; COMPUTE_PGM_RSRC2:TGID_X_EN: 1
; COMPUTE_PGM_RSRC2:TGID_Y_EN: 0
; COMPUTE_PGM_RSRC2:TGID_Z_EN: 0
; COMPUTE_PGM_RSRC2:TIDIG_COMP_CNT: 0
; COMPUTE_PGM_RSRC3_GFX90A:ACCUM_OFFSET: 40
; COMPUTE_PGM_RSRC3_GFX90A:TG_SPLIT: 0
	.section	.text._ZN9rocsolver6v33100L18trti2_kernel_smallILi49EdPKPdEEv13rocblas_fill_17rocblas_diagonal_T1_iil,"axG",@progbits,_ZN9rocsolver6v33100L18trti2_kernel_smallILi49EdPKPdEEv13rocblas_fill_17rocblas_diagonal_T1_iil,comdat
	.globl	_ZN9rocsolver6v33100L18trti2_kernel_smallILi49EdPKPdEEv13rocblas_fill_17rocblas_diagonal_T1_iil ; -- Begin function _ZN9rocsolver6v33100L18trti2_kernel_smallILi49EdPKPdEEv13rocblas_fill_17rocblas_diagonal_T1_iil
	.p2align	8
	.type	_ZN9rocsolver6v33100L18trti2_kernel_smallILi49EdPKPdEEv13rocblas_fill_17rocblas_diagonal_T1_iil,@function
_ZN9rocsolver6v33100L18trti2_kernel_smallILi49EdPKPdEEv13rocblas_fill_17rocblas_diagonal_T1_iil: ; @_ZN9rocsolver6v33100L18trti2_kernel_smallILi49EdPKPdEEv13rocblas_fill_17rocblas_diagonal_T1_iil
; %bb.0:
	s_add_u32 s0, s0, s9
	s_addc_u32 s1, s1, 0
	v_cmp_gt_u32_e32 vcc, 49, v0
	s_and_saveexec_b64 s[6:7], vcc
	s_cbranch_execz .LBB112_952
; %bb.1:
	s_load_dwordx2 s[6:7], s[4:5], 0x10
	s_load_dwordx4 s[12:15], s[4:5], 0x0
	s_ashr_i32 s9, s8, 31
	s_lshl_b64 s[4:5], s[8:9], 3
	s_waitcnt lgkmcnt(0)
	s_ashr_i32 s9, s6, 31
	s_add_u32 s4, s14, s4
	s_addc_u32 s5, s15, s5
	s_load_dwordx2 s[4:5], s[4:5], 0x0
	s_mov_b32 s8, s6
	s_lshl_b64 s[8:9], s[8:9], 3
	s_waitcnt lgkmcnt(0)
	s_add_u32 s4, s4, s8
	s_addc_u32 s5, s5, s9
	s_add_i32 s6, s7, s7
	v_add_u32_e32 v4, s6, v0
	v_ashrrev_i32_e32 v5, 31, v4
	v_lshlrev_b64 v[2:3], 3, v[4:5]
	v_add_u32_e32 v6, s7, v4
	v_mov_b32_e32 v1, s5
	v_add_co_u32_e32 v2, vcc, s4, v2
	v_ashrrev_i32_e32 v7, 31, v6
	v_addc_co_u32_e32 v3, vcc, v1, v3, vcc
	v_lshlrev_b64 v[4:5], 3, v[6:7]
	v_add_u32_e32 v8, s7, v6
	v_add_co_u32_e32 v4, vcc, s4, v4
	v_ashrrev_i32_e32 v9, 31, v8
	v_addc_co_u32_e32 v5, vcc, v1, v5, vcc
	v_lshlrev_b64 v[6:7], 3, v[8:9]
	v_add_u32_e32 v10, s7, v8
	;; [unrolled: 5-line block ×5, first 2 shown]
	v_add_co_u32_e32 v14, vcc, s4, v14
	v_ashrrev_i32_e32 v13, 31, v12
	v_addc_co_u32_e32 v15, vcc, v1, v15, vcc
	v_lshlrev_b64 v[16:17], 3, v[12:13]
	v_add_co_u32_e32 v20, vcc, s4, v16
	v_add_u32_e32 v16, s7, v12
	v_addc_co_u32_e32 v21, vcc, v1, v17, vcc
	v_ashrrev_i32_e32 v17, 31, v16
	v_lshlrev_b64 v[12:13], 3, v[16:17]
	v_add_u32_e32 v18, s7, v16
	v_add_co_u32_e32 v12, vcc, s4, v12
	v_ashrrev_i32_e32 v19, 31, v18
	v_addc_co_u32_e32 v13, vcc, v1, v13, vcc
	v_lshlrev_b64 v[16:17], 3, v[18:19]
	v_add_u32_e32 v22, s7, v18
	v_add_co_u32_e32 v16, vcc, s4, v16
	v_ashrrev_i32_e32 v23, 31, v22
	v_addc_co_u32_e32 v17, vcc, v1, v17, vcc
	;; [unrolled: 5-line block ×31, first 2 shown]
	v_lshlrev_b64 v[78:79], 3, v[80:81]
	v_add_co_u32_e32 v78, vcc, s4, v78
	v_addc_co_u32_e32 v79, vcc, v1, v79, vcc
	v_lshlrev_b32_e32 v1, 3, v0
	v_mov_b32_e32 v82, s5
	v_add_co_u32_e32 v96, vcc, s4, v1
	s_ashr_i32 s9, s7, 31
	s_mov_b32 s8, s7
	v_addc_co_u32_e32 v97, vcc, 0, v82, vcc
	s_lshl_b64 s[8:9], s[8:9], 3
	global_load_dwordx2 v[100:101], v1, s[4:5]
	global_load_dwordx2 v[104:105], v[2:3], off
	global_load_dwordx2 v[106:107], v[4:5], off
	;; [unrolled: 1-line block ×3, first 2 shown]
	v_mov_b32_e32 v82, s9
	v_add_co_u32_e32 v98, vcc, s8, v96
	v_addc_co_u32_e32 v99, vcc, v97, v82, vcc
	global_load_dwordx2 v[102:103], v[98:99], off
	global_load_dwordx2 v[112:113], v[10:11], off
	;; [unrolled: 1-line block ×13, first 2 shown]
	v_add_u32_e32 v80, s7, v80
	v_ashrrev_i32_e32 v81, 31, v80
	v_lshlrev_b64 v[82:83], 3, v[80:81]
	v_add_u32_e32 v80, s7, v80
	v_mov_b32_e32 v84, s5
	v_add_co_u32_e32 v82, vcc, s4, v82
	v_ashrrev_i32_e32 v81, 31, v80
	v_addc_co_u32_e32 v83, vcc, v84, v83, vcc
	v_lshlrev_b64 v[84:85], 3, v[80:81]
	v_add_u32_e32 v80, s7, v80
	v_mov_b32_e32 v86, s5
	v_add_co_u32_e32 v84, vcc, s4, v84
	v_ashrrev_i32_e32 v81, 31, v80
	v_addc_co_u32_e32 v85, vcc, v86, v85, vcc
	;; [unrolled: 6-line block ×5, first 2 shown]
	v_lshlrev_b64 v[92:93], 3, v[80:81]
	v_add_u32_e32 v80, s7, v80
	v_mov_b32_e32 v94, s5
	v_add_co_u32_e32 v92, vcc, s4, v92
	v_ashrrev_i32_e32 v81, 31, v80
	s_waitcnt vmcnt(16)
	buffer_store_dword v101, off, s[0:3], 0 offset:4
	buffer_store_dword v100, off, s[0:3], 0
	s_waitcnt vmcnt(14)
	buffer_store_dword v103, off, s[0:3], 0 offset:12
	v_addc_co_u32_e32 v93, vcc, v94, v93, vcc
	v_lshlrev_b64 v[94:95], 3, v[80:81]
	v_add_u32_e32 v80, s7, v80
	global_load_dwordx2 v[100:101], v[32:33], off
	v_mov_b32_e32 v134, s5
	v_add_co_u32_e32 v94, vcc, s4, v94
	v_ashrrev_i32_e32 v81, 31, v80
	v_addc_co_u32_e32 v95, vcc, v134, v95, vcc
	v_lshlrev_b64 v[80:81], 3, v[80:81]
	buffer_store_dword v102, off, s[0:3], 0 offset:8
	global_load_dwordx2 v[102:103], v[34:35], off
	v_add_co_u32_e32 v80, vcc, s4, v80
	v_addc_co_u32_e32 v81, vcc, v134, v81, vcc
	global_load_dwordx2 v[134:135], v[36:37], off
	global_load_dwordx2 v[136:137], v[40:41], off
	;; [unrolled: 1-line block ×15, first 2 shown]
	s_cmpk_lg_i32 s13, 0x84
	buffer_store_dword v105, off, s[0:3], 0 offset:20
	buffer_store_dword v104, off, s[0:3], 0 offset:16
	global_load_dwordx2 v[104:105], v[38:39], off
	s_cselect_b64 s[8:9], -1, 0
	buffer_store_dword v107, off, s[0:3], 0 offset:28
	buffer_store_dword v106, off, s[0:3], 0 offset:24
	global_load_dwordx2 v[106:107], v[42:43], off
	s_cmpk_eq_i32 s13, 0x84
	buffer_store_dword v109, off, s[0:3], 0 offset:36
	buffer_store_dword v108, off, s[0:3], 0 offset:32
	global_load_dwordx2 v[108:109], v[46:47], off
	s_waitcnt vmcnt(40)
	buffer_store_dword v111, off, s[0:3], 0 offset:44
	buffer_store_dword v110, off, s[0:3], 0 offset:40
	global_load_dwordx2 v[110:111], v[50:51], off
	s_nop 0
	buffer_store_dword v113, off, s[0:3], 0 offset:52
	buffer_store_dword v112, off, s[0:3], 0 offset:48
	global_load_dwordx2 v[112:113], v[54:55], off
	s_waitcnt vmcnt(45)
	buffer_store_dword v115, off, s[0:3], 0 offset:60
	buffer_store_dword v114, off, s[0:3], 0 offset:56
	global_load_dwordx2 v[114:115], v[58:59], off
	s_waitcnt vmcnt(47)
	;; [unrolled: 4-line block ×11, first 2 shown]
	buffer_store_dword v100, off, s[0:3], 0 offset:136
	buffer_store_dword v101, off, s[0:3], 0 offset:140
	s_waitcnt vmcnt(62)
	buffer_store_dword v102, off, s[0:3], 0 offset:144
	buffer_store_dword v103, off, s[0:3], 0 offset:148
	s_waitcnt vmcnt(62)
	;; [unrolled: 3-line block ×3, first 2 shown]
	buffer_store_dword v105, off, s[0:3], 0 offset:164
	buffer_store_dword v104, off, s[0:3], 0 offset:160
	buffer_store_dword v136, off, s[0:3], 0 offset:168
	buffer_store_dword v137, off, s[0:3], 0 offset:172
	s_waitcnt vmcnt(49)
	buffer_store_dword v106, off, s[0:3], 0 offset:176
	buffer_store_dword v107, off, s[0:3], 0 offset:180
	buffer_store_dword v138, off, s[0:3], 0 offset:184
	buffer_store_dword v139, off, s[0:3], 0 offset:188
	s_waitcnt vmcnt(50)
	;; [unrolled: 5-line block ×14, first 2 shown]
	buffer_store_dword v132, off, s[0:3], 0 offset:384
	buffer_store_dword v133, off, s[0:3], 0 offset:388
	v_mov_b32_e32 v100, 0
	v_mov_b32_e32 v149, 0
	;; [unrolled: 1-line block ×3, first 2 shown]
	s_cbranch_scc1 .LBB112_3
; %bb.2:
	v_lshl_add_u32 v110, v0, 3, v149
	buffer_load_dword v100, v110, s[0:3], 0 offen
	buffer_load_dword v101, v110, s[0:3], 0 offen offset:4
	s_waitcnt vmcnt(0)
	v_div_scale_f64 v[102:103], s[4:5], v[100:101], v[100:101], 1.0
	v_rcp_f64_e32 v[104:105], v[102:103]
	v_div_scale_f64 v[106:107], vcc, 1.0, v[100:101], 1.0
	v_fma_f64 v[108:109], -v[102:103], v[104:105], 1.0
	v_fmac_f64_e32 v[104:105], v[104:105], v[108:109]
	v_fma_f64 v[108:109], -v[102:103], v[104:105], 1.0
	v_fmac_f64_e32 v[104:105], v[104:105], v[108:109]
	v_mul_f64 v[108:109], v[106:107], v[104:105]
	v_fma_f64 v[102:103], -v[102:103], v[108:109], v[106:107]
	v_div_fmas_f64 v[102:103], v[102:103], v[104:105], v[108:109]
	v_div_fixup_f64 v[100:101], v[102:103], v[100:101], 1.0
	buffer_store_dword v100, v110, s[0:3], 0 offen
	buffer_store_dword v101, v110, s[0:3], 0 offen offset:4
	v_xor_b32_e32 v101, 0x80000000, v101
.LBB112_3:
	s_cmpk_eq_i32 s12, 0x79
	v_add_u32_e32 v102, 0x190, v1
	v_add_u32_e32 v103, 0, v1
	s_mov_b64 s[4:5], -1
	ds_write_b64 v1, v[100:101]
	s_cbranch_scc1 .LBB112_477
; %bb.4:
	buffer_load_dword v100, off, s[0:3], 0 offset:376
	buffer_load_dword v101, off, s[0:3], 0 offset:380
	v_cmp_eq_u32_e64 s[4:5], 48, v0
	s_waitcnt vmcnt(0)
	ds_write_b64 v102, v[100:101]
	s_waitcnt lgkmcnt(0)
	; wave barrier
	s_waitcnt lgkmcnt(0)
	s_and_saveexec_b64 s[6:7], s[4:5]
	s_cbranch_execz .LBB112_10
; %bb.5:
	s_and_b64 vcc, exec, s[8:9]
	s_cbranch_vccz .LBB112_7
; %bb.6:
	buffer_load_dword v100, v103, s[0:3], 0 offen
	buffer_load_dword v101, v103, s[0:3], 0 offen offset:4
	ds_read_b64 v[104:105], v102
	s_waitcnt vmcnt(0) lgkmcnt(0)
	v_mul_f64 v[100:101], v[100:101], v[104:105]
	s_cbranch_execz .LBB112_8
	s_branch .LBB112_9
.LBB112_7:
                                        ; implicit-def: $vgpr100_vgpr101
.LBB112_8:
	ds_read_b64 v[100:101], v102
.LBB112_9:
	v_mov_b32_e32 v104, 0
	ds_read_b64 v[104:105], v104 offset:376
	s_waitcnt lgkmcnt(0)
	v_mul_f64 v[100:101], v[100:101], v[104:105]
	buffer_store_dword v101, off, s[0:3], 0 offset:380
	buffer_store_dword v100, off, s[0:3], 0 offset:376
.LBB112_10:
	s_or_b64 exec, exec, s[6:7]
	buffer_load_dword v100, off, s[0:3], 0 offset:368
	buffer_load_dword v101, off, s[0:3], 0 offset:372
	v_or_b32_e32 v104, 8, v149
	v_add_u32_e32 v105, 16, v149
	v_add_u32_e32 v106, 24, v149
	;; [unrolled: 1-line block ×45, first 2 shown]
	v_cmp_lt_u32_e64 s[6:7], 46, v0
	s_waitcnt vmcnt(0)
	ds_write_b64 v102, v[100:101]
	s_waitcnt lgkmcnt(0)
	; wave barrier
	s_waitcnt lgkmcnt(0)
	s_and_saveexec_b64 s[10:11], s[6:7]
	s_cbranch_execz .LBB112_16
; %bb.11:
	s_andn2_b64 vcc, exec, s[8:9]
	s_cbranch_vccnz .LBB112_13
; %bb.12:
	buffer_load_dword v100, v103, s[0:3], 0 offen
	buffer_load_dword v101, v103, s[0:3], 0 offen offset:4
	ds_read_b64 v[150:151], v102
	s_waitcnt vmcnt(0) lgkmcnt(0)
	v_mul_f64 v[100:101], v[100:101], v[150:151]
	s_cbranch_execz .LBB112_14
	s_branch .LBB112_15
.LBB112_13:
                                        ; implicit-def: $vgpr100_vgpr101
.LBB112_14:
	ds_read_b64 v[100:101], v102
.LBB112_15:
	buffer_load_dword v154, off, s[0:3], 0 offset:376
	buffer_load_dword v155, off, s[0:3], 0 offset:380
	v_mov_b32_e32 v150, 0
	ds_read2_b64 v[150:153], v150 offset0:46 offset1:97
	s_waitcnt vmcnt(0) lgkmcnt(0)
	v_fma_f64 v[152:153], v[154:155], v[152:153], v[100:101]
	v_cndmask_b32_e64 v101, v101, v153, s[4:5]
	v_cndmask_b32_e64 v100, v100, v152, s[4:5]
	v_mul_f64 v[100:101], v[100:101], v[150:151]
	buffer_store_dword v101, off, s[0:3], 0 offset:372
	buffer_store_dword v100, off, s[0:3], 0 offset:368
.LBB112_16:
	s_or_b64 exec, exec, s[10:11]
	buffer_load_dword v100, off, s[0:3], 0 offset:360
	buffer_load_dword v101, off, s[0:3], 0 offset:364
	v_cmp_lt_u32_e64 s[4:5], 45, v0
	s_waitcnt vmcnt(0)
	ds_write_b64 v102, v[100:101]
	s_waitcnt lgkmcnt(0)
	; wave barrier
	s_waitcnt lgkmcnt(0)
	s_and_saveexec_b64 s[10:11], s[4:5]
	s_cbranch_execz .LBB112_26
; %bb.17:
	s_andn2_b64 vcc, exec, s[8:9]
	s_cbranch_vccnz .LBB112_19
; %bb.18:
	buffer_load_dword v100, v103, s[0:3], 0 offen
	buffer_load_dword v101, v103, s[0:3], 0 offen offset:4
	ds_read_b64 v[150:151], v102
	s_waitcnt vmcnt(0) lgkmcnt(0)
	v_mul_f64 v[100:101], v[100:101], v[150:151]
	s_cbranch_execz .LBB112_20
	s_branch .LBB112_21
.LBB112_19:
                                        ; implicit-def: $vgpr100_vgpr101
.LBB112_20:
	ds_read_b64 v[100:101], v102
.LBB112_21:
	s_and_saveexec_b64 s[12:13], s[6:7]
	s_cbranch_execz .LBB112_25
; %bb.22:
	v_subrev_u32_e32 v150, 46, v0
	s_movk_i32 s14, 0x300
	s_mov_b64 s[6:7], 0
.LBB112_23:                             ; =>This Inner Loop Header: Depth=1
	buffer_load_dword v152, v149, s[0:3], 0 offen
	buffer_load_dword v153, v149, s[0:3], 0 offen offset:4
	v_mov_b32_e32 v151, s14
	ds_read_b64 v[154:155], v151
	v_add_u32_e32 v150, -1, v150
	s_add_i32 s14, s14, 8
	v_cmp_eq_u32_e32 vcc, 0, v150
	v_add_u32_e32 v149, 8, v149
	s_or_b64 s[6:7], vcc, s[6:7]
	s_waitcnt vmcnt(0) lgkmcnt(0)
	v_fmac_f64_e32 v[100:101], v[152:153], v[154:155]
	s_andn2_b64 exec, exec, s[6:7]
	s_cbranch_execnz .LBB112_23
; %bb.24:
	s_or_b64 exec, exec, s[6:7]
.LBB112_25:
	s_or_b64 exec, exec, s[12:13]
	v_mov_b32_e32 v149, 0
	ds_read_b64 v[150:151], v149 offset:360
	s_waitcnt lgkmcnt(0)
	v_mul_f64 v[100:101], v[100:101], v[150:151]
	buffer_store_dword v101, off, s[0:3], 0 offset:364
	buffer_store_dword v100, off, s[0:3], 0 offset:360
.LBB112_26:
	s_or_b64 exec, exec, s[10:11]
	buffer_load_dword v100, off, s[0:3], 0 offset:352
	buffer_load_dword v101, off, s[0:3], 0 offset:356
	v_cmp_lt_u32_e64 s[6:7], 44, v0
	s_waitcnt vmcnt(0)
	ds_write_b64 v102, v[100:101]
	s_waitcnt lgkmcnt(0)
	; wave barrier
	s_waitcnt lgkmcnt(0)
	s_and_saveexec_b64 s[10:11], s[6:7]
	s_cbranch_execz .LBB112_36
; %bb.27:
	s_andn2_b64 vcc, exec, s[8:9]
	s_cbranch_vccnz .LBB112_29
; %bb.28:
	buffer_load_dword v100, v103, s[0:3], 0 offen
	buffer_load_dword v101, v103, s[0:3], 0 offen offset:4
	ds_read_b64 v[150:151], v102
	s_waitcnt vmcnt(0) lgkmcnt(0)
	v_mul_f64 v[100:101], v[100:101], v[150:151]
	s_cbranch_execz .LBB112_30
	s_branch .LBB112_31
.LBB112_29:
                                        ; implicit-def: $vgpr100_vgpr101
.LBB112_30:
	ds_read_b64 v[100:101], v102
.LBB112_31:
	s_and_saveexec_b64 s[12:13], s[4:5]
	s_cbranch_execz .LBB112_35
; %bb.32:
	v_subrev_u32_e32 v149, 45, v0
	s_movk_i32 s14, 0x2f8
	s_mov_b64 s[4:5], 0
.LBB112_33:                             ; =>This Inner Loop Header: Depth=1
	buffer_load_dword v150, v148, s[0:3], 0 offen
	buffer_load_dword v151, v148, s[0:3], 0 offen offset:4
	v_mov_b32_e32 v152, s14
	ds_read_b64 v[152:153], v152
	v_add_u32_e32 v149, -1, v149
	s_add_i32 s14, s14, 8
	v_cmp_eq_u32_e32 vcc, 0, v149
	v_add_u32_e32 v148, 8, v148
	s_or_b64 s[4:5], vcc, s[4:5]
	s_waitcnt vmcnt(0) lgkmcnt(0)
	v_fmac_f64_e32 v[100:101], v[150:151], v[152:153]
	s_andn2_b64 exec, exec, s[4:5]
	s_cbranch_execnz .LBB112_33
; %bb.34:
	s_or_b64 exec, exec, s[4:5]
.LBB112_35:
	s_or_b64 exec, exec, s[12:13]
	v_mov_b32_e32 v148, 0
	ds_read_b64 v[148:149], v148 offset:352
	s_waitcnt lgkmcnt(0)
	v_mul_f64 v[100:101], v[100:101], v[148:149]
	buffer_store_dword v101, off, s[0:3], 0 offset:356
	buffer_store_dword v100, off, s[0:3], 0 offset:352
.LBB112_36:
	;; [unrolled: 58-line block ×8, first 2 shown]
	s_or_b64 exec, exec, s[10:11]
	buffer_load_dword v100, off, s[0:3], 0 offset:296
	buffer_load_dword v101, off, s[0:3], 0 offset:300
	v_cmp_lt_u32_e64 s[4:5], 37, v0
	s_waitcnt vmcnt(0)
	ds_write_b64 v102, v[100:101]
	s_waitcnt lgkmcnt(0)
	; wave barrier
	s_waitcnt lgkmcnt(0)
	s_and_saveexec_b64 s[10:11], s[4:5]
	s_cbranch_execz .LBB112_106
; %bb.97:
	s_andn2_b64 vcc, exec, s[8:9]
	s_cbranch_vccnz .LBB112_99
; %bb.98:
	buffer_load_dword v100, v103, s[0:3], 0 offen
	buffer_load_dword v101, v103, s[0:3], 0 offen offset:4
	ds_read_b64 v[142:143], v102
	s_waitcnt vmcnt(0) lgkmcnt(0)
	v_mul_f64 v[100:101], v[100:101], v[142:143]
	s_cbranch_execz .LBB112_100
	s_branch .LBB112_101
.LBB112_99:
                                        ; implicit-def: $vgpr100_vgpr101
.LBB112_100:
	ds_read_b64 v[100:101], v102
.LBB112_101:
	s_and_saveexec_b64 s[12:13], s[6:7]
	s_cbranch_execz .LBB112_105
; %bb.102:
	v_subrev_u32_e32 v142, 38, v0
	s_movk_i32 s14, 0x2c0
	s_mov_b64 s[6:7], 0
.LBB112_103:                            ; =>This Inner Loop Header: Depth=1
	buffer_load_dword v144, v141, s[0:3], 0 offen
	buffer_load_dword v145, v141, s[0:3], 0 offen offset:4
	v_mov_b32_e32 v143, s14
	ds_read_b64 v[146:147], v143
	v_add_u32_e32 v142, -1, v142
	s_add_i32 s14, s14, 8
	v_cmp_eq_u32_e32 vcc, 0, v142
	v_add_u32_e32 v141, 8, v141
	s_or_b64 s[6:7], vcc, s[6:7]
	s_waitcnt vmcnt(0) lgkmcnt(0)
	v_fmac_f64_e32 v[100:101], v[144:145], v[146:147]
	s_andn2_b64 exec, exec, s[6:7]
	s_cbranch_execnz .LBB112_103
; %bb.104:
	s_or_b64 exec, exec, s[6:7]
.LBB112_105:
	s_or_b64 exec, exec, s[12:13]
	v_mov_b32_e32 v141, 0
	ds_read_b64 v[142:143], v141 offset:296
	s_waitcnt lgkmcnt(0)
	v_mul_f64 v[100:101], v[100:101], v[142:143]
	buffer_store_dword v101, off, s[0:3], 0 offset:300
	buffer_store_dword v100, off, s[0:3], 0 offset:296
.LBB112_106:
	s_or_b64 exec, exec, s[10:11]
	buffer_load_dword v100, off, s[0:3], 0 offset:288
	buffer_load_dword v101, off, s[0:3], 0 offset:292
	v_cmp_lt_u32_e64 s[6:7], 36, v0
	s_waitcnt vmcnt(0)
	ds_write_b64 v102, v[100:101]
	s_waitcnt lgkmcnt(0)
	; wave barrier
	s_waitcnt lgkmcnt(0)
	s_and_saveexec_b64 s[10:11], s[6:7]
	s_cbranch_execz .LBB112_116
; %bb.107:
	s_andn2_b64 vcc, exec, s[8:9]
	s_cbranch_vccnz .LBB112_109
; %bb.108:
	buffer_load_dword v100, v103, s[0:3], 0 offen
	buffer_load_dword v101, v103, s[0:3], 0 offen offset:4
	ds_read_b64 v[142:143], v102
	s_waitcnt vmcnt(0) lgkmcnt(0)
	v_mul_f64 v[100:101], v[100:101], v[142:143]
	s_cbranch_execz .LBB112_110
	s_branch .LBB112_111
.LBB112_109:
                                        ; implicit-def: $vgpr100_vgpr101
.LBB112_110:
	ds_read_b64 v[100:101], v102
.LBB112_111:
	s_and_saveexec_b64 s[12:13], s[4:5]
	s_cbranch_execz .LBB112_115
; %bb.112:
	v_subrev_u32_e32 v141, 37, v0
	s_movk_i32 s14, 0x2b8
	s_mov_b64 s[4:5], 0
.LBB112_113:                            ; =>This Inner Loop Header: Depth=1
	buffer_load_dword v142, v140, s[0:3], 0 offen
	buffer_load_dword v143, v140, s[0:3], 0 offen offset:4
	v_mov_b32_e32 v144, s14
	ds_read_b64 v[144:145], v144
	v_add_u32_e32 v141, -1, v141
	s_add_i32 s14, s14, 8
	v_cmp_eq_u32_e32 vcc, 0, v141
	v_add_u32_e32 v140, 8, v140
	s_or_b64 s[4:5], vcc, s[4:5]
	s_waitcnt vmcnt(0) lgkmcnt(0)
	v_fmac_f64_e32 v[100:101], v[142:143], v[144:145]
	s_andn2_b64 exec, exec, s[4:5]
	s_cbranch_execnz .LBB112_113
; %bb.114:
	s_or_b64 exec, exec, s[4:5]
.LBB112_115:
	s_or_b64 exec, exec, s[12:13]
	v_mov_b32_e32 v140, 0
	ds_read_b64 v[140:141], v140 offset:288
	s_waitcnt lgkmcnt(0)
	v_mul_f64 v[100:101], v[100:101], v[140:141]
	buffer_store_dword v101, off, s[0:3], 0 offset:292
	buffer_store_dword v100, off, s[0:3], 0 offset:288
.LBB112_116:
	s_or_b64 exec, exec, s[10:11]
	buffer_load_dword v100, off, s[0:3], 0 offset:280
	buffer_load_dword v101, off, s[0:3], 0 offset:284
	v_cmp_lt_u32_e64 s[4:5], 35, v0
	s_waitcnt vmcnt(0)
	ds_write_b64 v102, v[100:101]
	s_waitcnt lgkmcnt(0)
	; wave barrier
	s_waitcnt lgkmcnt(0)
	s_and_saveexec_b64 s[10:11], s[4:5]
	s_cbranch_execz .LBB112_126
; %bb.117:
	s_andn2_b64 vcc, exec, s[8:9]
	s_cbranch_vccnz .LBB112_119
; %bb.118:
	buffer_load_dword v100, v103, s[0:3], 0 offen
	buffer_load_dword v101, v103, s[0:3], 0 offen offset:4
	ds_read_b64 v[140:141], v102
	s_waitcnt vmcnt(0) lgkmcnt(0)
	v_mul_f64 v[100:101], v[100:101], v[140:141]
	s_cbranch_execz .LBB112_120
	s_branch .LBB112_121
.LBB112_119:
                                        ; implicit-def: $vgpr100_vgpr101
.LBB112_120:
	ds_read_b64 v[100:101], v102
.LBB112_121:
	s_and_saveexec_b64 s[12:13], s[6:7]
	s_cbranch_execz .LBB112_125
; %bb.122:
	v_subrev_u32_e32 v140, 36, v0
	s_movk_i32 s14, 0x2b0
	s_mov_b64 s[6:7], 0
.LBB112_123:                            ; =>This Inner Loop Header: Depth=1
	buffer_load_dword v142, v139, s[0:3], 0 offen
	buffer_load_dword v143, v139, s[0:3], 0 offen offset:4
	v_mov_b32_e32 v141, s14
	ds_read_b64 v[144:145], v141
	v_add_u32_e32 v140, -1, v140
	s_add_i32 s14, s14, 8
	v_cmp_eq_u32_e32 vcc, 0, v140
	v_add_u32_e32 v139, 8, v139
	s_or_b64 s[6:7], vcc, s[6:7]
	s_waitcnt vmcnt(0) lgkmcnt(0)
	v_fmac_f64_e32 v[100:101], v[142:143], v[144:145]
	s_andn2_b64 exec, exec, s[6:7]
	s_cbranch_execnz .LBB112_123
; %bb.124:
	s_or_b64 exec, exec, s[6:7]
.LBB112_125:
	s_or_b64 exec, exec, s[12:13]
	v_mov_b32_e32 v139, 0
	ds_read_b64 v[140:141], v139 offset:280
	s_waitcnt lgkmcnt(0)
	v_mul_f64 v[100:101], v[100:101], v[140:141]
	buffer_store_dword v101, off, s[0:3], 0 offset:284
	buffer_store_dword v100, off, s[0:3], 0 offset:280
.LBB112_126:
	s_or_b64 exec, exec, s[10:11]
	buffer_load_dword v100, off, s[0:3], 0 offset:272
	buffer_load_dword v101, off, s[0:3], 0 offset:276
	v_cmp_lt_u32_e64 s[6:7], 34, v0
	s_waitcnt vmcnt(0)
	ds_write_b64 v102, v[100:101]
	s_waitcnt lgkmcnt(0)
	; wave barrier
	s_waitcnt lgkmcnt(0)
	s_and_saveexec_b64 s[10:11], s[6:7]
	s_cbranch_execz .LBB112_136
; %bb.127:
	s_andn2_b64 vcc, exec, s[8:9]
	s_cbranch_vccnz .LBB112_129
; %bb.128:
	buffer_load_dword v100, v103, s[0:3], 0 offen
	buffer_load_dword v101, v103, s[0:3], 0 offen offset:4
	ds_read_b64 v[140:141], v102
	s_waitcnt vmcnt(0) lgkmcnt(0)
	v_mul_f64 v[100:101], v[100:101], v[140:141]
	s_cbranch_execz .LBB112_130
	s_branch .LBB112_131
.LBB112_129:
                                        ; implicit-def: $vgpr100_vgpr101
.LBB112_130:
	ds_read_b64 v[100:101], v102
.LBB112_131:
	s_and_saveexec_b64 s[12:13], s[4:5]
	s_cbranch_execz .LBB112_135
; %bb.132:
	v_subrev_u32_e32 v139, 35, v0
	s_movk_i32 s14, 0x2a8
	s_mov_b64 s[4:5], 0
.LBB112_133:                            ; =>This Inner Loop Header: Depth=1
	buffer_load_dword v140, v138, s[0:3], 0 offen
	buffer_load_dword v141, v138, s[0:3], 0 offen offset:4
	v_mov_b32_e32 v142, s14
	ds_read_b64 v[142:143], v142
	v_add_u32_e32 v139, -1, v139
	s_add_i32 s14, s14, 8
	v_cmp_eq_u32_e32 vcc, 0, v139
	v_add_u32_e32 v138, 8, v138
	s_or_b64 s[4:5], vcc, s[4:5]
	s_waitcnt vmcnt(0) lgkmcnt(0)
	v_fmac_f64_e32 v[100:101], v[140:141], v[142:143]
	s_andn2_b64 exec, exec, s[4:5]
	s_cbranch_execnz .LBB112_133
; %bb.134:
	s_or_b64 exec, exec, s[4:5]
.LBB112_135:
	s_or_b64 exec, exec, s[12:13]
	v_mov_b32_e32 v138, 0
	ds_read_b64 v[138:139], v138 offset:272
	s_waitcnt lgkmcnt(0)
	v_mul_f64 v[100:101], v[100:101], v[138:139]
	buffer_store_dword v101, off, s[0:3], 0 offset:276
	buffer_store_dword v100, off, s[0:3], 0 offset:272
.LBB112_136:
	s_or_b64 exec, exec, s[10:11]
	buffer_load_dword v100, off, s[0:3], 0 offset:264
	buffer_load_dword v101, off, s[0:3], 0 offset:268
	v_cmp_lt_u32_e64 s[4:5], 33, v0
	s_waitcnt vmcnt(0)
	ds_write_b64 v102, v[100:101]
	s_waitcnt lgkmcnt(0)
	; wave barrier
	s_waitcnt lgkmcnt(0)
	s_and_saveexec_b64 s[10:11], s[4:5]
	s_cbranch_execz .LBB112_146
; %bb.137:
	s_andn2_b64 vcc, exec, s[8:9]
	s_cbranch_vccnz .LBB112_139
; %bb.138:
	buffer_load_dword v100, v103, s[0:3], 0 offen
	buffer_load_dword v101, v103, s[0:3], 0 offen offset:4
	ds_read_b64 v[138:139], v102
	s_waitcnt vmcnt(0) lgkmcnt(0)
	v_mul_f64 v[100:101], v[100:101], v[138:139]
	s_cbranch_execz .LBB112_140
	s_branch .LBB112_141
.LBB112_139:
                                        ; implicit-def: $vgpr100_vgpr101
.LBB112_140:
	ds_read_b64 v[100:101], v102
.LBB112_141:
	s_and_saveexec_b64 s[12:13], s[6:7]
	s_cbranch_execz .LBB112_145
; %bb.142:
	v_subrev_u32_e32 v138, 34, v0
	s_movk_i32 s14, 0x2a0
	s_mov_b64 s[6:7], 0
.LBB112_143:                            ; =>This Inner Loop Header: Depth=1
	buffer_load_dword v140, v137, s[0:3], 0 offen
	buffer_load_dword v141, v137, s[0:3], 0 offen offset:4
	v_mov_b32_e32 v139, s14
	ds_read_b64 v[142:143], v139
	v_add_u32_e32 v138, -1, v138
	s_add_i32 s14, s14, 8
	v_cmp_eq_u32_e32 vcc, 0, v138
	v_add_u32_e32 v137, 8, v137
	s_or_b64 s[6:7], vcc, s[6:7]
	s_waitcnt vmcnt(0) lgkmcnt(0)
	v_fmac_f64_e32 v[100:101], v[140:141], v[142:143]
	s_andn2_b64 exec, exec, s[6:7]
	s_cbranch_execnz .LBB112_143
; %bb.144:
	s_or_b64 exec, exec, s[6:7]
.LBB112_145:
	s_or_b64 exec, exec, s[12:13]
	v_mov_b32_e32 v137, 0
	ds_read_b64 v[138:139], v137 offset:264
	s_waitcnt lgkmcnt(0)
	v_mul_f64 v[100:101], v[100:101], v[138:139]
	buffer_store_dword v101, off, s[0:3], 0 offset:268
	buffer_store_dword v100, off, s[0:3], 0 offset:264
.LBB112_146:
	s_or_b64 exec, exec, s[10:11]
	buffer_load_dword v100, off, s[0:3], 0 offset:256
	buffer_load_dword v101, off, s[0:3], 0 offset:260
	v_cmp_lt_u32_e64 s[6:7], 32, v0
	s_waitcnt vmcnt(0)
	ds_write_b64 v102, v[100:101]
	s_waitcnt lgkmcnt(0)
	; wave barrier
	s_waitcnt lgkmcnt(0)
	s_and_saveexec_b64 s[10:11], s[6:7]
	s_cbranch_execz .LBB112_156
; %bb.147:
	s_andn2_b64 vcc, exec, s[8:9]
	s_cbranch_vccnz .LBB112_149
; %bb.148:
	buffer_load_dword v100, v103, s[0:3], 0 offen
	buffer_load_dword v101, v103, s[0:3], 0 offen offset:4
	ds_read_b64 v[138:139], v102
	s_waitcnt vmcnt(0) lgkmcnt(0)
	v_mul_f64 v[100:101], v[100:101], v[138:139]
	s_cbranch_execz .LBB112_150
	s_branch .LBB112_151
.LBB112_149:
                                        ; implicit-def: $vgpr100_vgpr101
.LBB112_150:
	ds_read_b64 v[100:101], v102
.LBB112_151:
	s_and_saveexec_b64 s[12:13], s[4:5]
	s_cbranch_execz .LBB112_155
; %bb.152:
	v_subrev_u32_e32 v137, 33, v0
	s_movk_i32 s14, 0x298
	s_mov_b64 s[4:5], 0
.LBB112_153:                            ; =>This Inner Loop Header: Depth=1
	buffer_load_dword v138, v136, s[0:3], 0 offen
	buffer_load_dword v139, v136, s[0:3], 0 offen offset:4
	v_mov_b32_e32 v140, s14
	ds_read_b64 v[140:141], v140
	v_add_u32_e32 v137, -1, v137
	s_add_i32 s14, s14, 8
	v_cmp_eq_u32_e32 vcc, 0, v137
	v_add_u32_e32 v136, 8, v136
	s_or_b64 s[4:5], vcc, s[4:5]
	s_waitcnt vmcnt(0) lgkmcnt(0)
	v_fmac_f64_e32 v[100:101], v[138:139], v[140:141]
	s_andn2_b64 exec, exec, s[4:5]
	s_cbranch_execnz .LBB112_153
; %bb.154:
	s_or_b64 exec, exec, s[4:5]
.LBB112_155:
	s_or_b64 exec, exec, s[12:13]
	v_mov_b32_e32 v136, 0
	ds_read_b64 v[136:137], v136 offset:256
	s_waitcnt lgkmcnt(0)
	v_mul_f64 v[100:101], v[100:101], v[136:137]
	buffer_store_dword v101, off, s[0:3], 0 offset:260
	buffer_store_dword v100, off, s[0:3], 0 offset:256
.LBB112_156:
	s_or_b64 exec, exec, s[10:11]
	buffer_load_dword v100, off, s[0:3], 0 offset:248
	buffer_load_dword v101, off, s[0:3], 0 offset:252
	v_cmp_lt_u32_e64 s[4:5], 31, v0
	s_waitcnt vmcnt(0)
	ds_write_b64 v102, v[100:101]
	s_waitcnt lgkmcnt(0)
	; wave barrier
	s_waitcnt lgkmcnt(0)
	s_and_saveexec_b64 s[10:11], s[4:5]
	s_cbranch_execz .LBB112_166
; %bb.157:
	s_andn2_b64 vcc, exec, s[8:9]
	s_cbranch_vccnz .LBB112_159
; %bb.158:
	buffer_load_dword v100, v103, s[0:3], 0 offen
	buffer_load_dword v101, v103, s[0:3], 0 offen offset:4
	ds_read_b64 v[136:137], v102
	s_waitcnt vmcnt(0) lgkmcnt(0)
	v_mul_f64 v[100:101], v[100:101], v[136:137]
	s_cbranch_execz .LBB112_160
	s_branch .LBB112_161
.LBB112_159:
                                        ; implicit-def: $vgpr100_vgpr101
.LBB112_160:
	ds_read_b64 v[100:101], v102
.LBB112_161:
	s_and_saveexec_b64 s[12:13], s[6:7]
	s_cbranch_execz .LBB112_165
; %bb.162:
	v_subrev_u32_e32 v136, 32, v0
	s_movk_i32 s14, 0x290
	s_mov_b64 s[6:7], 0
.LBB112_163:                            ; =>This Inner Loop Header: Depth=1
	buffer_load_dword v138, v135, s[0:3], 0 offen
	buffer_load_dword v139, v135, s[0:3], 0 offen offset:4
	v_mov_b32_e32 v137, s14
	ds_read_b64 v[140:141], v137
	v_add_u32_e32 v136, -1, v136
	s_add_i32 s14, s14, 8
	v_cmp_eq_u32_e32 vcc, 0, v136
	v_add_u32_e32 v135, 8, v135
	s_or_b64 s[6:7], vcc, s[6:7]
	s_waitcnt vmcnt(0) lgkmcnt(0)
	v_fmac_f64_e32 v[100:101], v[138:139], v[140:141]
	s_andn2_b64 exec, exec, s[6:7]
	s_cbranch_execnz .LBB112_163
; %bb.164:
	s_or_b64 exec, exec, s[6:7]
.LBB112_165:
	s_or_b64 exec, exec, s[12:13]
	v_mov_b32_e32 v135, 0
	ds_read_b64 v[136:137], v135 offset:248
	s_waitcnt lgkmcnt(0)
	v_mul_f64 v[100:101], v[100:101], v[136:137]
	buffer_store_dword v101, off, s[0:3], 0 offset:252
	buffer_store_dword v100, off, s[0:3], 0 offset:248
.LBB112_166:
	s_or_b64 exec, exec, s[10:11]
	buffer_load_dword v100, off, s[0:3], 0 offset:240
	buffer_load_dword v101, off, s[0:3], 0 offset:244
	v_cmp_lt_u32_e64 s[6:7], 30, v0
	s_waitcnt vmcnt(0)
	ds_write_b64 v102, v[100:101]
	s_waitcnt lgkmcnt(0)
	; wave barrier
	s_waitcnt lgkmcnt(0)
	s_and_saveexec_b64 s[10:11], s[6:7]
	s_cbranch_execz .LBB112_176
; %bb.167:
	s_andn2_b64 vcc, exec, s[8:9]
	s_cbranch_vccnz .LBB112_169
; %bb.168:
	buffer_load_dword v100, v103, s[0:3], 0 offen
	buffer_load_dword v101, v103, s[0:3], 0 offen offset:4
	ds_read_b64 v[136:137], v102
	s_waitcnt vmcnt(0) lgkmcnt(0)
	v_mul_f64 v[100:101], v[100:101], v[136:137]
	s_cbranch_execz .LBB112_170
	s_branch .LBB112_171
.LBB112_169:
                                        ; implicit-def: $vgpr100_vgpr101
.LBB112_170:
	ds_read_b64 v[100:101], v102
.LBB112_171:
	s_and_saveexec_b64 s[12:13], s[4:5]
	s_cbranch_execz .LBB112_175
; %bb.172:
	v_subrev_u32_e32 v135, 31, v0
	s_movk_i32 s14, 0x288
	s_mov_b64 s[4:5], 0
.LBB112_173:                            ; =>This Inner Loop Header: Depth=1
	buffer_load_dword v136, v134, s[0:3], 0 offen
	buffer_load_dword v137, v134, s[0:3], 0 offen offset:4
	v_mov_b32_e32 v138, s14
	ds_read_b64 v[138:139], v138
	v_add_u32_e32 v135, -1, v135
	s_add_i32 s14, s14, 8
	v_cmp_eq_u32_e32 vcc, 0, v135
	v_add_u32_e32 v134, 8, v134
	s_or_b64 s[4:5], vcc, s[4:5]
	s_waitcnt vmcnt(0) lgkmcnt(0)
	v_fmac_f64_e32 v[100:101], v[136:137], v[138:139]
	s_andn2_b64 exec, exec, s[4:5]
	s_cbranch_execnz .LBB112_173
; %bb.174:
	s_or_b64 exec, exec, s[4:5]
.LBB112_175:
	s_or_b64 exec, exec, s[12:13]
	v_mov_b32_e32 v134, 0
	ds_read_b64 v[134:135], v134 offset:240
	s_waitcnt lgkmcnt(0)
	v_mul_f64 v[100:101], v[100:101], v[134:135]
	buffer_store_dword v101, off, s[0:3], 0 offset:244
	buffer_store_dword v100, off, s[0:3], 0 offset:240
.LBB112_176:
	s_or_b64 exec, exec, s[10:11]
	buffer_load_dword v100, off, s[0:3], 0 offset:232
	buffer_load_dword v101, off, s[0:3], 0 offset:236
	v_cmp_lt_u32_e64 s[4:5], 29, v0
	s_waitcnt vmcnt(0)
	ds_write_b64 v102, v[100:101]
	s_waitcnt lgkmcnt(0)
	; wave barrier
	s_waitcnt lgkmcnt(0)
	s_and_saveexec_b64 s[10:11], s[4:5]
	s_cbranch_execz .LBB112_186
; %bb.177:
	s_andn2_b64 vcc, exec, s[8:9]
	s_cbranch_vccnz .LBB112_179
; %bb.178:
	buffer_load_dword v100, v103, s[0:3], 0 offen
	buffer_load_dword v101, v103, s[0:3], 0 offen offset:4
	ds_read_b64 v[134:135], v102
	s_waitcnt vmcnt(0) lgkmcnt(0)
	v_mul_f64 v[100:101], v[100:101], v[134:135]
	s_cbranch_execz .LBB112_180
	s_branch .LBB112_181
.LBB112_179:
                                        ; implicit-def: $vgpr100_vgpr101
.LBB112_180:
	ds_read_b64 v[100:101], v102
.LBB112_181:
	s_and_saveexec_b64 s[12:13], s[6:7]
	s_cbranch_execz .LBB112_185
; %bb.182:
	v_subrev_u32_e32 v134, 30, v0
	s_movk_i32 s14, 0x280
	s_mov_b64 s[6:7], 0
.LBB112_183:                            ; =>This Inner Loop Header: Depth=1
	buffer_load_dword v136, v133, s[0:3], 0 offen
	buffer_load_dword v137, v133, s[0:3], 0 offen offset:4
	v_mov_b32_e32 v135, s14
	ds_read_b64 v[138:139], v135
	v_add_u32_e32 v134, -1, v134
	s_add_i32 s14, s14, 8
	v_cmp_eq_u32_e32 vcc, 0, v134
	v_add_u32_e32 v133, 8, v133
	s_or_b64 s[6:7], vcc, s[6:7]
	s_waitcnt vmcnt(0) lgkmcnt(0)
	v_fmac_f64_e32 v[100:101], v[136:137], v[138:139]
	s_andn2_b64 exec, exec, s[6:7]
	s_cbranch_execnz .LBB112_183
; %bb.184:
	s_or_b64 exec, exec, s[6:7]
.LBB112_185:
	s_or_b64 exec, exec, s[12:13]
	v_mov_b32_e32 v133, 0
	ds_read_b64 v[134:135], v133 offset:232
	s_waitcnt lgkmcnt(0)
	v_mul_f64 v[100:101], v[100:101], v[134:135]
	buffer_store_dword v101, off, s[0:3], 0 offset:236
	buffer_store_dword v100, off, s[0:3], 0 offset:232
.LBB112_186:
	s_or_b64 exec, exec, s[10:11]
	buffer_load_dword v100, off, s[0:3], 0 offset:224
	buffer_load_dword v101, off, s[0:3], 0 offset:228
	v_cmp_lt_u32_e64 s[6:7], 28, v0
	s_waitcnt vmcnt(0)
	ds_write_b64 v102, v[100:101]
	s_waitcnt lgkmcnt(0)
	; wave barrier
	s_waitcnt lgkmcnt(0)
	s_and_saveexec_b64 s[10:11], s[6:7]
	s_cbranch_execz .LBB112_196
; %bb.187:
	s_andn2_b64 vcc, exec, s[8:9]
	s_cbranch_vccnz .LBB112_189
; %bb.188:
	buffer_load_dword v100, v103, s[0:3], 0 offen
	buffer_load_dword v101, v103, s[0:3], 0 offen offset:4
	ds_read_b64 v[134:135], v102
	s_waitcnt vmcnt(0) lgkmcnt(0)
	v_mul_f64 v[100:101], v[100:101], v[134:135]
	s_cbranch_execz .LBB112_190
	s_branch .LBB112_191
.LBB112_189:
                                        ; implicit-def: $vgpr100_vgpr101
.LBB112_190:
	ds_read_b64 v[100:101], v102
.LBB112_191:
	s_and_saveexec_b64 s[12:13], s[4:5]
	s_cbranch_execz .LBB112_195
; %bb.192:
	v_subrev_u32_e32 v133, 29, v0
	s_movk_i32 s14, 0x278
	s_mov_b64 s[4:5], 0
.LBB112_193:                            ; =>This Inner Loop Header: Depth=1
	buffer_load_dword v134, v132, s[0:3], 0 offen
	buffer_load_dword v135, v132, s[0:3], 0 offen offset:4
	v_mov_b32_e32 v136, s14
	ds_read_b64 v[136:137], v136
	v_add_u32_e32 v133, -1, v133
	s_add_i32 s14, s14, 8
	v_cmp_eq_u32_e32 vcc, 0, v133
	v_add_u32_e32 v132, 8, v132
	s_or_b64 s[4:5], vcc, s[4:5]
	s_waitcnt vmcnt(0) lgkmcnt(0)
	v_fmac_f64_e32 v[100:101], v[134:135], v[136:137]
	s_andn2_b64 exec, exec, s[4:5]
	s_cbranch_execnz .LBB112_193
; %bb.194:
	s_or_b64 exec, exec, s[4:5]
.LBB112_195:
	s_or_b64 exec, exec, s[12:13]
	v_mov_b32_e32 v132, 0
	ds_read_b64 v[132:133], v132 offset:224
	s_waitcnt lgkmcnt(0)
	v_mul_f64 v[100:101], v[100:101], v[132:133]
	buffer_store_dword v101, off, s[0:3], 0 offset:228
	buffer_store_dword v100, off, s[0:3], 0 offset:224
.LBB112_196:
	s_or_b64 exec, exec, s[10:11]
	buffer_load_dword v100, off, s[0:3], 0 offset:216
	buffer_load_dword v101, off, s[0:3], 0 offset:220
	v_cmp_lt_u32_e64 s[4:5], 27, v0
	s_waitcnt vmcnt(0)
	ds_write_b64 v102, v[100:101]
	s_waitcnt lgkmcnt(0)
	; wave barrier
	s_waitcnt lgkmcnt(0)
	s_and_saveexec_b64 s[10:11], s[4:5]
	s_cbranch_execz .LBB112_206
; %bb.197:
	s_andn2_b64 vcc, exec, s[8:9]
	s_cbranch_vccnz .LBB112_199
; %bb.198:
	buffer_load_dword v100, v103, s[0:3], 0 offen
	buffer_load_dword v101, v103, s[0:3], 0 offen offset:4
	ds_read_b64 v[132:133], v102
	s_waitcnt vmcnt(0) lgkmcnt(0)
	v_mul_f64 v[100:101], v[100:101], v[132:133]
	s_cbranch_execz .LBB112_200
	s_branch .LBB112_201
.LBB112_199:
                                        ; implicit-def: $vgpr100_vgpr101
.LBB112_200:
	ds_read_b64 v[100:101], v102
.LBB112_201:
	s_and_saveexec_b64 s[12:13], s[6:7]
	s_cbranch_execz .LBB112_205
; %bb.202:
	v_subrev_u32_e32 v132, 28, v0
	s_movk_i32 s14, 0x270
	s_mov_b64 s[6:7], 0
.LBB112_203:                            ; =>This Inner Loop Header: Depth=1
	buffer_load_dword v134, v131, s[0:3], 0 offen
	buffer_load_dword v135, v131, s[0:3], 0 offen offset:4
	v_mov_b32_e32 v133, s14
	ds_read_b64 v[136:137], v133
	v_add_u32_e32 v132, -1, v132
	s_add_i32 s14, s14, 8
	v_cmp_eq_u32_e32 vcc, 0, v132
	v_add_u32_e32 v131, 8, v131
	s_or_b64 s[6:7], vcc, s[6:7]
	s_waitcnt vmcnt(0) lgkmcnt(0)
	v_fmac_f64_e32 v[100:101], v[134:135], v[136:137]
	s_andn2_b64 exec, exec, s[6:7]
	s_cbranch_execnz .LBB112_203
; %bb.204:
	s_or_b64 exec, exec, s[6:7]
.LBB112_205:
	s_or_b64 exec, exec, s[12:13]
	v_mov_b32_e32 v131, 0
	ds_read_b64 v[132:133], v131 offset:216
	s_waitcnt lgkmcnt(0)
	v_mul_f64 v[100:101], v[100:101], v[132:133]
	buffer_store_dword v101, off, s[0:3], 0 offset:220
	buffer_store_dword v100, off, s[0:3], 0 offset:216
.LBB112_206:
	s_or_b64 exec, exec, s[10:11]
	buffer_load_dword v100, off, s[0:3], 0 offset:208
	buffer_load_dword v101, off, s[0:3], 0 offset:212
	v_cmp_lt_u32_e64 s[6:7], 26, v0
	s_waitcnt vmcnt(0)
	ds_write_b64 v102, v[100:101]
	s_waitcnt lgkmcnt(0)
	; wave barrier
	s_waitcnt lgkmcnt(0)
	s_and_saveexec_b64 s[10:11], s[6:7]
	s_cbranch_execz .LBB112_216
; %bb.207:
	s_andn2_b64 vcc, exec, s[8:9]
	s_cbranch_vccnz .LBB112_209
; %bb.208:
	buffer_load_dword v100, v103, s[0:3], 0 offen
	buffer_load_dword v101, v103, s[0:3], 0 offen offset:4
	ds_read_b64 v[132:133], v102
	s_waitcnt vmcnt(0) lgkmcnt(0)
	v_mul_f64 v[100:101], v[100:101], v[132:133]
	s_cbranch_execz .LBB112_210
	s_branch .LBB112_211
.LBB112_209:
                                        ; implicit-def: $vgpr100_vgpr101
.LBB112_210:
	ds_read_b64 v[100:101], v102
.LBB112_211:
	s_and_saveexec_b64 s[12:13], s[4:5]
	s_cbranch_execz .LBB112_215
; %bb.212:
	v_subrev_u32_e32 v131, 27, v0
	s_movk_i32 s14, 0x268
	s_mov_b64 s[4:5], 0
.LBB112_213:                            ; =>This Inner Loop Header: Depth=1
	buffer_load_dword v132, v130, s[0:3], 0 offen
	buffer_load_dword v133, v130, s[0:3], 0 offen offset:4
	v_mov_b32_e32 v134, s14
	ds_read_b64 v[134:135], v134
	v_add_u32_e32 v131, -1, v131
	s_add_i32 s14, s14, 8
	v_cmp_eq_u32_e32 vcc, 0, v131
	v_add_u32_e32 v130, 8, v130
	s_or_b64 s[4:5], vcc, s[4:5]
	s_waitcnt vmcnt(0) lgkmcnt(0)
	v_fmac_f64_e32 v[100:101], v[132:133], v[134:135]
	s_andn2_b64 exec, exec, s[4:5]
	s_cbranch_execnz .LBB112_213
; %bb.214:
	s_or_b64 exec, exec, s[4:5]
.LBB112_215:
	s_or_b64 exec, exec, s[12:13]
	v_mov_b32_e32 v130, 0
	ds_read_b64 v[130:131], v130 offset:208
	s_waitcnt lgkmcnt(0)
	v_mul_f64 v[100:101], v[100:101], v[130:131]
	buffer_store_dword v101, off, s[0:3], 0 offset:212
	buffer_store_dword v100, off, s[0:3], 0 offset:208
.LBB112_216:
	s_or_b64 exec, exec, s[10:11]
	buffer_load_dword v100, off, s[0:3], 0 offset:200
	buffer_load_dword v101, off, s[0:3], 0 offset:204
	v_cmp_lt_u32_e64 s[4:5], 25, v0
	s_waitcnt vmcnt(0)
	ds_write_b64 v102, v[100:101]
	s_waitcnt lgkmcnt(0)
	; wave barrier
	s_waitcnt lgkmcnt(0)
	s_and_saveexec_b64 s[10:11], s[4:5]
	s_cbranch_execz .LBB112_226
; %bb.217:
	s_andn2_b64 vcc, exec, s[8:9]
	s_cbranch_vccnz .LBB112_219
; %bb.218:
	buffer_load_dword v100, v103, s[0:3], 0 offen
	buffer_load_dword v101, v103, s[0:3], 0 offen offset:4
	ds_read_b64 v[130:131], v102
	s_waitcnt vmcnt(0) lgkmcnt(0)
	v_mul_f64 v[100:101], v[100:101], v[130:131]
	s_cbranch_execz .LBB112_220
	s_branch .LBB112_221
.LBB112_219:
                                        ; implicit-def: $vgpr100_vgpr101
.LBB112_220:
	ds_read_b64 v[100:101], v102
.LBB112_221:
	s_and_saveexec_b64 s[12:13], s[6:7]
	s_cbranch_execz .LBB112_225
; %bb.222:
	v_subrev_u32_e32 v130, 26, v0
	s_movk_i32 s14, 0x260
	s_mov_b64 s[6:7], 0
.LBB112_223:                            ; =>This Inner Loop Header: Depth=1
	buffer_load_dword v132, v129, s[0:3], 0 offen
	buffer_load_dword v133, v129, s[0:3], 0 offen offset:4
	v_mov_b32_e32 v131, s14
	ds_read_b64 v[134:135], v131
	v_add_u32_e32 v130, -1, v130
	s_add_i32 s14, s14, 8
	v_cmp_eq_u32_e32 vcc, 0, v130
	v_add_u32_e32 v129, 8, v129
	s_or_b64 s[6:7], vcc, s[6:7]
	s_waitcnt vmcnt(0) lgkmcnt(0)
	v_fmac_f64_e32 v[100:101], v[132:133], v[134:135]
	s_andn2_b64 exec, exec, s[6:7]
	s_cbranch_execnz .LBB112_223
; %bb.224:
	s_or_b64 exec, exec, s[6:7]
.LBB112_225:
	s_or_b64 exec, exec, s[12:13]
	v_mov_b32_e32 v129, 0
	ds_read_b64 v[130:131], v129 offset:200
	s_waitcnt lgkmcnt(0)
	v_mul_f64 v[100:101], v[100:101], v[130:131]
	buffer_store_dword v101, off, s[0:3], 0 offset:204
	buffer_store_dword v100, off, s[0:3], 0 offset:200
.LBB112_226:
	s_or_b64 exec, exec, s[10:11]
	buffer_load_dword v100, off, s[0:3], 0 offset:192
	buffer_load_dword v101, off, s[0:3], 0 offset:196
	v_cmp_lt_u32_e64 s[6:7], 24, v0
	s_waitcnt vmcnt(0)
	ds_write_b64 v102, v[100:101]
	s_waitcnt lgkmcnt(0)
	; wave barrier
	s_waitcnt lgkmcnt(0)
	s_and_saveexec_b64 s[10:11], s[6:7]
	s_cbranch_execz .LBB112_236
; %bb.227:
	s_andn2_b64 vcc, exec, s[8:9]
	s_cbranch_vccnz .LBB112_229
; %bb.228:
	buffer_load_dword v100, v103, s[0:3], 0 offen
	buffer_load_dword v101, v103, s[0:3], 0 offen offset:4
	ds_read_b64 v[130:131], v102
	s_waitcnt vmcnt(0) lgkmcnt(0)
	v_mul_f64 v[100:101], v[100:101], v[130:131]
	s_cbranch_execz .LBB112_230
	s_branch .LBB112_231
.LBB112_229:
                                        ; implicit-def: $vgpr100_vgpr101
.LBB112_230:
	ds_read_b64 v[100:101], v102
.LBB112_231:
	s_and_saveexec_b64 s[12:13], s[4:5]
	s_cbranch_execz .LBB112_235
; %bb.232:
	v_subrev_u32_e32 v129, 25, v0
	s_movk_i32 s14, 0x258
	s_mov_b64 s[4:5], 0
.LBB112_233:                            ; =>This Inner Loop Header: Depth=1
	buffer_load_dword v130, v128, s[0:3], 0 offen
	buffer_load_dword v131, v128, s[0:3], 0 offen offset:4
	v_mov_b32_e32 v132, s14
	ds_read_b64 v[132:133], v132
	v_add_u32_e32 v129, -1, v129
	s_add_i32 s14, s14, 8
	v_cmp_eq_u32_e32 vcc, 0, v129
	v_add_u32_e32 v128, 8, v128
	s_or_b64 s[4:5], vcc, s[4:5]
	s_waitcnt vmcnt(0) lgkmcnt(0)
	v_fmac_f64_e32 v[100:101], v[130:131], v[132:133]
	s_andn2_b64 exec, exec, s[4:5]
	s_cbranch_execnz .LBB112_233
; %bb.234:
	s_or_b64 exec, exec, s[4:5]
.LBB112_235:
	s_or_b64 exec, exec, s[12:13]
	v_mov_b32_e32 v128, 0
	ds_read_b64 v[128:129], v128 offset:192
	s_waitcnt lgkmcnt(0)
	v_mul_f64 v[100:101], v[100:101], v[128:129]
	buffer_store_dword v101, off, s[0:3], 0 offset:196
	buffer_store_dword v100, off, s[0:3], 0 offset:192
.LBB112_236:
	s_or_b64 exec, exec, s[10:11]
	buffer_load_dword v100, off, s[0:3], 0 offset:184
	buffer_load_dword v101, off, s[0:3], 0 offset:188
	v_cmp_lt_u32_e64 s[4:5], 23, v0
	s_waitcnt vmcnt(0)
	ds_write_b64 v102, v[100:101]
	s_waitcnt lgkmcnt(0)
	; wave barrier
	s_waitcnt lgkmcnt(0)
	s_and_saveexec_b64 s[10:11], s[4:5]
	s_cbranch_execz .LBB112_246
; %bb.237:
	s_andn2_b64 vcc, exec, s[8:9]
	s_cbranch_vccnz .LBB112_239
; %bb.238:
	buffer_load_dword v100, v103, s[0:3], 0 offen
	buffer_load_dword v101, v103, s[0:3], 0 offen offset:4
	ds_read_b64 v[128:129], v102
	s_waitcnt vmcnt(0) lgkmcnt(0)
	v_mul_f64 v[100:101], v[100:101], v[128:129]
	s_cbranch_execz .LBB112_240
	s_branch .LBB112_241
.LBB112_239:
                                        ; implicit-def: $vgpr100_vgpr101
.LBB112_240:
	ds_read_b64 v[100:101], v102
.LBB112_241:
	s_and_saveexec_b64 s[12:13], s[6:7]
	s_cbranch_execz .LBB112_245
; %bb.242:
	v_subrev_u32_e32 v128, 24, v0
	s_movk_i32 s14, 0x250
	s_mov_b64 s[6:7], 0
.LBB112_243:                            ; =>This Inner Loop Header: Depth=1
	buffer_load_dword v130, v127, s[0:3], 0 offen
	buffer_load_dword v131, v127, s[0:3], 0 offen offset:4
	v_mov_b32_e32 v129, s14
	ds_read_b64 v[132:133], v129
	v_add_u32_e32 v128, -1, v128
	s_add_i32 s14, s14, 8
	v_cmp_eq_u32_e32 vcc, 0, v128
	v_add_u32_e32 v127, 8, v127
	s_or_b64 s[6:7], vcc, s[6:7]
	s_waitcnt vmcnt(0) lgkmcnt(0)
	v_fmac_f64_e32 v[100:101], v[130:131], v[132:133]
	s_andn2_b64 exec, exec, s[6:7]
	s_cbranch_execnz .LBB112_243
; %bb.244:
	s_or_b64 exec, exec, s[6:7]
.LBB112_245:
	s_or_b64 exec, exec, s[12:13]
	v_mov_b32_e32 v127, 0
	ds_read_b64 v[128:129], v127 offset:184
	s_waitcnt lgkmcnt(0)
	v_mul_f64 v[100:101], v[100:101], v[128:129]
	buffer_store_dword v101, off, s[0:3], 0 offset:188
	buffer_store_dword v100, off, s[0:3], 0 offset:184
.LBB112_246:
	s_or_b64 exec, exec, s[10:11]
	buffer_load_dword v100, off, s[0:3], 0 offset:176
	buffer_load_dword v101, off, s[0:3], 0 offset:180
	v_cmp_lt_u32_e64 s[6:7], 22, v0
	s_waitcnt vmcnt(0)
	ds_write_b64 v102, v[100:101]
	s_waitcnt lgkmcnt(0)
	; wave barrier
	s_waitcnt lgkmcnt(0)
	s_and_saveexec_b64 s[10:11], s[6:7]
	s_cbranch_execz .LBB112_256
; %bb.247:
	s_andn2_b64 vcc, exec, s[8:9]
	s_cbranch_vccnz .LBB112_249
; %bb.248:
	buffer_load_dword v100, v103, s[0:3], 0 offen
	buffer_load_dword v101, v103, s[0:3], 0 offen offset:4
	ds_read_b64 v[128:129], v102
	s_waitcnt vmcnt(0) lgkmcnt(0)
	v_mul_f64 v[100:101], v[100:101], v[128:129]
	s_cbranch_execz .LBB112_250
	s_branch .LBB112_251
.LBB112_249:
                                        ; implicit-def: $vgpr100_vgpr101
.LBB112_250:
	ds_read_b64 v[100:101], v102
.LBB112_251:
	s_and_saveexec_b64 s[12:13], s[4:5]
	s_cbranch_execz .LBB112_255
; %bb.252:
	v_subrev_u32_e32 v127, 23, v0
	s_movk_i32 s14, 0x248
	s_mov_b64 s[4:5], 0
.LBB112_253:                            ; =>This Inner Loop Header: Depth=1
	buffer_load_dword v128, v126, s[0:3], 0 offen
	buffer_load_dword v129, v126, s[0:3], 0 offen offset:4
	v_mov_b32_e32 v130, s14
	ds_read_b64 v[130:131], v130
	v_add_u32_e32 v127, -1, v127
	s_add_i32 s14, s14, 8
	v_cmp_eq_u32_e32 vcc, 0, v127
	v_add_u32_e32 v126, 8, v126
	s_or_b64 s[4:5], vcc, s[4:5]
	s_waitcnt vmcnt(0) lgkmcnt(0)
	v_fmac_f64_e32 v[100:101], v[128:129], v[130:131]
	s_andn2_b64 exec, exec, s[4:5]
	s_cbranch_execnz .LBB112_253
; %bb.254:
	s_or_b64 exec, exec, s[4:5]
.LBB112_255:
	s_or_b64 exec, exec, s[12:13]
	v_mov_b32_e32 v126, 0
	ds_read_b64 v[126:127], v126 offset:176
	s_waitcnt lgkmcnt(0)
	v_mul_f64 v[100:101], v[100:101], v[126:127]
	buffer_store_dword v101, off, s[0:3], 0 offset:180
	buffer_store_dword v100, off, s[0:3], 0 offset:176
.LBB112_256:
	s_or_b64 exec, exec, s[10:11]
	buffer_load_dword v100, off, s[0:3], 0 offset:168
	buffer_load_dword v101, off, s[0:3], 0 offset:172
	v_cmp_lt_u32_e64 s[4:5], 21, v0
	s_waitcnt vmcnt(0)
	ds_write_b64 v102, v[100:101]
	s_waitcnt lgkmcnt(0)
	; wave barrier
	s_waitcnt lgkmcnt(0)
	s_and_saveexec_b64 s[10:11], s[4:5]
	s_cbranch_execz .LBB112_266
; %bb.257:
	s_andn2_b64 vcc, exec, s[8:9]
	s_cbranch_vccnz .LBB112_259
; %bb.258:
	buffer_load_dword v100, v103, s[0:3], 0 offen
	buffer_load_dword v101, v103, s[0:3], 0 offen offset:4
	ds_read_b64 v[126:127], v102
	s_waitcnt vmcnt(0) lgkmcnt(0)
	v_mul_f64 v[100:101], v[100:101], v[126:127]
	s_cbranch_execz .LBB112_260
	s_branch .LBB112_261
.LBB112_259:
                                        ; implicit-def: $vgpr100_vgpr101
.LBB112_260:
	ds_read_b64 v[100:101], v102
.LBB112_261:
	s_and_saveexec_b64 s[12:13], s[6:7]
	s_cbranch_execz .LBB112_265
; %bb.262:
	v_subrev_u32_e32 v126, 22, v0
	s_movk_i32 s14, 0x240
	s_mov_b64 s[6:7], 0
.LBB112_263:                            ; =>This Inner Loop Header: Depth=1
	buffer_load_dword v128, v125, s[0:3], 0 offen
	buffer_load_dword v129, v125, s[0:3], 0 offen offset:4
	v_mov_b32_e32 v127, s14
	ds_read_b64 v[130:131], v127
	v_add_u32_e32 v126, -1, v126
	s_add_i32 s14, s14, 8
	v_cmp_eq_u32_e32 vcc, 0, v126
	v_add_u32_e32 v125, 8, v125
	s_or_b64 s[6:7], vcc, s[6:7]
	s_waitcnt vmcnt(0) lgkmcnt(0)
	v_fmac_f64_e32 v[100:101], v[128:129], v[130:131]
	s_andn2_b64 exec, exec, s[6:7]
	s_cbranch_execnz .LBB112_263
; %bb.264:
	s_or_b64 exec, exec, s[6:7]
.LBB112_265:
	s_or_b64 exec, exec, s[12:13]
	v_mov_b32_e32 v125, 0
	ds_read_b64 v[126:127], v125 offset:168
	s_waitcnt lgkmcnt(0)
	v_mul_f64 v[100:101], v[100:101], v[126:127]
	buffer_store_dword v101, off, s[0:3], 0 offset:172
	buffer_store_dword v100, off, s[0:3], 0 offset:168
.LBB112_266:
	s_or_b64 exec, exec, s[10:11]
	buffer_load_dword v100, off, s[0:3], 0 offset:160
	buffer_load_dword v101, off, s[0:3], 0 offset:164
	v_cmp_lt_u32_e64 s[6:7], 20, v0
	s_waitcnt vmcnt(0)
	ds_write_b64 v102, v[100:101]
	s_waitcnt lgkmcnt(0)
	; wave barrier
	s_waitcnt lgkmcnt(0)
	s_and_saveexec_b64 s[10:11], s[6:7]
	s_cbranch_execz .LBB112_276
; %bb.267:
	s_andn2_b64 vcc, exec, s[8:9]
	s_cbranch_vccnz .LBB112_269
; %bb.268:
	buffer_load_dword v100, v103, s[0:3], 0 offen
	buffer_load_dword v101, v103, s[0:3], 0 offen offset:4
	ds_read_b64 v[126:127], v102
	s_waitcnt vmcnt(0) lgkmcnt(0)
	v_mul_f64 v[100:101], v[100:101], v[126:127]
	s_cbranch_execz .LBB112_270
	s_branch .LBB112_271
.LBB112_269:
                                        ; implicit-def: $vgpr100_vgpr101
.LBB112_270:
	ds_read_b64 v[100:101], v102
.LBB112_271:
	s_and_saveexec_b64 s[12:13], s[4:5]
	s_cbranch_execz .LBB112_275
; %bb.272:
	v_subrev_u32_e32 v125, 21, v0
	s_movk_i32 s14, 0x238
	s_mov_b64 s[4:5], 0
.LBB112_273:                            ; =>This Inner Loop Header: Depth=1
	buffer_load_dword v126, v124, s[0:3], 0 offen
	buffer_load_dword v127, v124, s[0:3], 0 offen offset:4
	v_mov_b32_e32 v128, s14
	ds_read_b64 v[128:129], v128
	v_add_u32_e32 v125, -1, v125
	s_add_i32 s14, s14, 8
	v_cmp_eq_u32_e32 vcc, 0, v125
	v_add_u32_e32 v124, 8, v124
	s_or_b64 s[4:5], vcc, s[4:5]
	s_waitcnt vmcnt(0) lgkmcnt(0)
	v_fmac_f64_e32 v[100:101], v[126:127], v[128:129]
	s_andn2_b64 exec, exec, s[4:5]
	s_cbranch_execnz .LBB112_273
; %bb.274:
	s_or_b64 exec, exec, s[4:5]
.LBB112_275:
	s_or_b64 exec, exec, s[12:13]
	v_mov_b32_e32 v124, 0
	ds_read_b64 v[124:125], v124 offset:160
	s_waitcnt lgkmcnt(0)
	v_mul_f64 v[100:101], v[100:101], v[124:125]
	buffer_store_dword v101, off, s[0:3], 0 offset:164
	buffer_store_dword v100, off, s[0:3], 0 offset:160
.LBB112_276:
	s_or_b64 exec, exec, s[10:11]
	buffer_load_dword v100, off, s[0:3], 0 offset:152
	buffer_load_dword v101, off, s[0:3], 0 offset:156
	v_cmp_lt_u32_e64 s[4:5], 19, v0
	s_waitcnt vmcnt(0)
	ds_write_b64 v102, v[100:101]
	s_waitcnt lgkmcnt(0)
	; wave barrier
	s_waitcnt lgkmcnt(0)
	s_and_saveexec_b64 s[10:11], s[4:5]
	s_cbranch_execz .LBB112_286
; %bb.277:
	s_andn2_b64 vcc, exec, s[8:9]
	s_cbranch_vccnz .LBB112_279
; %bb.278:
	buffer_load_dword v100, v103, s[0:3], 0 offen
	buffer_load_dword v101, v103, s[0:3], 0 offen offset:4
	ds_read_b64 v[124:125], v102
	s_waitcnt vmcnt(0) lgkmcnt(0)
	v_mul_f64 v[100:101], v[100:101], v[124:125]
	s_cbranch_execz .LBB112_280
	s_branch .LBB112_281
.LBB112_279:
                                        ; implicit-def: $vgpr100_vgpr101
.LBB112_280:
	ds_read_b64 v[100:101], v102
.LBB112_281:
	s_and_saveexec_b64 s[12:13], s[6:7]
	s_cbranch_execz .LBB112_285
; %bb.282:
	v_subrev_u32_e32 v124, 20, v0
	s_movk_i32 s14, 0x230
	s_mov_b64 s[6:7], 0
.LBB112_283:                            ; =>This Inner Loop Header: Depth=1
	buffer_load_dword v126, v123, s[0:3], 0 offen
	buffer_load_dword v127, v123, s[0:3], 0 offen offset:4
	v_mov_b32_e32 v125, s14
	ds_read_b64 v[128:129], v125
	v_add_u32_e32 v124, -1, v124
	s_add_i32 s14, s14, 8
	v_cmp_eq_u32_e32 vcc, 0, v124
	v_add_u32_e32 v123, 8, v123
	s_or_b64 s[6:7], vcc, s[6:7]
	s_waitcnt vmcnt(0) lgkmcnt(0)
	v_fmac_f64_e32 v[100:101], v[126:127], v[128:129]
	s_andn2_b64 exec, exec, s[6:7]
	s_cbranch_execnz .LBB112_283
; %bb.284:
	s_or_b64 exec, exec, s[6:7]
.LBB112_285:
	s_or_b64 exec, exec, s[12:13]
	v_mov_b32_e32 v123, 0
	ds_read_b64 v[124:125], v123 offset:152
	s_waitcnt lgkmcnt(0)
	v_mul_f64 v[100:101], v[100:101], v[124:125]
	buffer_store_dword v101, off, s[0:3], 0 offset:156
	buffer_store_dword v100, off, s[0:3], 0 offset:152
.LBB112_286:
	s_or_b64 exec, exec, s[10:11]
	buffer_load_dword v100, off, s[0:3], 0 offset:144
	buffer_load_dword v101, off, s[0:3], 0 offset:148
	v_cmp_lt_u32_e64 s[6:7], 18, v0
	s_waitcnt vmcnt(0)
	ds_write_b64 v102, v[100:101]
	s_waitcnt lgkmcnt(0)
	; wave barrier
	s_waitcnt lgkmcnt(0)
	s_and_saveexec_b64 s[10:11], s[6:7]
	s_cbranch_execz .LBB112_296
; %bb.287:
	s_andn2_b64 vcc, exec, s[8:9]
	s_cbranch_vccnz .LBB112_289
; %bb.288:
	buffer_load_dword v100, v103, s[0:3], 0 offen
	buffer_load_dword v101, v103, s[0:3], 0 offen offset:4
	ds_read_b64 v[124:125], v102
	s_waitcnt vmcnt(0) lgkmcnt(0)
	v_mul_f64 v[100:101], v[100:101], v[124:125]
	s_cbranch_execz .LBB112_290
	s_branch .LBB112_291
.LBB112_289:
                                        ; implicit-def: $vgpr100_vgpr101
.LBB112_290:
	ds_read_b64 v[100:101], v102
.LBB112_291:
	s_and_saveexec_b64 s[12:13], s[4:5]
	s_cbranch_execz .LBB112_295
; %bb.292:
	v_subrev_u32_e32 v123, 19, v0
	s_movk_i32 s14, 0x228
	s_mov_b64 s[4:5], 0
.LBB112_293:                            ; =>This Inner Loop Header: Depth=1
	buffer_load_dword v124, v122, s[0:3], 0 offen
	buffer_load_dword v125, v122, s[0:3], 0 offen offset:4
	v_mov_b32_e32 v126, s14
	ds_read_b64 v[126:127], v126
	v_add_u32_e32 v123, -1, v123
	s_add_i32 s14, s14, 8
	v_cmp_eq_u32_e32 vcc, 0, v123
	v_add_u32_e32 v122, 8, v122
	s_or_b64 s[4:5], vcc, s[4:5]
	s_waitcnt vmcnt(0) lgkmcnt(0)
	v_fmac_f64_e32 v[100:101], v[124:125], v[126:127]
	s_andn2_b64 exec, exec, s[4:5]
	s_cbranch_execnz .LBB112_293
; %bb.294:
	s_or_b64 exec, exec, s[4:5]
.LBB112_295:
	s_or_b64 exec, exec, s[12:13]
	v_mov_b32_e32 v122, 0
	ds_read_b64 v[122:123], v122 offset:144
	s_waitcnt lgkmcnt(0)
	v_mul_f64 v[100:101], v[100:101], v[122:123]
	buffer_store_dword v101, off, s[0:3], 0 offset:148
	buffer_store_dword v100, off, s[0:3], 0 offset:144
.LBB112_296:
	s_or_b64 exec, exec, s[10:11]
	buffer_load_dword v100, off, s[0:3], 0 offset:136
	buffer_load_dword v101, off, s[0:3], 0 offset:140
	v_cmp_lt_u32_e64 s[4:5], 17, v0
	s_waitcnt vmcnt(0)
	ds_write_b64 v102, v[100:101]
	s_waitcnt lgkmcnt(0)
	; wave barrier
	s_waitcnt lgkmcnt(0)
	s_and_saveexec_b64 s[10:11], s[4:5]
	s_cbranch_execz .LBB112_306
; %bb.297:
	s_andn2_b64 vcc, exec, s[8:9]
	s_cbranch_vccnz .LBB112_299
; %bb.298:
	buffer_load_dword v100, v103, s[0:3], 0 offen
	buffer_load_dword v101, v103, s[0:3], 0 offen offset:4
	ds_read_b64 v[122:123], v102
	s_waitcnt vmcnt(0) lgkmcnt(0)
	v_mul_f64 v[100:101], v[100:101], v[122:123]
	s_cbranch_execz .LBB112_300
	s_branch .LBB112_301
.LBB112_299:
                                        ; implicit-def: $vgpr100_vgpr101
.LBB112_300:
	ds_read_b64 v[100:101], v102
.LBB112_301:
	s_and_saveexec_b64 s[12:13], s[6:7]
	s_cbranch_execz .LBB112_305
; %bb.302:
	v_subrev_u32_e32 v122, 18, v0
	s_movk_i32 s14, 0x220
	s_mov_b64 s[6:7], 0
.LBB112_303:                            ; =>This Inner Loop Header: Depth=1
	buffer_load_dword v124, v121, s[0:3], 0 offen
	buffer_load_dword v125, v121, s[0:3], 0 offen offset:4
	v_mov_b32_e32 v123, s14
	ds_read_b64 v[126:127], v123
	v_add_u32_e32 v122, -1, v122
	s_add_i32 s14, s14, 8
	v_cmp_eq_u32_e32 vcc, 0, v122
	v_add_u32_e32 v121, 8, v121
	s_or_b64 s[6:7], vcc, s[6:7]
	s_waitcnt vmcnt(0) lgkmcnt(0)
	v_fmac_f64_e32 v[100:101], v[124:125], v[126:127]
	s_andn2_b64 exec, exec, s[6:7]
	s_cbranch_execnz .LBB112_303
; %bb.304:
	s_or_b64 exec, exec, s[6:7]
.LBB112_305:
	s_or_b64 exec, exec, s[12:13]
	v_mov_b32_e32 v121, 0
	ds_read_b64 v[122:123], v121 offset:136
	s_waitcnt lgkmcnt(0)
	v_mul_f64 v[100:101], v[100:101], v[122:123]
	buffer_store_dword v101, off, s[0:3], 0 offset:140
	buffer_store_dword v100, off, s[0:3], 0 offset:136
.LBB112_306:
	s_or_b64 exec, exec, s[10:11]
	buffer_load_dword v100, off, s[0:3], 0 offset:128
	buffer_load_dword v101, off, s[0:3], 0 offset:132
	v_cmp_lt_u32_e64 s[6:7], 16, v0
	s_waitcnt vmcnt(0)
	ds_write_b64 v102, v[100:101]
	s_waitcnt lgkmcnt(0)
	; wave barrier
	s_waitcnt lgkmcnt(0)
	s_and_saveexec_b64 s[10:11], s[6:7]
	s_cbranch_execz .LBB112_316
; %bb.307:
	s_andn2_b64 vcc, exec, s[8:9]
	s_cbranch_vccnz .LBB112_309
; %bb.308:
	buffer_load_dword v100, v103, s[0:3], 0 offen
	buffer_load_dword v101, v103, s[0:3], 0 offen offset:4
	ds_read_b64 v[122:123], v102
	s_waitcnt vmcnt(0) lgkmcnt(0)
	v_mul_f64 v[100:101], v[100:101], v[122:123]
	s_cbranch_execz .LBB112_310
	s_branch .LBB112_311
.LBB112_309:
                                        ; implicit-def: $vgpr100_vgpr101
.LBB112_310:
	ds_read_b64 v[100:101], v102
.LBB112_311:
	s_and_saveexec_b64 s[12:13], s[4:5]
	s_cbranch_execz .LBB112_315
; %bb.312:
	v_subrev_u32_e32 v121, 17, v0
	s_movk_i32 s14, 0x218
	s_mov_b64 s[4:5], 0
.LBB112_313:                            ; =>This Inner Loop Header: Depth=1
	buffer_load_dword v122, v120, s[0:3], 0 offen
	buffer_load_dword v123, v120, s[0:3], 0 offen offset:4
	v_mov_b32_e32 v124, s14
	ds_read_b64 v[124:125], v124
	v_add_u32_e32 v121, -1, v121
	s_add_i32 s14, s14, 8
	v_cmp_eq_u32_e32 vcc, 0, v121
	v_add_u32_e32 v120, 8, v120
	s_or_b64 s[4:5], vcc, s[4:5]
	s_waitcnt vmcnt(0) lgkmcnt(0)
	v_fmac_f64_e32 v[100:101], v[122:123], v[124:125]
	s_andn2_b64 exec, exec, s[4:5]
	s_cbranch_execnz .LBB112_313
; %bb.314:
	s_or_b64 exec, exec, s[4:5]
.LBB112_315:
	s_or_b64 exec, exec, s[12:13]
	v_mov_b32_e32 v120, 0
	ds_read_b64 v[120:121], v120 offset:128
	s_waitcnt lgkmcnt(0)
	v_mul_f64 v[100:101], v[100:101], v[120:121]
	buffer_store_dword v101, off, s[0:3], 0 offset:132
	buffer_store_dword v100, off, s[0:3], 0 offset:128
.LBB112_316:
	s_or_b64 exec, exec, s[10:11]
	buffer_load_dword v100, off, s[0:3], 0 offset:120
	buffer_load_dword v101, off, s[0:3], 0 offset:124
	v_cmp_lt_u32_e64 s[4:5], 15, v0
	s_waitcnt vmcnt(0)
	ds_write_b64 v102, v[100:101]
	s_waitcnt lgkmcnt(0)
	; wave barrier
	s_waitcnt lgkmcnt(0)
	s_and_saveexec_b64 s[10:11], s[4:5]
	s_cbranch_execz .LBB112_326
; %bb.317:
	s_andn2_b64 vcc, exec, s[8:9]
	s_cbranch_vccnz .LBB112_319
; %bb.318:
	buffer_load_dword v100, v103, s[0:3], 0 offen
	buffer_load_dword v101, v103, s[0:3], 0 offen offset:4
	ds_read_b64 v[120:121], v102
	s_waitcnt vmcnt(0) lgkmcnt(0)
	v_mul_f64 v[100:101], v[100:101], v[120:121]
	s_cbranch_execz .LBB112_320
	s_branch .LBB112_321
.LBB112_319:
                                        ; implicit-def: $vgpr100_vgpr101
.LBB112_320:
	ds_read_b64 v[100:101], v102
.LBB112_321:
	s_and_saveexec_b64 s[12:13], s[6:7]
	s_cbranch_execz .LBB112_325
; %bb.322:
	v_add_u32_e32 v120, -16, v0
	s_movk_i32 s14, 0x210
	s_mov_b64 s[6:7], 0
.LBB112_323:                            ; =>This Inner Loop Header: Depth=1
	buffer_load_dword v122, v119, s[0:3], 0 offen
	buffer_load_dword v123, v119, s[0:3], 0 offen offset:4
	v_mov_b32_e32 v121, s14
	ds_read_b64 v[124:125], v121
	v_add_u32_e32 v120, -1, v120
	s_add_i32 s14, s14, 8
	v_cmp_eq_u32_e32 vcc, 0, v120
	v_add_u32_e32 v119, 8, v119
	s_or_b64 s[6:7], vcc, s[6:7]
	s_waitcnt vmcnt(0) lgkmcnt(0)
	v_fmac_f64_e32 v[100:101], v[122:123], v[124:125]
	s_andn2_b64 exec, exec, s[6:7]
	s_cbranch_execnz .LBB112_323
; %bb.324:
	s_or_b64 exec, exec, s[6:7]
.LBB112_325:
	s_or_b64 exec, exec, s[12:13]
	v_mov_b32_e32 v119, 0
	ds_read_b64 v[120:121], v119 offset:120
	s_waitcnt lgkmcnt(0)
	v_mul_f64 v[100:101], v[100:101], v[120:121]
	buffer_store_dword v101, off, s[0:3], 0 offset:124
	buffer_store_dword v100, off, s[0:3], 0 offset:120
.LBB112_326:
	s_or_b64 exec, exec, s[10:11]
	buffer_load_dword v100, off, s[0:3], 0 offset:112
	buffer_load_dword v101, off, s[0:3], 0 offset:116
	v_cmp_lt_u32_e64 s[6:7], 14, v0
	s_waitcnt vmcnt(0)
	ds_write_b64 v102, v[100:101]
	s_waitcnt lgkmcnt(0)
	; wave barrier
	s_waitcnt lgkmcnt(0)
	s_and_saveexec_b64 s[10:11], s[6:7]
	s_cbranch_execz .LBB112_336
; %bb.327:
	s_andn2_b64 vcc, exec, s[8:9]
	s_cbranch_vccnz .LBB112_329
; %bb.328:
	buffer_load_dword v100, v103, s[0:3], 0 offen
	buffer_load_dword v101, v103, s[0:3], 0 offen offset:4
	ds_read_b64 v[120:121], v102
	s_waitcnt vmcnt(0) lgkmcnt(0)
	v_mul_f64 v[100:101], v[100:101], v[120:121]
	s_cbranch_execz .LBB112_330
	s_branch .LBB112_331
.LBB112_329:
                                        ; implicit-def: $vgpr100_vgpr101
.LBB112_330:
	ds_read_b64 v[100:101], v102
.LBB112_331:
	s_and_saveexec_b64 s[12:13], s[4:5]
	s_cbranch_execz .LBB112_335
; %bb.332:
	v_add_u32_e32 v119, -15, v0
	s_movk_i32 s14, 0x208
	s_mov_b64 s[4:5], 0
.LBB112_333:                            ; =>This Inner Loop Header: Depth=1
	buffer_load_dword v120, v118, s[0:3], 0 offen
	buffer_load_dword v121, v118, s[0:3], 0 offen offset:4
	v_mov_b32_e32 v122, s14
	ds_read_b64 v[122:123], v122
	v_add_u32_e32 v119, -1, v119
	s_add_i32 s14, s14, 8
	v_cmp_eq_u32_e32 vcc, 0, v119
	v_add_u32_e32 v118, 8, v118
	s_or_b64 s[4:5], vcc, s[4:5]
	s_waitcnt vmcnt(0) lgkmcnt(0)
	v_fmac_f64_e32 v[100:101], v[120:121], v[122:123]
	s_andn2_b64 exec, exec, s[4:5]
	s_cbranch_execnz .LBB112_333
; %bb.334:
	s_or_b64 exec, exec, s[4:5]
.LBB112_335:
	s_or_b64 exec, exec, s[12:13]
	v_mov_b32_e32 v118, 0
	ds_read_b64 v[118:119], v118 offset:112
	s_waitcnt lgkmcnt(0)
	v_mul_f64 v[100:101], v[100:101], v[118:119]
	buffer_store_dword v101, off, s[0:3], 0 offset:116
	buffer_store_dword v100, off, s[0:3], 0 offset:112
.LBB112_336:
	;; [unrolled: 58-line block ×15, first 2 shown]
	s_or_b64 exec, exec, s[10:11]
	buffer_load_dword v100, off, s[0:3], 0
	buffer_load_dword v101, off, s[0:3], 0 offset:4
	v_cmp_ne_u32_e32 vcc, 0, v0
	s_waitcnt vmcnt(0)
	ds_write_b64 v102, v[100:101]
	s_waitcnt lgkmcnt(0)
	; wave barrier
	s_waitcnt lgkmcnt(0)
	s_and_saveexec_b64 s[6:7], vcc
	s_cbranch_execz .LBB112_476
; %bb.467:
	s_andn2_b64 vcc, exec, s[8:9]
	s_cbranch_vccnz .LBB112_469
; %bb.468:
	buffer_load_dword v100, v103, s[0:3], 0 offen
	buffer_load_dword v101, v103, s[0:3], 0 offen offset:4
	ds_read_b64 v[106:107], v102
	s_waitcnt vmcnt(0) lgkmcnt(0)
	v_mul_f64 v[100:101], v[100:101], v[106:107]
	s_cbranch_execz .LBB112_470
	s_branch .LBB112_471
.LBB112_469:
                                        ; implicit-def: $vgpr100_vgpr101
.LBB112_470:
	ds_read_b64 v[100:101], v102
.LBB112_471:
	s_and_saveexec_b64 s[10:11], s[4:5]
	s_cbranch_execz .LBB112_475
; %bb.472:
	v_add_u32_e32 v105, -1, v0
	s_movk_i32 s12, 0x198
	s_mov_b64 s[4:5], 0
.LBB112_473:                            ; =>This Inner Loop Header: Depth=1
	buffer_load_dword v106, v104, s[0:3], 0 offen
	buffer_load_dword v107, v104, s[0:3], 0 offen offset:4
	v_mov_b32_e32 v108, s12
	ds_read_b64 v[108:109], v108
	v_add_u32_e32 v105, -1, v105
	s_add_i32 s12, s12, 8
	v_cmp_eq_u32_e32 vcc, 0, v105
	v_add_u32_e32 v104, 8, v104
	s_or_b64 s[4:5], vcc, s[4:5]
	s_waitcnt vmcnt(0) lgkmcnt(0)
	v_fmac_f64_e32 v[100:101], v[106:107], v[108:109]
	s_andn2_b64 exec, exec, s[4:5]
	s_cbranch_execnz .LBB112_473
; %bb.474:
	s_or_b64 exec, exec, s[4:5]
.LBB112_475:
	s_or_b64 exec, exec, s[10:11]
	v_mov_b32_e32 v104, 0
	ds_read_b64 v[104:105], v104
	s_waitcnt lgkmcnt(0)
	v_mul_f64 v[100:101], v[100:101], v[104:105]
	buffer_store_dword v101, off, s[0:3], 0 offset:4
	buffer_store_dword v100, off, s[0:3], 0
.LBB112_476:
	s_or_b64 exec, exec, s[6:7]
	s_mov_b64 s[4:5], 0
.LBB112_477:
	s_and_b64 vcc, exec, s[4:5]
	s_cbranch_vccz .LBB112_951
; %bb.478:
	buffer_load_dword v100, off, s[0:3], 0 offset:8
	buffer_load_dword v101, off, s[0:3], 0 offset:12
	v_cmp_eq_u32_e64 s[6:7], 0, v0
	s_waitcnt vmcnt(0)
	ds_write_b64 v102, v[100:101]
	s_waitcnt lgkmcnt(0)
	; wave barrier
	s_waitcnt lgkmcnt(0)
	s_and_saveexec_b64 s[4:5], s[6:7]
	s_cbranch_execz .LBB112_484
; %bb.479:
	s_and_b64 vcc, exec, s[8:9]
	s_cbranch_vccz .LBB112_481
; %bb.480:
	buffer_load_dword v100, v103, s[0:3], 0 offen
	buffer_load_dword v101, v103, s[0:3], 0 offen offset:4
	ds_read_b64 v[104:105], v102
	s_waitcnt vmcnt(0) lgkmcnt(0)
	v_mul_f64 v[100:101], v[100:101], v[104:105]
	s_cbranch_execz .LBB112_482
	s_branch .LBB112_483
.LBB112_481:
                                        ; implicit-def: $vgpr100_vgpr101
.LBB112_482:
	ds_read_b64 v[100:101], v102
.LBB112_483:
	v_mov_b32_e32 v104, 0
	ds_read_b64 v[104:105], v104 offset:8
	s_waitcnt lgkmcnt(0)
	v_mul_f64 v[100:101], v[100:101], v[104:105]
	buffer_store_dword v101, off, s[0:3], 0 offset:12
	buffer_store_dword v100, off, s[0:3], 0 offset:8
.LBB112_484:
	s_or_b64 exec, exec, s[4:5]
	buffer_load_dword v100, off, s[0:3], 0 offset:16
	buffer_load_dword v101, off, s[0:3], 0 offset:20
	v_cndmask_b32_e64 v104, 0, 1, s[8:9]
	v_cmp_gt_u32_e32 vcc, 2, v0
	v_cmp_ne_u32_e64 s[4:5], 1, v104
	s_waitcnt vmcnt(0)
	ds_write_b64 v102, v[100:101]
	s_waitcnt lgkmcnt(0)
	; wave barrier
	s_waitcnt lgkmcnt(0)
	s_and_saveexec_b64 s[8:9], vcc
	s_cbranch_execz .LBB112_492
; %bb.485:
	s_and_b64 vcc, exec, s[4:5]
	s_cbranch_vccnz .LBB112_487
; %bb.486:
	buffer_load_dword v100, v103, s[0:3], 0 offen
	buffer_load_dword v101, v103, s[0:3], 0 offen offset:4
	ds_read_b64 v[104:105], v102
	s_waitcnt vmcnt(0) lgkmcnt(0)
	v_mul_f64 v[100:101], v[100:101], v[104:105]
	s_cbranch_execz .LBB112_488
	s_branch .LBB112_489
.LBB112_487:
                                        ; implicit-def: $vgpr100_vgpr101
.LBB112_488:
	ds_read_b64 v[100:101], v102
.LBB112_489:
	s_and_saveexec_b64 s[10:11], s[6:7]
	s_cbranch_execz .LBB112_491
; %bb.490:
	buffer_load_dword v104, v103, s[0:3], 0 offen offset:8
	buffer_load_dword v105, v103, s[0:3], 0 offen offset:12
	ds_read_b64 v[106:107], v102 offset:8
	s_waitcnt vmcnt(0) lgkmcnt(0)
	v_fmac_f64_e32 v[100:101], v[104:105], v[106:107]
.LBB112_491:
	s_or_b64 exec, exec, s[10:11]
	v_mov_b32_e32 v104, 0
	ds_read_b64 v[104:105], v104 offset:16
	s_waitcnt lgkmcnt(0)
	v_mul_f64 v[100:101], v[100:101], v[104:105]
	buffer_store_dword v101, off, s[0:3], 0 offset:20
	buffer_store_dword v100, off, s[0:3], 0 offset:16
.LBB112_492:
	s_or_b64 exec, exec, s[8:9]
	buffer_load_dword v100, off, s[0:3], 0 offset:24
	buffer_load_dword v101, off, s[0:3], 0 offset:28
	v_cmp_gt_u32_e32 vcc, 3, v0
	s_waitcnt vmcnt(0)
	ds_write_b64 v102, v[100:101]
	s_waitcnt lgkmcnt(0)
	; wave barrier
	s_waitcnt lgkmcnt(0)
	s_and_saveexec_b64 s[8:9], vcc
	s_cbranch_execz .LBB112_500
; %bb.493:
	s_and_b64 vcc, exec, s[4:5]
	s_cbranch_vccnz .LBB112_495
; %bb.494:
	buffer_load_dword v100, v103, s[0:3], 0 offen
	buffer_load_dword v101, v103, s[0:3], 0 offen offset:4
	ds_read_b64 v[104:105], v102
	s_waitcnt vmcnt(0) lgkmcnt(0)
	v_mul_f64 v[100:101], v[100:101], v[104:105]
	s_cbranch_execz .LBB112_496
	s_branch .LBB112_497
.LBB112_495:
                                        ; implicit-def: $vgpr100_vgpr101
.LBB112_496:
	ds_read_b64 v[100:101], v102
.LBB112_497:
	v_cmp_ne_u32_e32 vcc, 2, v0
	s_and_saveexec_b64 s[10:11], vcc
	s_cbranch_execz .LBB112_499
; %bb.498:
	buffer_load_dword v105, v103, s[0:3], 0 offen offset:12
	buffer_load_dword v106, off, s[0:3], 0 offset:16
	buffer_load_dword v104, v103, s[0:3], 0 offen offset:8
	buffer_load_dword v107, off, s[0:3], 0 offset:20
	v_mov_b32_e32 v110, 0
	ds_read_b64 v[108:109], v102 offset:8
	ds_read_b64 v[110:111], v110 offset:416
	s_waitcnt vmcnt(1) lgkmcnt(1)
	v_fmac_f64_e32 v[100:101], v[104:105], v[108:109]
	s_waitcnt vmcnt(0) lgkmcnt(0)
	v_fma_f64 v[104:105], v[106:107], v[110:111], v[100:101]
	v_cndmask_b32_e64 v101, v101, v105, s[6:7]
	v_cndmask_b32_e64 v100, v100, v104, s[6:7]
.LBB112_499:
	s_or_b64 exec, exec, s[10:11]
	v_mov_b32_e32 v104, 0
	ds_read_b64 v[104:105], v104 offset:24
	s_waitcnt lgkmcnt(0)
	v_mul_f64 v[100:101], v[100:101], v[104:105]
	buffer_store_dword v101, off, s[0:3], 0 offset:28
	buffer_store_dword v100, off, s[0:3], 0 offset:24
.LBB112_500:
	s_or_b64 exec, exec, s[8:9]
	buffer_load_dword v100, off, s[0:3], 0 offset:32
	buffer_load_dword v101, off, s[0:3], 0 offset:36
	v_cmp_gt_u32_e32 vcc, 4, v0
	s_waitcnt vmcnt(0)
	ds_write_b64 v102, v[100:101]
	s_waitcnt lgkmcnt(0)
	; wave barrier
	s_waitcnt lgkmcnt(0)
	s_and_saveexec_b64 s[6:7], vcc
	s_cbranch_execz .LBB112_510
; %bb.501:
	s_and_b64 vcc, exec, s[4:5]
	s_cbranch_vccnz .LBB112_503
; %bb.502:
	buffer_load_dword v100, v103, s[0:3], 0 offen
	buffer_load_dword v101, v103, s[0:3], 0 offen offset:4
	ds_read_b64 v[104:105], v102
	s_waitcnt vmcnt(0) lgkmcnt(0)
	v_mul_f64 v[100:101], v[100:101], v[104:105]
	s_cbranch_execz .LBB112_504
	s_branch .LBB112_505
.LBB112_503:
                                        ; implicit-def: $vgpr100_vgpr101
.LBB112_504:
	ds_read_b64 v[100:101], v102
.LBB112_505:
	v_cmp_ne_u32_e32 vcc, 3, v0
	s_and_saveexec_b64 s[8:9], vcc
	s_cbranch_execz .LBB112_509
; %bb.506:
	v_mov_b32_e32 v105, 0
	v_add_u32_e32 v104, 0x198, v1
	v_add3_u32 v105, v1, v105, 8
	s_mov_b64 s[10:11], 0
	v_mov_b32_e32 v106, v0
.LBB112_507:                            ; =>This Inner Loop Header: Depth=1
	buffer_load_dword v108, v105, s[0:3], 0 offen
	buffer_load_dword v109, v105, s[0:3], 0 offen offset:4
	ds_read_b64 v[110:111], v104
	v_add_u32_e32 v106, 1, v106
	v_cmp_lt_u32_e32 vcc, 2, v106
	v_add_u32_e32 v104, 8, v104
	v_add_u32_e32 v105, 8, v105
	s_or_b64 s[10:11], vcc, s[10:11]
	s_waitcnt vmcnt(0) lgkmcnt(0)
	v_fmac_f64_e32 v[100:101], v[108:109], v[110:111]
	s_andn2_b64 exec, exec, s[10:11]
	s_cbranch_execnz .LBB112_507
; %bb.508:
	s_or_b64 exec, exec, s[10:11]
.LBB112_509:
	s_or_b64 exec, exec, s[8:9]
	v_mov_b32_e32 v104, 0
	ds_read_b64 v[104:105], v104 offset:32
	s_waitcnt lgkmcnt(0)
	v_mul_f64 v[100:101], v[100:101], v[104:105]
	buffer_store_dword v101, off, s[0:3], 0 offset:36
	buffer_store_dword v100, off, s[0:3], 0 offset:32
.LBB112_510:
	s_or_b64 exec, exec, s[6:7]
	buffer_load_dword v100, off, s[0:3], 0 offset:40
	buffer_load_dword v101, off, s[0:3], 0 offset:44
	v_cmp_gt_u32_e32 vcc, 5, v0
	s_waitcnt vmcnt(0)
	ds_write_b64 v102, v[100:101]
	s_waitcnt lgkmcnt(0)
	; wave barrier
	s_waitcnt lgkmcnt(0)
	s_and_saveexec_b64 s[6:7], vcc
	s_cbranch_execz .LBB112_520
; %bb.511:
	s_and_b64 vcc, exec, s[4:5]
	s_cbranch_vccnz .LBB112_513
; %bb.512:
	buffer_load_dword v100, v103, s[0:3], 0 offen
	buffer_load_dword v101, v103, s[0:3], 0 offen offset:4
	ds_read_b64 v[104:105], v102
	s_waitcnt vmcnt(0) lgkmcnt(0)
	v_mul_f64 v[100:101], v[100:101], v[104:105]
	s_cbranch_execz .LBB112_514
	s_branch .LBB112_515
.LBB112_513:
                                        ; implicit-def: $vgpr100_vgpr101
.LBB112_514:
	ds_read_b64 v[100:101], v102
.LBB112_515:
	v_cmp_ne_u32_e32 vcc, 4, v0
	s_and_saveexec_b64 s[8:9], vcc
	s_cbranch_execz .LBB112_519
; %bb.516:
	v_mov_b32_e32 v105, 0
	v_add_u32_e32 v104, 0x198, v1
	v_add3_u32 v105, v1, v105, 8
	s_mov_b64 s[10:11], 0
	v_mov_b32_e32 v106, v0
.LBB112_517:                            ; =>This Inner Loop Header: Depth=1
	buffer_load_dword v108, v105, s[0:3], 0 offen
	buffer_load_dword v109, v105, s[0:3], 0 offen offset:4
	ds_read_b64 v[110:111], v104
	v_add_u32_e32 v106, 1, v106
	v_cmp_lt_u32_e32 vcc, 3, v106
	v_add_u32_e32 v104, 8, v104
	v_add_u32_e32 v105, 8, v105
	s_or_b64 s[10:11], vcc, s[10:11]
	s_waitcnt vmcnt(0) lgkmcnt(0)
	v_fmac_f64_e32 v[100:101], v[108:109], v[110:111]
	s_andn2_b64 exec, exec, s[10:11]
	s_cbranch_execnz .LBB112_517
; %bb.518:
	s_or_b64 exec, exec, s[10:11]
.LBB112_519:
	s_or_b64 exec, exec, s[8:9]
	v_mov_b32_e32 v104, 0
	ds_read_b64 v[104:105], v104 offset:40
	s_waitcnt lgkmcnt(0)
	v_mul_f64 v[100:101], v[100:101], v[104:105]
	buffer_store_dword v101, off, s[0:3], 0 offset:44
	buffer_store_dword v100, off, s[0:3], 0 offset:40
.LBB112_520:
	s_or_b64 exec, exec, s[6:7]
	buffer_load_dword v100, off, s[0:3], 0 offset:48
	buffer_load_dword v101, off, s[0:3], 0 offset:52
	v_cmp_gt_u32_e32 vcc, 6, v0
	s_waitcnt vmcnt(0)
	ds_write_b64 v102, v[100:101]
	s_waitcnt lgkmcnt(0)
	; wave barrier
	s_waitcnt lgkmcnt(0)
	s_and_saveexec_b64 s[6:7], vcc
	s_cbranch_execz .LBB112_530
; %bb.521:
	s_and_b64 vcc, exec, s[4:5]
	s_cbranch_vccnz .LBB112_523
; %bb.522:
	buffer_load_dword v100, v103, s[0:3], 0 offen
	buffer_load_dword v101, v103, s[0:3], 0 offen offset:4
	ds_read_b64 v[104:105], v102
	s_waitcnt vmcnt(0) lgkmcnt(0)
	v_mul_f64 v[100:101], v[100:101], v[104:105]
	s_cbranch_execz .LBB112_524
	s_branch .LBB112_525
.LBB112_523:
                                        ; implicit-def: $vgpr100_vgpr101
.LBB112_524:
	ds_read_b64 v[100:101], v102
.LBB112_525:
	v_cmp_ne_u32_e32 vcc, 5, v0
	s_and_saveexec_b64 s[8:9], vcc
	s_cbranch_execz .LBB112_529
; %bb.526:
	v_mov_b32_e32 v105, 0
	v_add_u32_e32 v104, 0x198, v1
	v_add3_u32 v105, v1, v105, 8
	s_mov_b64 s[10:11], 0
	v_mov_b32_e32 v106, v0
.LBB112_527:                            ; =>This Inner Loop Header: Depth=1
	buffer_load_dword v108, v105, s[0:3], 0 offen
	buffer_load_dword v109, v105, s[0:3], 0 offen offset:4
	ds_read_b64 v[110:111], v104
	v_add_u32_e32 v106, 1, v106
	v_cmp_lt_u32_e32 vcc, 4, v106
	v_add_u32_e32 v104, 8, v104
	v_add_u32_e32 v105, 8, v105
	s_or_b64 s[10:11], vcc, s[10:11]
	s_waitcnt vmcnt(0) lgkmcnt(0)
	v_fmac_f64_e32 v[100:101], v[108:109], v[110:111]
	s_andn2_b64 exec, exec, s[10:11]
	s_cbranch_execnz .LBB112_527
; %bb.528:
	s_or_b64 exec, exec, s[10:11]
.LBB112_529:
	s_or_b64 exec, exec, s[8:9]
	v_mov_b32_e32 v104, 0
	ds_read_b64 v[104:105], v104 offset:48
	s_waitcnt lgkmcnt(0)
	v_mul_f64 v[100:101], v[100:101], v[104:105]
	buffer_store_dword v101, off, s[0:3], 0 offset:52
	buffer_store_dword v100, off, s[0:3], 0 offset:48
.LBB112_530:
	s_or_b64 exec, exec, s[6:7]
	buffer_load_dword v100, off, s[0:3], 0 offset:56
	buffer_load_dword v101, off, s[0:3], 0 offset:60
	v_cmp_gt_u32_e32 vcc, 7, v0
	s_waitcnt vmcnt(0)
	ds_write_b64 v102, v[100:101]
	s_waitcnt lgkmcnt(0)
	; wave barrier
	s_waitcnt lgkmcnt(0)
	s_and_saveexec_b64 s[6:7], vcc
	s_cbranch_execz .LBB112_540
; %bb.531:
	s_and_b64 vcc, exec, s[4:5]
	s_cbranch_vccnz .LBB112_533
; %bb.532:
	buffer_load_dword v100, v103, s[0:3], 0 offen
	buffer_load_dword v101, v103, s[0:3], 0 offen offset:4
	ds_read_b64 v[104:105], v102
	s_waitcnt vmcnt(0) lgkmcnt(0)
	v_mul_f64 v[100:101], v[100:101], v[104:105]
	s_cbranch_execz .LBB112_534
	s_branch .LBB112_535
.LBB112_533:
                                        ; implicit-def: $vgpr100_vgpr101
.LBB112_534:
	ds_read_b64 v[100:101], v102
.LBB112_535:
	v_cmp_ne_u32_e32 vcc, 6, v0
	s_and_saveexec_b64 s[8:9], vcc
	s_cbranch_execz .LBB112_539
; %bb.536:
	v_mov_b32_e32 v105, 0
	v_add_u32_e32 v104, 0x198, v1
	v_add3_u32 v105, v1, v105, 8
	s_mov_b64 s[10:11], 0
	v_mov_b32_e32 v106, v0
.LBB112_537:                            ; =>This Inner Loop Header: Depth=1
	buffer_load_dword v108, v105, s[0:3], 0 offen
	buffer_load_dword v109, v105, s[0:3], 0 offen offset:4
	ds_read_b64 v[110:111], v104
	v_add_u32_e32 v106, 1, v106
	v_cmp_lt_u32_e32 vcc, 5, v106
	v_add_u32_e32 v104, 8, v104
	v_add_u32_e32 v105, 8, v105
	s_or_b64 s[10:11], vcc, s[10:11]
	s_waitcnt vmcnt(0) lgkmcnt(0)
	v_fmac_f64_e32 v[100:101], v[108:109], v[110:111]
	s_andn2_b64 exec, exec, s[10:11]
	s_cbranch_execnz .LBB112_537
; %bb.538:
	s_or_b64 exec, exec, s[10:11]
.LBB112_539:
	s_or_b64 exec, exec, s[8:9]
	v_mov_b32_e32 v104, 0
	ds_read_b64 v[104:105], v104 offset:56
	s_waitcnt lgkmcnt(0)
	v_mul_f64 v[100:101], v[100:101], v[104:105]
	buffer_store_dword v101, off, s[0:3], 0 offset:60
	buffer_store_dword v100, off, s[0:3], 0 offset:56
.LBB112_540:
	s_or_b64 exec, exec, s[6:7]
	buffer_load_dword v100, off, s[0:3], 0 offset:64
	buffer_load_dword v101, off, s[0:3], 0 offset:68
	v_cmp_gt_u32_e32 vcc, 8, v0
	s_waitcnt vmcnt(0)
	ds_write_b64 v102, v[100:101]
	s_waitcnt lgkmcnt(0)
	; wave barrier
	s_waitcnt lgkmcnt(0)
	s_and_saveexec_b64 s[6:7], vcc
	s_cbranch_execz .LBB112_550
; %bb.541:
	s_and_b64 vcc, exec, s[4:5]
	s_cbranch_vccnz .LBB112_543
; %bb.542:
	buffer_load_dword v100, v103, s[0:3], 0 offen
	buffer_load_dword v101, v103, s[0:3], 0 offen offset:4
	ds_read_b64 v[104:105], v102
	s_waitcnt vmcnt(0) lgkmcnt(0)
	v_mul_f64 v[100:101], v[100:101], v[104:105]
	s_cbranch_execz .LBB112_544
	s_branch .LBB112_545
.LBB112_543:
                                        ; implicit-def: $vgpr100_vgpr101
.LBB112_544:
	ds_read_b64 v[100:101], v102
.LBB112_545:
	v_cmp_ne_u32_e32 vcc, 7, v0
	s_and_saveexec_b64 s[8:9], vcc
	s_cbranch_execz .LBB112_549
; %bb.546:
	v_mov_b32_e32 v105, 0
	v_add_u32_e32 v104, 0x198, v1
	v_add3_u32 v105, v1, v105, 8
	s_mov_b64 s[10:11], 0
	v_mov_b32_e32 v106, v0
.LBB112_547:                            ; =>This Inner Loop Header: Depth=1
	buffer_load_dword v108, v105, s[0:3], 0 offen
	buffer_load_dword v109, v105, s[0:3], 0 offen offset:4
	ds_read_b64 v[110:111], v104
	v_add_u32_e32 v106, 1, v106
	v_cmp_lt_u32_e32 vcc, 6, v106
	v_add_u32_e32 v104, 8, v104
	v_add_u32_e32 v105, 8, v105
	s_or_b64 s[10:11], vcc, s[10:11]
	s_waitcnt vmcnt(0) lgkmcnt(0)
	v_fmac_f64_e32 v[100:101], v[108:109], v[110:111]
	s_andn2_b64 exec, exec, s[10:11]
	s_cbranch_execnz .LBB112_547
; %bb.548:
	s_or_b64 exec, exec, s[10:11]
.LBB112_549:
	s_or_b64 exec, exec, s[8:9]
	v_mov_b32_e32 v104, 0
	ds_read_b64 v[104:105], v104 offset:64
	s_waitcnt lgkmcnt(0)
	v_mul_f64 v[100:101], v[100:101], v[104:105]
	buffer_store_dword v101, off, s[0:3], 0 offset:68
	buffer_store_dword v100, off, s[0:3], 0 offset:64
.LBB112_550:
	s_or_b64 exec, exec, s[6:7]
	buffer_load_dword v100, off, s[0:3], 0 offset:72
	buffer_load_dword v101, off, s[0:3], 0 offset:76
	v_cmp_gt_u32_e32 vcc, 9, v0
	s_waitcnt vmcnt(0)
	ds_write_b64 v102, v[100:101]
	s_waitcnt lgkmcnt(0)
	; wave barrier
	s_waitcnt lgkmcnt(0)
	s_and_saveexec_b64 s[6:7], vcc
	s_cbranch_execz .LBB112_560
; %bb.551:
	s_and_b64 vcc, exec, s[4:5]
	s_cbranch_vccnz .LBB112_553
; %bb.552:
	buffer_load_dword v100, v103, s[0:3], 0 offen
	buffer_load_dword v101, v103, s[0:3], 0 offen offset:4
	ds_read_b64 v[104:105], v102
	s_waitcnt vmcnt(0) lgkmcnt(0)
	v_mul_f64 v[100:101], v[100:101], v[104:105]
	s_cbranch_execz .LBB112_554
	s_branch .LBB112_555
.LBB112_553:
                                        ; implicit-def: $vgpr100_vgpr101
.LBB112_554:
	ds_read_b64 v[100:101], v102
.LBB112_555:
	v_cmp_ne_u32_e32 vcc, 8, v0
	s_and_saveexec_b64 s[8:9], vcc
	s_cbranch_execz .LBB112_559
; %bb.556:
	v_mov_b32_e32 v105, 0
	v_add_u32_e32 v104, 0x198, v1
	v_add3_u32 v105, v1, v105, 8
	s_mov_b64 s[10:11], 0
	v_mov_b32_e32 v106, v0
.LBB112_557:                            ; =>This Inner Loop Header: Depth=1
	buffer_load_dword v108, v105, s[0:3], 0 offen
	buffer_load_dword v109, v105, s[0:3], 0 offen offset:4
	ds_read_b64 v[110:111], v104
	v_add_u32_e32 v106, 1, v106
	v_cmp_lt_u32_e32 vcc, 7, v106
	v_add_u32_e32 v104, 8, v104
	v_add_u32_e32 v105, 8, v105
	s_or_b64 s[10:11], vcc, s[10:11]
	s_waitcnt vmcnt(0) lgkmcnt(0)
	v_fmac_f64_e32 v[100:101], v[108:109], v[110:111]
	s_andn2_b64 exec, exec, s[10:11]
	s_cbranch_execnz .LBB112_557
; %bb.558:
	s_or_b64 exec, exec, s[10:11]
.LBB112_559:
	s_or_b64 exec, exec, s[8:9]
	v_mov_b32_e32 v104, 0
	ds_read_b64 v[104:105], v104 offset:72
	s_waitcnt lgkmcnt(0)
	v_mul_f64 v[100:101], v[100:101], v[104:105]
	buffer_store_dword v101, off, s[0:3], 0 offset:76
	buffer_store_dword v100, off, s[0:3], 0 offset:72
.LBB112_560:
	s_or_b64 exec, exec, s[6:7]
	buffer_load_dword v100, off, s[0:3], 0 offset:80
	buffer_load_dword v101, off, s[0:3], 0 offset:84
	v_cmp_gt_u32_e32 vcc, 10, v0
	s_waitcnt vmcnt(0)
	ds_write_b64 v102, v[100:101]
	s_waitcnt lgkmcnt(0)
	; wave barrier
	s_waitcnt lgkmcnt(0)
	s_and_saveexec_b64 s[6:7], vcc
	s_cbranch_execz .LBB112_570
; %bb.561:
	s_and_b64 vcc, exec, s[4:5]
	s_cbranch_vccnz .LBB112_563
; %bb.562:
	buffer_load_dword v100, v103, s[0:3], 0 offen
	buffer_load_dword v101, v103, s[0:3], 0 offen offset:4
	ds_read_b64 v[104:105], v102
	s_waitcnt vmcnt(0) lgkmcnt(0)
	v_mul_f64 v[100:101], v[100:101], v[104:105]
	s_cbranch_execz .LBB112_564
	s_branch .LBB112_565
.LBB112_563:
                                        ; implicit-def: $vgpr100_vgpr101
.LBB112_564:
	ds_read_b64 v[100:101], v102
.LBB112_565:
	v_cmp_ne_u32_e32 vcc, 9, v0
	s_and_saveexec_b64 s[8:9], vcc
	s_cbranch_execz .LBB112_569
; %bb.566:
	v_mov_b32_e32 v105, 0
	v_add_u32_e32 v104, 0x198, v1
	v_add3_u32 v105, v1, v105, 8
	s_mov_b64 s[10:11], 0
	v_mov_b32_e32 v106, v0
.LBB112_567:                            ; =>This Inner Loop Header: Depth=1
	buffer_load_dword v108, v105, s[0:3], 0 offen
	buffer_load_dword v109, v105, s[0:3], 0 offen offset:4
	ds_read_b64 v[110:111], v104
	v_add_u32_e32 v106, 1, v106
	v_cmp_lt_u32_e32 vcc, 8, v106
	v_add_u32_e32 v104, 8, v104
	v_add_u32_e32 v105, 8, v105
	s_or_b64 s[10:11], vcc, s[10:11]
	s_waitcnt vmcnt(0) lgkmcnt(0)
	v_fmac_f64_e32 v[100:101], v[108:109], v[110:111]
	s_andn2_b64 exec, exec, s[10:11]
	s_cbranch_execnz .LBB112_567
; %bb.568:
	s_or_b64 exec, exec, s[10:11]
.LBB112_569:
	s_or_b64 exec, exec, s[8:9]
	v_mov_b32_e32 v104, 0
	ds_read_b64 v[104:105], v104 offset:80
	s_waitcnt lgkmcnt(0)
	v_mul_f64 v[100:101], v[100:101], v[104:105]
	buffer_store_dword v101, off, s[0:3], 0 offset:84
	buffer_store_dword v100, off, s[0:3], 0 offset:80
.LBB112_570:
	s_or_b64 exec, exec, s[6:7]
	buffer_load_dword v100, off, s[0:3], 0 offset:88
	buffer_load_dword v101, off, s[0:3], 0 offset:92
	v_cmp_gt_u32_e32 vcc, 11, v0
	s_waitcnt vmcnt(0)
	ds_write_b64 v102, v[100:101]
	s_waitcnt lgkmcnt(0)
	; wave barrier
	s_waitcnt lgkmcnt(0)
	s_and_saveexec_b64 s[6:7], vcc
	s_cbranch_execz .LBB112_580
; %bb.571:
	s_and_b64 vcc, exec, s[4:5]
	s_cbranch_vccnz .LBB112_573
; %bb.572:
	buffer_load_dword v100, v103, s[0:3], 0 offen
	buffer_load_dword v101, v103, s[0:3], 0 offen offset:4
	ds_read_b64 v[104:105], v102
	s_waitcnt vmcnt(0) lgkmcnt(0)
	v_mul_f64 v[100:101], v[100:101], v[104:105]
	s_cbranch_execz .LBB112_574
	s_branch .LBB112_575
.LBB112_573:
                                        ; implicit-def: $vgpr100_vgpr101
.LBB112_574:
	ds_read_b64 v[100:101], v102
.LBB112_575:
	v_cmp_ne_u32_e32 vcc, 10, v0
	s_and_saveexec_b64 s[8:9], vcc
	s_cbranch_execz .LBB112_579
; %bb.576:
	v_mov_b32_e32 v105, 0
	v_add_u32_e32 v104, 0x198, v1
	v_add3_u32 v105, v1, v105, 8
	s_mov_b64 s[10:11], 0
	v_mov_b32_e32 v106, v0
.LBB112_577:                            ; =>This Inner Loop Header: Depth=1
	buffer_load_dword v108, v105, s[0:3], 0 offen
	buffer_load_dword v109, v105, s[0:3], 0 offen offset:4
	ds_read_b64 v[110:111], v104
	v_add_u32_e32 v106, 1, v106
	v_cmp_lt_u32_e32 vcc, 9, v106
	v_add_u32_e32 v104, 8, v104
	v_add_u32_e32 v105, 8, v105
	s_or_b64 s[10:11], vcc, s[10:11]
	s_waitcnt vmcnt(0) lgkmcnt(0)
	v_fmac_f64_e32 v[100:101], v[108:109], v[110:111]
	s_andn2_b64 exec, exec, s[10:11]
	s_cbranch_execnz .LBB112_577
; %bb.578:
	s_or_b64 exec, exec, s[10:11]
.LBB112_579:
	s_or_b64 exec, exec, s[8:9]
	v_mov_b32_e32 v104, 0
	ds_read_b64 v[104:105], v104 offset:88
	s_waitcnt lgkmcnt(0)
	v_mul_f64 v[100:101], v[100:101], v[104:105]
	buffer_store_dword v101, off, s[0:3], 0 offset:92
	buffer_store_dword v100, off, s[0:3], 0 offset:88
.LBB112_580:
	s_or_b64 exec, exec, s[6:7]
	buffer_load_dword v100, off, s[0:3], 0 offset:96
	buffer_load_dword v101, off, s[0:3], 0 offset:100
	v_cmp_gt_u32_e32 vcc, 12, v0
	s_waitcnt vmcnt(0)
	ds_write_b64 v102, v[100:101]
	s_waitcnt lgkmcnt(0)
	; wave barrier
	s_waitcnt lgkmcnt(0)
	s_and_saveexec_b64 s[6:7], vcc
	s_cbranch_execz .LBB112_590
; %bb.581:
	s_and_b64 vcc, exec, s[4:5]
	s_cbranch_vccnz .LBB112_583
; %bb.582:
	buffer_load_dword v100, v103, s[0:3], 0 offen
	buffer_load_dword v101, v103, s[0:3], 0 offen offset:4
	ds_read_b64 v[104:105], v102
	s_waitcnt vmcnt(0) lgkmcnt(0)
	v_mul_f64 v[100:101], v[100:101], v[104:105]
	s_cbranch_execz .LBB112_584
	s_branch .LBB112_585
.LBB112_583:
                                        ; implicit-def: $vgpr100_vgpr101
.LBB112_584:
	ds_read_b64 v[100:101], v102
.LBB112_585:
	v_cmp_ne_u32_e32 vcc, 11, v0
	s_and_saveexec_b64 s[8:9], vcc
	s_cbranch_execz .LBB112_589
; %bb.586:
	v_mov_b32_e32 v105, 0
	v_add_u32_e32 v104, 0x198, v1
	v_add3_u32 v105, v1, v105, 8
	s_mov_b64 s[10:11], 0
	v_mov_b32_e32 v106, v0
.LBB112_587:                            ; =>This Inner Loop Header: Depth=1
	buffer_load_dword v108, v105, s[0:3], 0 offen
	buffer_load_dword v109, v105, s[0:3], 0 offen offset:4
	ds_read_b64 v[110:111], v104
	v_add_u32_e32 v106, 1, v106
	v_cmp_lt_u32_e32 vcc, 10, v106
	v_add_u32_e32 v104, 8, v104
	v_add_u32_e32 v105, 8, v105
	s_or_b64 s[10:11], vcc, s[10:11]
	s_waitcnt vmcnt(0) lgkmcnt(0)
	v_fmac_f64_e32 v[100:101], v[108:109], v[110:111]
	s_andn2_b64 exec, exec, s[10:11]
	s_cbranch_execnz .LBB112_587
; %bb.588:
	s_or_b64 exec, exec, s[10:11]
.LBB112_589:
	s_or_b64 exec, exec, s[8:9]
	v_mov_b32_e32 v104, 0
	ds_read_b64 v[104:105], v104 offset:96
	s_waitcnt lgkmcnt(0)
	v_mul_f64 v[100:101], v[100:101], v[104:105]
	buffer_store_dword v101, off, s[0:3], 0 offset:100
	buffer_store_dword v100, off, s[0:3], 0 offset:96
.LBB112_590:
	s_or_b64 exec, exec, s[6:7]
	buffer_load_dword v100, off, s[0:3], 0 offset:104
	buffer_load_dword v101, off, s[0:3], 0 offset:108
	v_cmp_gt_u32_e32 vcc, 13, v0
	s_waitcnt vmcnt(0)
	ds_write_b64 v102, v[100:101]
	s_waitcnt lgkmcnt(0)
	; wave barrier
	s_waitcnt lgkmcnt(0)
	s_and_saveexec_b64 s[6:7], vcc
	s_cbranch_execz .LBB112_600
; %bb.591:
	s_and_b64 vcc, exec, s[4:5]
	s_cbranch_vccnz .LBB112_593
; %bb.592:
	buffer_load_dword v100, v103, s[0:3], 0 offen
	buffer_load_dword v101, v103, s[0:3], 0 offen offset:4
	ds_read_b64 v[104:105], v102
	s_waitcnt vmcnt(0) lgkmcnt(0)
	v_mul_f64 v[100:101], v[100:101], v[104:105]
	s_cbranch_execz .LBB112_594
	s_branch .LBB112_595
.LBB112_593:
                                        ; implicit-def: $vgpr100_vgpr101
.LBB112_594:
	ds_read_b64 v[100:101], v102
.LBB112_595:
	v_cmp_ne_u32_e32 vcc, 12, v0
	s_and_saveexec_b64 s[8:9], vcc
	s_cbranch_execz .LBB112_599
; %bb.596:
	v_mov_b32_e32 v105, 0
	v_add_u32_e32 v104, 0x198, v1
	v_add3_u32 v105, v1, v105, 8
	s_mov_b64 s[10:11], 0
	v_mov_b32_e32 v106, v0
.LBB112_597:                            ; =>This Inner Loop Header: Depth=1
	buffer_load_dword v108, v105, s[0:3], 0 offen
	buffer_load_dword v109, v105, s[0:3], 0 offen offset:4
	ds_read_b64 v[110:111], v104
	v_add_u32_e32 v106, 1, v106
	v_cmp_lt_u32_e32 vcc, 11, v106
	v_add_u32_e32 v104, 8, v104
	v_add_u32_e32 v105, 8, v105
	s_or_b64 s[10:11], vcc, s[10:11]
	s_waitcnt vmcnt(0) lgkmcnt(0)
	v_fmac_f64_e32 v[100:101], v[108:109], v[110:111]
	s_andn2_b64 exec, exec, s[10:11]
	s_cbranch_execnz .LBB112_597
; %bb.598:
	s_or_b64 exec, exec, s[10:11]
.LBB112_599:
	s_or_b64 exec, exec, s[8:9]
	v_mov_b32_e32 v104, 0
	ds_read_b64 v[104:105], v104 offset:104
	s_waitcnt lgkmcnt(0)
	v_mul_f64 v[100:101], v[100:101], v[104:105]
	buffer_store_dword v101, off, s[0:3], 0 offset:108
	buffer_store_dword v100, off, s[0:3], 0 offset:104
.LBB112_600:
	s_or_b64 exec, exec, s[6:7]
	buffer_load_dword v100, off, s[0:3], 0 offset:112
	buffer_load_dword v101, off, s[0:3], 0 offset:116
	v_cmp_gt_u32_e32 vcc, 14, v0
	s_waitcnt vmcnt(0)
	ds_write_b64 v102, v[100:101]
	s_waitcnt lgkmcnt(0)
	; wave barrier
	s_waitcnt lgkmcnt(0)
	s_and_saveexec_b64 s[6:7], vcc
	s_cbranch_execz .LBB112_610
; %bb.601:
	s_and_b64 vcc, exec, s[4:5]
	s_cbranch_vccnz .LBB112_603
; %bb.602:
	buffer_load_dword v100, v103, s[0:3], 0 offen
	buffer_load_dword v101, v103, s[0:3], 0 offen offset:4
	ds_read_b64 v[104:105], v102
	s_waitcnt vmcnt(0) lgkmcnt(0)
	v_mul_f64 v[100:101], v[100:101], v[104:105]
	s_cbranch_execz .LBB112_604
	s_branch .LBB112_605
.LBB112_603:
                                        ; implicit-def: $vgpr100_vgpr101
.LBB112_604:
	ds_read_b64 v[100:101], v102
.LBB112_605:
	v_cmp_ne_u32_e32 vcc, 13, v0
	s_and_saveexec_b64 s[8:9], vcc
	s_cbranch_execz .LBB112_609
; %bb.606:
	v_mov_b32_e32 v105, 0
	v_add_u32_e32 v104, 0x198, v1
	v_add3_u32 v105, v1, v105, 8
	s_mov_b64 s[10:11], 0
	v_mov_b32_e32 v106, v0
.LBB112_607:                            ; =>This Inner Loop Header: Depth=1
	buffer_load_dword v108, v105, s[0:3], 0 offen
	buffer_load_dword v109, v105, s[0:3], 0 offen offset:4
	ds_read_b64 v[110:111], v104
	v_add_u32_e32 v106, 1, v106
	v_cmp_lt_u32_e32 vcc, 12, v106
	v_add_u32_e32 v104, 8, v104
	v_add_u32_e32 v105, 8, v105
	s_or_b64 s[10:11], vcc, s[10:11]
	s_waitcnt vmcnt(0) lgkmcnt(0)
	v_fmac_f64_e32 v[100:101], v[108:109], v[110:111]
	s_andn2_b64 exec, exec, s[10:11]
	s_cbranch_execnz .LBB112_607
; %bb.608:
	s_or_b64 exec, exec, s[10:11]
.LBB112_609:
	s_or_b64 exec, exec, s[8:9]
	v_mov_b32_e32 v104, 0
	ds_read_b64 v[104:105], v104 offset:112
	s_waitcnt lgkmcnt(0)
	v_mul_f64 v[100:101], v[100:101], v[104:105]
	buffer_store_dword v101, off, s[0:3], 0 offset:116
	buffer_store_dword v100, off, s[0:3], 0 offset:112
.LBB112_610:
	s_or_b64 exec, exec, s[6:7]
	buffer_load_dword v100, off, s[0:3], 0 offset:120
	buffer_load_dword v101, off, s[0:3], 0 offset:124
	v_cmp_gt_u32_e32 vcc, 15, v0
	s_waitcnt vmcnt(0)
	ds_write_b64 v102, v[100:101]
	s_waitcnt lgkmcnt(0)
	; wave barrier
	s_waitcnt lgkmcnt(0)
	s_and_saveexec_b64 s[6:7], vcc
	s_cbranch_execz .LBB112_620
; %bb.611:
	s_and_b64 vcc, exec, s[4:5]
	s_cbranch_vccnz .LBB112_613
; %bb.612:
	buffer_load_dword v100, v103, s[0:3], 0 offen
	buffer_load_dword v101, v103, s[0:3], 0 offen offset:4
	ds_read_b64 v[104:105], v102
	s_waitcnt vmcnt(0) lgkmcnt(0)
	v_mul_f64 v[100:101], v[100:101], v[104:105]
	s_cbranch_execz .LBB112_614
	s_branch .LBB112_615
.LBB112_613:
                                        ; implicit-def: $vgpr100_vgpr101
.LBB112_614:
	ds_read_b64 v[100:101], v102
.LBB112_615:
	v_cmp_ne_u32_e32 vcc, 14, v0
	s_and_saveexec_b64 s[8:9], vcc
	s_cbranch_execz .LBB112_619
; %bb.616:
	v_mov_b32_e32 v105, 0
	v_add_u32_e32 v104, 0x198, v1
	v_add3_u32 v105, v1, v105, 8
	s_mov_b64 s[10:11], 0
	v_mov_b32_e32 v106, v0
.LBB112_617:                            ; =>This Inner Loop Header: Depth=1
	buffer_load_dword v108, v105, s[0:3], 0 offen
	buffer_load_dword v109, v105, s[0:3], 0 offen offset:4
	ds_read_b64 v[110:111], v104
	v_add_u32_e32 v106, 1, v106
	v_cmp_lt_u32_e32 vcc, 13, v106
	v_add_u32_e32 v104, 8, v104
	v_add_u32_e32 v105, 8, v105
	s_or_b64 s[10:11], vcc, s[10:11]
	s_waitcnt vmcnt(0) lgkmcnt(0)
	v_fmac_f64_e32 v[100:101], v[108:109], v[110:111]
	s_andn2_b64 exec, exec, s[10:11]
	s_cbranch_execnz .LBB112_617
; %bb.618:
	s_or_b64 exec, exec, s[10:11]
.LBB112_619:
	s_or_b64 exec, exec, s[8:9]
	v_mov_b32_e32 v104, 0
	ds_read_b64 v[104:105], v104 offset:120
	s_waitcnt lgkmcnt(0)
	v_mul_f64 v[100:101], v[100:101], v[104:105]
	buffer_store_dword v101, off, s[0:3], 0 offset:124
	buffer_store_dword v100, off, s[0:3], 0 offset:120
.LBB112_620:
	s_or_b64 exec, exec, s[6:7]
	buffer_load_dword v100, off, s[0:3], 0 offset:128
	buffer_load_dword v101, off, s[0:3], 0 offset:132
	v_cmp_gt_u32_e32 vcc, 16, v0
	s_waitcnt vmcnt(0)
	ds_write_b64 v102, v[100:101]
	s_waitcnt lgkmcnt(0)
	; wave barrier
	s_waitcnt lgkmcnt(0)
	s_and_saveexec_b64 s[6:7], vcc
	s_cbranch_execz .LBB112_630
; %bb.621:
	s_and_b64 vcc, exec, s[4:5]
	s_cbranch_vccnz .LBB112_623
; %bb.622:
	buffer_load_dword v100, v103, s[0:3], 0 offen
	buffer_load_dword v101, v103, s[0:3], 0 offen offset:4
	ds_read_b64 v[104:105], v102
	s_waitcnt vmcnt(0) lgkmcnt(0)
	v_mul_f64 v[100:101], v[100:101], v[104:105]
	s_cbranch_execz .LBB112_624
	s_branch .LBB112_625
.LBB112_623:
                                        ; implicit-def: $vgpr100_vgpr101
.LBB112_624:
	ds_read_b64 v[100:101], v102
.LBB112_625:
	v_cmp_ne_u32_e32 vcc, 15, v0
	s_and_saveexec_b64 s[8:9], vcc
	s_cbranch_execz .LBB112_629
; %bb.626:
	v_mov_b32_e32 v105, 0
	v_add_u32_e32 v104, 0x198, v1
	v_add3_u32 v105, v1, v105, 8
	s_mov_b64 s[10:11], 0
	v_mov_b32_e32 v106, v0
.LBB112_627:                            ; =>This Inner Loop Header: Depth=1
	buffer_load_dword v108, v105, s[0:3], 0 offen
	buffer_load_dword v109, v105, s[0:3], 0 offen offset:4
	ds_read_b64 v[110:111], v104
	v_add_u32_e32 v106, 1, v106
	v_cmp_lt_u32_e32 vcc, 14, v106
	v_add_u32_e32 v104, 8, v104
	v_add_u32_e32 v105, 8, v105
	s_or_b64 s[10:11], vcc, s[10:11]
	s_waitcnt vmcnt(0) lgkmcnt(0)
	v_fmac_f64_e32 v[100:101], v[108:109], v[110:111]
	s_andn2_b64 exec, exec, s[10:11]
	s_cbranch_execnz .LBB112_627
; %bb.628:
	s_or_b64 exec, exec, s[10:11]
.LBB112_629:
	s_or_b64 exec, exec, s[8:9]
	v_mov_b32_e32 v104, 0
	ds_read_b64 v[104:105], v104 offset:128
	s_waitcnt lgkmcnt(0)
	v_mul_f64 v[100:101], v[100:101], v[104:105]
	buffer_store_dword v101, off, s[0:3], 0 offset:132
	buffer_store_dword v100, off, s[0:3], 0 offset:128
.LBB112_630:
	s_or_b64 exec, exec, s[6:7]
	buffer_load_dword v100, off, s[0:3], 0 offset:136
	buffer_load_dword v101, off, s[0:3], 0 offset:140
	v_cmp_gt_u32_e32 vcc, 17, v0
	s_waitcnt vmcnt(0)
	ds_write_b64 v102, v[100:101]
	s_waitcnt lgkmcnt(0)
	; wave barrier
	s_waitcnt lgkmcnt(0)
	s_and_saveexec_b64 s[6:7], vcc
	s_cbranch_execz .LBB112_640
; %bb.631:
	s_and_b64 vcc, exec, s[4:5]
	s_cbranch_vccnz .LBB112_633
; %bb.632:
	buffer_load_dword v100, v103, s[0:3], 0 offen
	buffer_load_dword v101, v103, s[0:3], 0 offen offset:4
	ds_read_b64 v[104:105], v102
	s_waitcnt vmcnt(0) lgkmcnt(0)
	v_mul_f64 v[100:101], v[100:101], v[104:105]
	s_cbranch_execz .LBB112_634
	s_branch .LBB112_635
.LBB112_633:
                                        ; implicit-def: $vgpr100_vgpr101
.LBB112_634:
	ds_read_b64 v[100:101], v102
.LBB112_635:
	v_cmp_ne_u32_e32 vcc, 16, v0
	s_and_saveexec_b64 s[8:9], vcc
	s_cbranch_execz .LBB112_639
; %bb.636:
	v_mov_b32_e32 v105, 0
	v_add_u32_e32 v104, 0x198, v1
	v_add3_u32 v105, v1, v105, 8
	s_mov_b64 s[10:11], 0
	v_mov_b32_e32 v106, v0
.LBB112_637:                            ; =>This Inner Loop Header: Depth=1
	buffer_load_dword v108, v105, s[0:3], 0 offen
	buffer_load_dword v109, v105, s[0:3], 0 offen offset:4
	ds_read_b64 v[110:111], v104
	v_add_u32_e32 v106, 1, v106
	v_cmp_lt_u32_e32 vcc, 15, v106
	v_add_u32_e32 v104, 8, v104
	v_add_u32_e32 v105, 8, v105
	s_or_b64 s[10:11], vcc, s[10:11]
	s_waitcnt vmcnt(0) lgkmcnt(0)
	v_fmac_f64_e32 v[100:101], v[108:109], v[110:111]
	s_andn2_b64 exec, exec, s[10:11]
	s_cbranch_execnz .LBB112_637
; %bb.638:
	s_or_b64 exec, exec, s[10:11]
.LBB112_639:
	s_or_b64 exec, exec, s[8:9]
	v_mov_b32_e32 v104, 0
	ds_read_b64 v[104:105], v104 offset:136
	s_waitcnt lgkmcnt(0)
	v_mul_f64 v[100:101], v[100:101], v[104:105]
	buffer_store_dword v101, off, s[0:3], 0 offset:140
	buffer_store_dword v100, off, s[0:3], 0 offset:136
.LBB112_640:
	s_or_b64 exec, exec, s[6:7]
	buffer_load_dword v100, off, s[0:3], 0 offset:144
	buffer_load_dword v101, off, s[0:3], 0 offset:148
	v_cmp_gt_u32_e32 vcc, 18, v0
	s_waitcnt vmcnt(0)
	ds_write_b64 v102, v[100:101]
	s_waitcnt lgkmcnt(0)
	; wave barrier
	s_waitcnt lgkmcnt(0)
	s_and_saveexec_b64 s[6:7], vcc
	s_cbranch_execz .LBB112_650
; %bb.641:
	s_and_b64 vcc, exec, s[4:5]
	s_cbranch_vccnz .LBB112_643
; %bb.642:
	buffer_load_dword v100, v103, s[0:3], 0 offen
	buffer_load_dword v101, v103, s[0:3], 0 offen offset:4
	ds_read_b64 v[104:105], v102
	s_waitcnt vmcnt(0) lgkmcnt(0)
	v_mul_f64 v[100:101], v[100:101], v[104:105]
	s_cbranch_execz .LBB112_644
	s_branch .LBB112_645
.LBB112_643:
                                        ; implicit-def: $vgpr100_vgpr101
.LBB112_644:
	ds_read_b64 v[100:101], v102
.LBB112_645:
	v_cmp_ne_u32_e32 vcc, 17, v0
	s_and_saveexec_b64 s[8:9], vcc
	s_cbranch_execz .LBB112_649
; %bb.646:
	v_mov_b32_e32 v105, 0
	v_add_u32_e32 v104, 0x198, v1
	v_add3_u32 v105, v1, v105, 8
	s_mov_b64 s[10:11], 0
	v_mov_b32_e32 v106, v0
.LBB112_647:                            ; =>This Inner Loop Header: Depth=1
	buffer_load_dword v108, v105, s[0:3], 0 offen
	buffer_load_dword v109, v105, s[0:3], 0 offen offset:4
	ds_read_b64 v[110:111], v104
	v_add_u32_e32 v106, 1, v106
	v_cmp_lt_u32_e32 vcc, 16, v106
	v_add_u32_e32 v104, 8, v104
	v_add_u32_e32 v105, 8, v105
	s_or_b64 s[10:11], vcc, s[10:11]
	s_waitcnt vmcnt(0) lgkmcnt(0)
	v_fmac_f64_e32 v[100:101], v[108:109], v[110:111]
	s_andn2_b64 exec, exec, s[10:11]
	s_cbranch_execnz .LBB112_647
; %bb.648:
	s_or_b64 exec, exec, s[10:11]
.LBB112_649:
	s_or_b64 exec, exec, s[8:9]
	v_mov_b32_e32 v104, 0
	ds_read_b64 v[104:105], v104 offset:144
	s_waitcnt lgkmcnt(0)
	v_mul_f64 v[100:101], v[100:101], v[104:105]
	buffer_store_dword v101, off, s[0:3], 0 offset:148
	buffer_store_dword v100, off, s[0:3], 0 offset:144
.LBB112_650:
	s_or_b64 exec, exec, s[6:7]
	buffer_load_dword v100, off, s[0:3], 0 offset:152
	buffer_load_dword v101, off, s[0:3], 0 offset:156
	v_cmp_gt_u32_e32 vcc, 19, v0
	s_waitcnt vmcnt(0)
	ds_write_b64 v102, v[100:101]
	s_waitcnt lgkmcnt(0)
	; wave barrier
	s_waitcnt lgkmcnt(0)
	s_and_saveexec_b64 s[6:7], vcc
	s_cbranch_execz .LBB112_660
; %bb.651:
	s_and_b64 vcc, exec, s[4:5]
	s_cbranch_vccnz .LBB112_653
; %bb.652:
	buffer_load_dword v100, v103, s[0:3], 0 offen
	buffer_load_dword v101, v103, s[0:3], 0 offen offset:4
	ds_read_b64 v[104:105], v102
	s_waitcnt vmcnt(0) lgkmcnt(0)
	v_mul_f64 v[100:101], v[100:101], v[104:105]
	s_cbranch_execz .LBB112_654
	s_branch .LBB112_655
.LBB112_653:
                                        ; implicit-def: $vgpr100_vgpr101
.LBB112_654:
	ds_read_b64 v[100:101], v102
.LBB112_655:
	v_cmp_ne_u32_e32 vcc, 18, v0
	s_and_saveexec_b64 s[8:9], vcc
	s_cbranch_execz .LBB112_659
; %bb.656:
	v_mov_b32_e32 v105, 0
	v_add_u32_e32 v104, 0x198, v1
	v_add3_u32 v105, v1, v105, 8
	s_mov_b64 s[10:11], 0
	v_mov_b32_e32 v106, v0
.LBB112_657:                            ; =>This Inner Loop Header: Depth=1
	buffer_load_dword v108, v105, s[0:3], 0 offen
	buffer_load_dword v109, v105, s[0:3], 0 offen offset:4
	ds_read_b64 v[110:111], v104
	v_add_u32_e32 v106, 1, v106
	v_cmp_lt_u32_e32 vcc, 17, v106
	v_add_u32_e32 v104, 8, v104
	v_add_u32_e32 v105, 8, v105
	s_or_b64 s[10:11], vcc, s[10:11]
	s_waitcnt vmcnt(0) lgkmcnt(0)
	v_fmac_f64_e32 v[100:101], v[108:109], v[110:111]
	s_andn2_b64 exec, exec, s[10:11]
	s_cbranch_execnz .LBB112_657
; %bb.658:
	s_or_b64 exec, exec, s[10:11]
.LBB112_659:
	s_or_b64 exec, exec, s[8:9]
	v_mov_b32_e32 v104, 0
	ds_read_b64 v[104:105], v104 offset:152
	s_waitcnt lgkmcnt(0)
	v_mul_f64 v[100:101], v[100:101], v[104:105]
	buffer_store_dword v101, off, s[0:3], 0 offset:156
	buffer_store_dword v100, off, s[0:3], 0 offset:152
.LBB112_660:
	s_or_b64 exec, exec, s[6:7]
	buffer_load_dword v100, off, s[0:3], 0 offset:160
	buffer_load_dword v101, off, s[0:3], 0 offset:164
	v_cmp_gt_u32_e32 vcc, 20, v0
	s_waitcnt vmcnt(0)
	ds_write_b64 v102, v[100:101]
	s_waitcnt lgkmcnt(0)
	; wave barrier
	s_waitcnt lgkmcnt(0)
	s_and_saveexec_b64 s[6:7], vcc
	s_cbranch_execz .LBB112_670
; %bb.661:
	s_and_b64 vcc, exec, s[4:5]
	s_cbranch_vccnz .LBB112_663
; %bb.662:
	buffer_load_dword v100, v103, s[0:3], 0 offen
	buffer_load_dword v101, v103, s[0:3], 0 offen offset:4
	ds_read_b64 v[104:105], v102
	s_waitcnt vmcnt(0) lgkmcnt(0)
	v_mul_f64 v[100:101], v[100:101], v[104:105]
	s_cbranch_execz .LBB112_664
	s_branch .LBB112_665
.LBB112_663:
                                        ; implicit-def: $vgpr100_vgpr101
.LBB112_664:
	ds_read_b64 v[100:101], v102
.LBB112_665:
	v_cmp_ne_u32_e32 vcc, 19, v0
	s_and_saveexec_b64 s[8:9], vcc
	s_cbranch_execz .LBB112_669
; %bb.666:
	v_mov_b32_e32 v105, 0
	v_add_u32_e32 v104, 0x198, v1
	v_add3_u32 v105, v1, v105, 8
	s_mov_b64 s[10:11], 0
	v_mov_b32_e32 v106, v0
.LBB112_667:                            ; =>This Inner Loop Header: Depth=1
	buffer_load_dword v108, v105, s[0:3], 0 offen
	buffer_load_dword v109, v105, s[0:3], 0 offen offset:4
	ds_read_b64 v[110:111], v104
	v_add_u32_e32 v106, 1, v106
	v_cmp_lt_u32_e32 vcc, 18, v106
	v_add_u32_e32 v104, 8, v104
	v_add_u32_e32 v105, 8, v105
	s_or_b64 s[10:11], vcc, s[10:11]
	s_waitcnt vmcnt(0) lgkmcnt(0)
	v_fmac_f64_e32 v[100:101], v[108:109], v[110:111]
	s_andn2_b64 exec, exec, s[10:11]
	s_cbranch_execnz .LBB112_667
; %bb.668:
	s_or_b64 exec, exec, s[10:11]
.LBB112_669:
	s_or_b64 exec, exec, s[8:9]
	v_mov_b32_e32 v104, 0
	ds_read_b64 v[104:105], v104 offset:160
	s_waitcnt lgkmcnt(0)
	v_mul_f64 v[100:101], v[100:101], v[104:105]
	buffer_store_dword v101, off, s[0:3], 0 offset:164
	buffer_store_dword v100, off, s[0:3], 0 offset:160
.LBB112_670:
	s_or_b64 exec, exec, s[6:7]
	buffer_load_dword v100, off, s[0:3], 0 offset:168
	buffer_load_dword v101, off, s[0:3], 0 offset:172
	v_cmp_gt_u32_e32 vcc, 21, v0
	s_waitcnt vmcnt(0)
	ds_write_b64 v102, v[100:101]
	s_waitcnt lgkmcnt(0)
	; wave barrier
	s_waitcnt lgkmcnt(0)
	s_and_saveexec_b64 s[6:7], vcc
	s_cbranch_execz .LBB112_680
; %bb.671:
	s_and_b64 vcc, exec, s[4:5]
	s_cbranch_vccnz .LBB112_673
; %bb.672:
	buffer_load_dword v100, v103, s[0:3], 0 offen
	buffer_load_dword v101, v103, s[0:3], 0 offen offset:4
	ds_read_b64 v[104:105], v102
	s_waitcnt vmcnt(0) lgkmcnt(0)
	v_mul_f64 v[100:101], v[100:101], v[104:105]
	s_cbranch_execz .LBB112_674
	s_branch .LBB112_675
.LBB112_673:
                                        ; implicit-def: $vgpr100_vgpr101
.LBB112_674:
	ds_read_b64 v[100:101], v102
.LBB112_675:
	v_cmp_ne_u32_e32 vcc, 20, v0
	s_and_saveexec_b64 s[8:9], vcc
	s_cbranch_execz .LBB112_679
; %bb.676:
	v_mov_b32_e32 v105, 0
	v_add_u32_e32 v104, 0x198, v1
	v_add3_u32 v105, v1, v105, 8
	s_mov_b64 s[10:11], 0
	v_mov_b32_e32 v106, v0
.LBB112_677:                            ; =>This Inner Loop Header: Depth=1
	buffer_load_dword v108, v105, s[0:3], 0 offen
	buffer_load_dword v109, v105, s[0:3], 0 offen offset:4
	ds_read_b64 v[110:111], v104
	v_add_u32_e32 v106, 1, v106
	v_cmp_lt_u32_e32 vcc, 19, v106
	v_add_u32_e32 v104, 8, v104
	v_add_u32_e32 v105, 8, v105
	s_or_b64 s[10:11], vcc, s[10:11]
	s_waitcnt vmcnt(0) lgkmcnt(0)
	v_fmac_f64_e32 v[100:101], v[108:109], v[110:111]
	s_andn2_b64 exec, exec, s[10:11]
	s_cbranch_execnz .LBB112_677
; %bb.678:
	s_or_b64 exec, exec, s[10:11]
.LBB112_679:
	s_or_b64 exec, exec, s[8:9]
	v_mov_b32_e32 v104, 0
	ds_read_b64 v[104:105], v104 offset:168
	s_waitcnt lgkmcnt(0)
	v_mul_f64 v[100:101], v[100:101], v[104:105]
	buffer_store_dword v101, off, s[0:3], 0 offset:172
	buffer_store_dword v100, off, s[0:3], 0 offset:168
.LBB112_680:
	s_or_b64 exec, exec, s[6:7]
	buffer_load_dword v100, off, s[0:3], 0 offset:176
	buffer_load_dword v101, off, s[0:3], 0 offset:180
	v_cmp_gt_u32_e32 vcc, 22, v0
	s_waitcnt vmcnt(0)
	ds_write_b64 v102, v[100:101]
	s_waitcnt lgkmcnt(0)
	; wave barrier
	s_waitcnt lgkmcnt(0)
	s_and_saveexec_b64 s[6:7], vcc
	s_cbranch_execz .LBB112_690
; %bb.681:
	s_and_b64 vcc, exec, s[4:5]
	s_cbranch_vccnz .LBB112_683
; %bb.682:
	buffer_load_dword v100, v103, s[0:3], 0 offen
	buffer_load_dword v101, v103, s[0:3], 0 offen offset:4
	ds_read_b64 v[104:105], v102
	s_waitcnt vmcnt(0) lgkmcnt(0)
	v_mul_f64 v[100:101], v[100:101], v[104:105]
	s_cbranch_execz .LBB112_684
	s_branch .LBB112_685
.LBB112_683:
                                        ; implicit-def: $vgpr100_vgpr101
.LBB112_684:
	ds_read_b64 v[100:101], v102
.LBB112_685:
	v_cmp_ne_u32_e32 vcc, 21, v0
	s_and_saveexec_b64 s[8:9], vcc
	s_cbranch_execz .LBB112_689
; %bb.686:
	v_mov_b32_e32 v105, 0
	v_add_u32_e32 v104, 0x198, v1
	v_add3_u32 v105, v1, v105, 8
	s_mov_b64 s[10:11], 0
	v_mov_b32_e32 v106, v0
.LBB112_687:                            ; =>This Inner Loop Header: Depth=1
	buffer_load_dword v108, v105, s[0:3], 0 offen
	buffer_load_dword v109, v105, s[0:3], 0 offen offset:4
	ds_read_b64 v[110:111], v104
	v_add_u32_e32 v106, 1, v106
	v_cmp_lt_u32_e32 vcc, 20, v106
	v_add_u32_e32 v104, 8, v104
	v_add_u32_e32 v105, 8, v105
	s_or_b64 s[10:11], vcc, s[10:11]
	s_waitcnt vmcnt(0) lgkmcnt(0)
	v_fmac_f64_e32 v[100:101], v[108:109], v[110:111]
	s_andn2_b64 exec, exec, s[10:11]
	s_cbranch_execnz .LBB112_687
; %bb.688:
	s_or_b64 exec, exec, s[10:11]
.LBB112_689:
	s_or_b64 exec, exec, s[8:9]
	v_mov_b32_e32 v104, 0
	ds_read_b64 v[104:105], v104 offset:176
	s_waitcnt lgkmcnt(0)
	v_mul_f64 v[100:101], v[100:101], v[104:105]
	buffer_store_dword v101, off, s[0:3], 0 offset:180
	buffer_store_dword v100, off, s[0:3], 0 offset:176
.LBB112_690:
	s_or_b64 exec, exec, s[6:7]
	buffer_load_dword v100, off, s[0:3], 0 offset:184
	buffer_load_dword v101, off, s[0:3], 0 offset:188
	v_cmp_gt_u32_e32 vcc, 23, v0
	s_waitcnt vmcnt(0)
	ds_write_b64 v102, v[100:101]
	s_waitcnt lgkmcnt(0)
	; wave barrier
	s_waitcnt lgkmcnt(0)
	s_and_saveexec_b64 s[6:7], vcc
	s_cbranch_execz .LBB112_700
; %bb.691:
	s_and_b64 vcc, exec, s[4:5]
	s_cbranch_vccnz .LBB112_693
; %bb.692:
	buffer_load_dword v100, v103, s[0:3], 0 offen
	buffer_load_dword v101, v103, s[0:3], 0 offen offset:4
	ds_read_b64 v[104:105], v102
	s_waitcnt vmcnt(0) lgkmcnt(0)
	v_mul_f64 v[100:101], v[100:101], v[104:105]
	s_cbranch_execz .LBB112_694
	s_branch .LBB112_695
.LBB112_693:
                                        ; implicit-def: $vgpr100_vgpr101
.LBB112_694:
	ds_read_b64 v[100:101], v102
.LBB112_695:
	v_cmp_ne_u32_e32 vcc, 22, v0
	s_and_saveexec_b64 s[8:9], vcc
	s_cbranch_execz .LBB112_699
; %bb.696:
	v_mov_b32_e32 v105, 0
	v_add_u32_e32 v104, 0x198, v1
	v_add3_u32 v105, v1, v105, 8
	s_mov_b64 s[10:11], 0
	v_mov_b32_e32 v106, v0
.LBB112_697:                            ; =>This Inner Loop Header: Depth=1
	buffer_load_dword v108, v105, s[0:3], 0 offen
	buffer_load_dword v109, v105, s[0:3], 0 offen offset:4
	ds_read_b64 v[110:111], v104
	v_add_u32_e32 v106, 1, v106
	v_cmp_lt_u32_e32 vcc, 21, v106
	v_add_u32_e32 v104, 8, v104
	v_add_u32_e32 v105, 8, v105
	s_or_b64 s[10:11], vcc, s[10:11]
	s_waitcnt vmcnt(0) lgkmcnt(0)
	v_fmac_f64_e32 v[100:101], v[108:109], v[110:111]
	s_andn2_b64 exec, exec, s[10:11]
	s_cbranch_execnz .LBB112_697
; %bb.698:
	s_or_b64 exec, exec, s[10:11]
.LBB112_699:
	s_or_b64 exec, exec, s[8:9]
	v_mov_b32_e32 v104, 0
	ds_read_b64 v[104:105], v104 offset:184
	s_waitcnt lgkmcnt(0)
	v_mul_f64 v[100:101], v[100:101], v[104:105]
	buffer_store_dword v101, off, s[0:3], 0 offset:188
	buffer_store_dword v100, off, s[0:3], 0 offset:184
.LBB112_700:
	s_or_b64 exec, exec, s[6:7]
	buffer_load_dword v100, off, s[0:3], 0 offset:192
	buffer_load_dword v101, off, s[0:3], 0 offset:196
	v_cmp_gt_u32_e32 vcc, 24, v0
	s_waitcnt vmcnt(0)
	ds_write_b64 v102, v[100:101]
	s_waitcnt lgkmcnt(0)
	; wave barrier
	s_waitcnt lgkmcnt(0)
	s_and_saveexec_b64 s[6:7], vcc
	s_cbranch_execz .LBB112_710
; %bb.701:
	s_and_b64 vcc, exec, s[4:5]
	s_cbranch_vccnz .LBB112_703
; %bb.702:
	buffer_load_dword v100, v103, s[0:3], 0 offen
	buffer_load_dword v101, v103, s[0:3], 0 offen offset:4
	ds_read_b64 v[104:105], v102
	s_waitcnt vmcnt(0) lgkmcnt(0)
	v_mul_f64 v[100:101], v[100:101], v[104:105]
	s_cbranch_execz .LBB112_704
	s_branch .LBB112_705
.LBB112_703:
                                        ; implicit-def: $vgpr100_vgpr101
.LBB112_704:
	ds_read_b64 v[100:101], v102
.LBB112_705:
	v_cmp_ne_u32_e32 vcc, 23, v0
	s_and_saveexec_b64 s[8:9], vcc
	s_cbranch_execz .LBB112_709
; %bb.706:
	v_mov_b32_e32 v105, 0
	v_add_u32_e32 v104, 0x198, v1
	v_add3_u32 v105, v1, v105, 8
	s_mov_b64 s[10:11], 0
	v_mov_b32_e32 v106, v0
.LBB112_707:                            ; =>This Inner Loop Header: Depth=1
	buffer_load_dword v108, v105, s[0:3], 0 offen
	buffer_load_dword v109, v105, s[0:3], 0 offen offset:4
	ds_read_b64 v[110:111], v104
	v_add_u32_e32 v106, 1, v106
	v_cmp_lt_u32_e32 vcc, 22, v106
	v_add_u32_e32 v104, 8, v104
	v_add_u32_e32 v105, 8, v105
	s_or_b64 s[10:11], vcc, s[10:11]
	s_waitcnt vmcnt(0) lgkmcnt(0)
	v_fmac_f64_e32 v[100:101], v[108:109], v[110:111]
	s_andn2_b64 exec, exec, s[10:11]
	s_cbranch_execnz .LBB112_707
; %bb.708:
	s_or_b64 exec, exec, s[10:11]
.LBB112_709:
	s_or_b64 exec, exec, s[8:9]
	v_mov_b32_e32 v104, 0
	ds_read_b64 v[104:105], v104 offset:192
	s_waitcnt lgkmcnt(0)
	v_mul_f64 v[100:101], v[100:101], v[104:105]
	buffer_store_dword v101, off, s[0:3], 0 offset:196
	buffer_store_dword v100, off, s[0:3], 0 offset:192
.LBB112_710:
	s_or_b64 exec, exec, s[6:7]
	buffer_load_dword v100, off, s[0:3], 0 offset:200
	buffer_load_dword v101, off, s[0:3], 0 offset:204
	v_cmp_gt_u32_e32 vcc, 25, v0
	s_waitcnt vmcnt(0)
	ds_write_b64 v102, v[100:101]
	s_waitcnt lgkmcnt(0)
	; wave barrier
	s_waitcnt lgkmcnt(0)
	s_and_saveexec_b64 s[6:7], vcc
	s_cbranch_execz .LBB112_720
; %bb.711:
	s_and_b64 vcc, exec, s[4:5]
	s_cbranch_vccnz .LBB112_713
; %bb.712:
	buffer_load_dword v100, v103, s[0:3], 0 offen
	buffer_load_dword v101, v103, s[0:3], 0 offen offset:4
	ds_read_b64 v[104:105], v102
	s_waitcnt vmcnt(0) lgkmcnt(0)
	v_mul_f64 v[100:101], v[100:101], v[104:105]
	s_cbranch_execz .LBB112_714
	s_branch .LBB112_715
.LBB112_713:
                                        ; implicit-def: $vgpr100_vgpr101
.LBB112_714:
	ds_read_b64 v[100:101], v102
.LBB112_715:
	v_cmp_ne_u32_e32 vcc, 24, v0
	s_and_saveexec_b64 s[8:9], vcc
	s_cbranch_execz .LBB112_719
; %bb.716:
	v_mov_b32_e32 v105, 0
	v_add_u32_e32 v104, 0x198, v1
	v_add3_u32 v105, v1, v105, 8
	s_mov_b64 s[10:11], 0
	v_mov_b32_e32 v106, v0
.LBB112_717:                            ; =>This Inner Loop Header: Depth=1
	buffer_load_dword v108, v105, s[0:3], 0 offen
	buffer_load_dword v109, v105, s[0:3], 0 offen offset:4
	ds_read_b64 v[110:111], v104
	v_add_u32_e32 v106, 1, v106
	v_cmp_lt_u32_e32 vcc, 23, v106
	v_add_u32_e32 v104, 8, v104
	v_add_u32_e32 v105, 8, v105
	s_or_b64 s[10:11], vcc, s[10:11]
	s_waitcnt vmcnt(0) lgkmcnt(0)
	v_fmac_f64_e32 v[100:101], v[108:109], v[110:111]
	s_andn2_b64 exec, exec, s[10:11]
	s_cbranch_execnz .LBB112_717
; %bb.718:
	s_or_b64 exec, exec, s[10:11]
.LBB112_719:
	s_or_b64 exec, exec, s[8:9]
	v_mov_b32_e32 v104, 0
	ds_read_b64 v[104:105], v104 offset:200
	s_waitcnt lgkmcnt(0)
	v_mul_f64 v[100:101], v[100:101], v[104:105]
	buffer_store_dword v101, off, s[0:3], 0 offset:204
	buffer_store_dword v100, off, s[0:3], 0 offset:200
.LBB112_720:
	s_or_b64 exec, exec, s[6:7]
	buffer_load_dword v100, off, s[0:3], 0 offset:208
	buffer_load_dword v101, off, s[0:3], 0 offset:212
	v_cmp_gt_u32_e32 vcc, 26, v0
	s_waitcnt vmcnt(0)
	ds_write_b64 v102, v[100:101]
	s_waitcnt lgkmcnt(0)
	; wave barrier
	s_waitcnt lgkmcnt(0)
	s_and_saveexec_b64 s[6:7], vcc
	s_cbranch_execz .LBB112_730
; %bb.721:
	s_and_b64 vcc, exec, s[4:5]
	s_cbranch_vccnz .LBB112_723
; %bb.722:
	buffer_load_dword v100, v103, s[0:3], 0 offen
	buffer_load_dword v101, v103, s[0:3], 0 offen offset:4
	ds_read_b64 v[104:105], v102
	s_waitcnt vmcnt(0) lgkmcnt(0)
	v_mul_f64 v[100:101], v[100:101], v[104:105]
	s_cbranch_execz .LBB112_724
	s_branch .LBB112_725
.LBB112_723:
                                        ; implicit-def: $vgpr100_vgpr101
.LBB112_724:
	ds_read_b64 v[100:101], v102
.LBB112_725:
	v_cmp_ne_u32_e32 vcc, 25, v0
	s_and_saveexec_b64 s[8:9], vcc
	s_cbranch_execz .LBB112_729
; %bb.726:
	v_mov_b32_e32 v105, 0
	v_add_u32_e32 v104, 0x198, v1
	v_add3_u32 v105, v1, v105, 8
	s_mov_b64 s[10:11], 0
	v_mov_b32_e32 v106, v0
.LBB112_727:                            ; =>This Inner Loop Header: Depth=1
	buffer_load_dword v108, v105, s[0:3], 0 offen
	buffer_load_dword v109, v105, s[0:3], 0 offen offset:4
	ds_read_b64 v[110:111], v104
	v_add_u32_e32 v106, 1, v106
	v_cmp_lt_u32_e32 vcc, 24, v106
	v_add_u32_e32 v104, 8, v104
	v_add_u32_e32 v105, 8, v105
	s_or_b64 s[10:11], vcc, s[10:11]
	s_waitcnt vmcnt(0) lgkmcnt(0)
	v_fmac_f64_e32 v[100:101], v[108:109], v[110:111]
	s_andn2_b64 exec, exec, s[10:11]
	s_cbranch_execnz .LBB112_727
; %bb.728:
	s_or_b64 exec, exec, s[10:11]
.LBB112_729:
	s_or_b64 exec, exec, s[8:9]
	v_mov_b32_e32 v104, 0
	ds_read_b64 v[104:105], v104 offset:208
	s_waitcnt lgkmcnt(0)
	v_mul_f64 v[100:101], v[100:101], v[104:105]
	buffer_store_dword v101, off, s[0:3], 0 offset:212
	buffer_store_dword v100, off, s[0:3], 0 offset:208
.LBB112_730:
	s_or_b64 exec, exec, s[6:7]
	buffer_load_dword v100, off, s[0:3], 0 offset:216
	buffer_load_dword v101, off, s[0:3], 0 offset:220
	v_cmp_gt_u32_e32 vcc, 27, v0
	s_waitcnt vmcnt(0)
	ds_write_b64 v102, v[100:101]
	s_waitcnt lgkmcnt(0)
	; wave barrier
	s_waitcnt lgkmcnt(0)
	s_and_saveexec_b64 s[6:7], vcc
	s_cbranch_execz .LBB112_740
; %bb.731:
	s_and_b64 vcc, exec, s[4:5]
	s_cbranch_vccnz .LBB112_733
; %bb.732:
	buffer_load_dword v100, v103, s[0:3], 0 offen
	buffer_load_dword v101, v103, s[0:3], 0 offen offset:4
	ds_read_b64 v[104:105], v102
	s_waitcnt vmcnt(0) lgkmcnt(0)
	v_mul_f64 v[100:101], v[100:101], v[104:105]
	s_cbranch_execz .LBB112_734
	s_branch .LBB112_735
.LBB112_733:
                                        ; implicit-def: $vgpr100_vgpr101
.LBB112_734:
	ds_read_b64 v[100:101], v102
.LBB112_735:
	v_cmp_ne_u32_e32 vcc, 26, v0
	s_and_saveexec_b64 s[8:9], vcc
	s_cbranch_execz .LBB112_739
; %bb.736:
	v_mov_b32_e32 v105, 0
	v_add_u32_e32 v104, 0x198, v1
	v_add3_u32 v105, v1, v105, 8
	s_mov_b64 s[10:11], 0
	v_mov_b32_e32 v106, v0
.LBB112_737:                            ; =>This Inner Loop Header: Depth=1
	buffer_load_dword v108, v105, s[0:3], 0 offen
	buffer_load_dword v109, v105, s[0:3], 0 offen offset:4
	ds_read_b64 v[110:111], v104
	v_add_u32_e32 v106, 1, v106
	v_cmp_lt_u32_e32 vcc, 25, v106
	v_add_u32_e32 v104, 8, v104
	v_add_u32_e32 v105, 8, v105
	s_or_b64 s[10:11], vcc, s[10:11]
	s_waitcnt vmcnt(0) lgkmcnt(0)
	v_fmac_f64_e32 v[100:101], v[108:109], v[110:111]
	s_andn2_b64 exec, exec, s[10:11]
	s_cbranch_execnz .LBB112_737
; %bb.738:
	s_or_b64 exec, exec, s[10:11]
.LBB112_739:
	s_or_b64 exec, exec, s[8:9]
	v_mov_b32_e32 v104, 0
	ds_read_b64 v[104:105], v104 offset:216
	s_waitcnt lgkmcnt(0)
	v_mul_f64 v[100:101], v[100:101], v[104:105]
	buffer_store_dword v101, off, s[0:3], 0 offset:220
	buffer_store_dword v100, off, s[0:3], 0 offset:216
.LBB112_740:
	s_or_b64 exec, exec, s[6:7]
	buffer_load_dword v100, off, s[0:3], 0 offset:224
	buffer_load_dword v101, off, s[0:3], 0 offset:228
	v_cmp_gt_u32_e32 vcc, 28, v0
	s_waitcnt vmcnt(0)
	ds_write_b64 v102, v[100:101]
	s_waitcnt lgkmcnt(0)
	; wave barrier
	s_waitcnt lgkmcnt(0)
	s_and_saveexec_b64 s[6:7], vcc
	s_cbranch_execz .LBB112_750
; %bb.741:
	s_and_b64 vcc, exec, s[4:5]
	s_cbranch_vccnz .LBB112_743
; %bb.742:
	buffer_load_dword v100, v103, s[0:3], 0 offen
	buffer_load_dword v101, v103, s[0:3], 0 offen offset:4
	ds_read_b64 v[104:105], v102
	s_waitcnt vmcnt(0) lgkmcnt(0)
	v_mul_f64 v[100:101], v[100:101], v[104:105]
	s_cbranch_execz .LBB112_744
	s_branch .LBB112_745
.LBB112_743:
                                        ; implicit-def: $vgpr100_vgpr101
.LBB112_744:
	ds_read_b64 v[100:101], v102
.LBB112_745:
	v_cmp_ne_u32_e32 vcc, 27, v0
	s_and_saveexec_b64 s[8:9], vcc
	s_cbranch_execz .LBB112_749
; %bb.746:
	v_mov_b32_e32 v105, 0
	v_add_u32_e32 v104, 0x198, v1
	v_add3_u32 v105, v1, v105, 8
	s_mov_b64 s[10:11], 0
	v_mov_b32_e32 v106, v0
.LBB112_747:                            ; =>This Inner Loop Header: Depth=1
	buffer_load_dword v108, v105, s[0:3], 0 offen
	buffer_load_dword v109, v105, s[0:3], 0 offen offset:4
	ds_read_b64 v[110:111], v104
	v_add_u32_e32 v106, 1, v106
	v_cmp_lt_u32_e32 vcc, 26, v106
	v_add_u32_e32 v104, 8, v104
	v_add_u32_e32 v105, 8, v105
	s_or_b64 s[10:11], vcc, s[10:11]
	s_waitcnt vmcnt(0) lgkmcnt(0)
	v_fmac_f64_e32 v[100:101], v[108:109], v[110:111]
	s_andn2_b64 exec, exec, s[10:11]
	s_cbranch_execnz .LBB112_747
; %bb.748:
	s_or_b64 exec, exec, s[10:11]
.LBB112_749:
	s_or_b64 exec, exec, s[8:9]
	v_mov_b32_e32 v104, 0
	ds_read_b64 v[104:105], v104 offset:224
	s_waitcnt lgkmcnt(0)
	v_mul_f64 v[100:101], v[100:101], v[104:105]
	buffer_store_dword v101, off, s[0:3], 0 offset:228
	buffer_store_dword v100, off, s[0:3], 0 offset:224
.LBB112_750:
	s_or_b64 exec, exec, s[6:7]
	buffer_load_dword v100, off, s[0:3], 0 offset:232
	buffer_load_dword v101, off, s[0:3], 0 offset:236
	v_cmp_gt_u32_e32 vcc, 29, v0
	s_waitcnt vmcnt(0)
	ds_write_b64 v102, v[100:101]
	s_waitcnt lgkmcnt(0)
	; wave barrier
	s_waitcnt lgkmcnt(0)
	s_and_saveexec_b64 s[6:7], vcc
	s_cbranch_execz .LBB112_760
; %bb.751:
	s_and_b64 vcc, exec, s[4:5]
	s_cbranch_vccnz .LBB112_753
; %bb.752:
	buffer_load_dword v100, v103, s[0:3], 0 offen
	buffer_load_dword v101, v103, s[0:3], 0 offen offset:4
	ds_read_b64 v[104:105], v102
	s_waitcnt vmcnt(0) lgkmcnt(0)
	v_mul_f64 v[100:101], v[100:101], v[104:105]
	s_cbranch_execz .LBB112_754
	s_branch .LBB112_755
.LBB112_753:
                                        ; implicit-def: $vgpr100_vgpr101
.LBB112_754:
	ds_read_b64 v[100:101], v102
.LBB112_755:
	v_cmp_ne_u32_e32 vcc, 28, v0
	s_and_saveexec_b64 s[8:9], vcc
	s_cbranch_execz .LBB112_759
; %bb.756:
	v_mov_b32_e32 v105, 0
	v_add_u32_e32 v104, 0x198, v1
	v_add3_u32 v105, v1, v105, 8
	s_mov_b64 s[10:11], 0
	v_mov_b32_e32 v106, v0
.LBB112_757:                            ; =>This Inner Loop Header: Depth=1
	buffer_load_dword v108, v105, s[0:3], 0 offen
	buffer_load_dword v109, v105, s[0:3], 0 offen offset:4
	ds_read_b64 v[110:111], v104
	v_add_u32_e32 v106, 1, v106
	v_cmp_lt_u32_e32 vcc, 27, v106
	v_add_u32_e32 v104, 8, v104
	v_add_u32_e32 v105, 8, v105
	s_or_b64 s[10:11], vcc, s[10:11]
	s_waitcnt vmcnt(0) lgkmcnt(0)
	v_fmac_f64_e32 v[100:101], v[108:109], v[110:111]
	s_andn2_b64 exec, exec, s[10:11]
	s_cbranch_execnz .LBB112_757
; %bb.758:
	s_or_b64 exec, exec, s[10:11]
.LBB112_759:
	s_or_b64 exec, exec, s[8:9]
	v_mov_b32_e32 v104, 0
	ds_read_b64 v[104:105], v104 offset:232
	s_waitcnt lgkmcnt(0)
	v_mul_f64 v[100:101], v[100:101], v[104:105]
	buffer_store_dword v101, off, s[0:3], 0 offset:236
	buffer_store_dword v100, off, s[0:3], 0 offset:232
.LBB112_760:
	s_or_b64 exec, exec, s[6:7]
	buffer_load_dword v100, off, s[0:3], 0 offset:240
	buffer_load_dword v101, off, s[0:3], 0 offset:244
	v_cmp_gt_u32_e32 vcc, 30, v0
	s_waitcnt vmcnt(0)
	ds_write_b64 v102, v[100:101]
	s_waitcnt lgkmcnt(0)
	; wave barrier
	s_waitcnt lgkmcnt(0)
	s_and_saveexec_b64 s[6:7], vcc
	s_cbranch_execz .LBB112_770
; %bb.761:
	s_and_b64 vcc, exec, s[4:5]
	s_cbranch_vccnz .LBB112_763
; %bb.762:
	buffer_load_dword v100, v103, s[0:3], 0 offen
	buffer_load_dword v101, v103, s[0:3], 0 offen offset:4
	ds_read_b64 v[104:105], v102
	s_waitcnt vmcnt(0) lgkmcnt(0)
	v_mul_f64 v[100:101], v[100:101], v[104:105]
	s_cbranch_execz .LBB112_764
	s_branch .LBB112_765
.LBB112_763:
                                        ; implicit-def: $vgpr100_vgpr101
.LBB112_764:
	ds_read_b64 v[100:101], v102
.LBB112_765:
	v_cmp_ne_u32_e32 vcc, 29, v0
	s_and_saveexec_b64 s[8:9], vcc
	s_cbranch_execz .LBB112_769
; %bb.766:
	v_mov_b32_e32 v105, 0
	v_add_u32_e32 v104, 0x198, v1
	v_add3_u32 v105, v1, v105, 8
	s_mov_b64 s[10:11], 0
	v_mov_b32_e32 v106, v0
.LBB112_767:                            ; =>This Inner Loop Header: Depth=1
	buffer_load_dword v108, v105, s[0:3], 0 offen
	buffer_load_dword v109, v105, s[0:3], 0 offen offset:4
	ds_read_b64 v[110:111], v104
	v_add_u32_e32 v106, 1, v106
	v_cmp_lt_u32_e32 vcc, 28, v106
	v_add_u32_e32 v104, 8, v104
	v_add_u32_e32 v105, 8, v105
	s_or_b64 s[10:11], vcc, s[10:11]
	s_waitcnt vmcnt(0) lgkmcnt(0)
	v_fmac_f64_e32 v[100:101], v[108:109], v[110:111]
	s_andn2_b64 exec, exec, s[10:11]
	s_cbranch_execnz .LBB112_767
; %bb.768:
	s_or_b64 exec, exec, s[10:11]
.LBB112_769:
	s_or_b64 exec, exec, s[8:9]
	v_mov_b32_e32 v104, 0
	ds_read_b64 v[104:105], v104 offset:240
	s_waitcnt lgkmcnt(0)
	v_mul_f64 v[100:101], v[100:101], v[104:105]
	buffer_store_dword v101, off, s[0:3], 0 offset:244
	buffer_store_dword v100, off, s[0:3], 0 offset:240
.LBB112_770:
	s_or_b64 exec, exec, s[6:7]
	buffer_load_dword v100, off, s[0:3], 0 offset:248
	buffer_load_dword v101, off, s[0:3], 0 offset:252
	v_cmp_gt_u32_e32 vcc, 31, v0
	s_waitcnt vmcnt(0)
	ds_write_b64 v102, v[100:101]
	s_waitcnt lgkmcnt(0)
	; wave barrier
	s_waitcnt lgkmcnt(0)
	s_and_saveexec_b64 s[6:7], vcc
	s_cbranch_execz .LBB112_780
; %bb.771:
	s_and_b64 vcc, exec, s[4:5]
	s_cbranch_vccnz .LBB112_773
; %bb.772:
	buffer_load_dword v100, v103, s[0:3], 0 offen
	buffer_load_dword v101, v103, s[0:3], 0 offen offset:4
	ds_read_b64 v[104:105], v102
	s_waitcnt vmcnt(0) lgkmcnt(0)
	v_mul_f64 v[100:101], v[100:101], v[104:105]
	s_cbranch_execz .LBB112_774
	s_branch .LBB112_775
.LBB112_773:
                                        ; implicit-def: $vgpr100_vgpr101
.LBB112_774:
	ds_read_b64 v[100:101], v102
.LBB112_775:
	v_cmp_ne_u32_e32 vcc, 30, v0
	s_and_saveexec_b64 s[8:9], vcc
	s_cbranch_execz .LBB112_779
; %bb.776:
	v_mov_b32_e32 v105, 0
	v_add_u32_e32 v104, 0x198, v1
	v_add3_u32 v105, v1, v105, 8
	s_mov_b64 s[10:11], 0
	v_mov_b32_e32 v106, v0
.LBB112_777:                            ; =>This Inner Loop Header: Depth=1
	buffer_load_dword v108, v105, s[0:3], 0 offen
	buffer_load_dword v109, v105, s[0:3], 0 offen offset:4
	ds_read_b64 v[110:111], v104
	v_add_u32_e32 v106, 1, v106
	v_cmp_lt_u32_e32 vcc, 29, v106
	v_add_u32_e32 v104, 8, v104
	v_add_u32_e32 v105, 8, v105
	s_or_b64 s[10:11], vcc, s[10:11]
	s_waitcnt vmcnt(0) lgkmcnt(0)
	v_fmac_f64_e32 v[100:101], v[108:109], v[110:111]
	s_andn2_b64 exec, exec, s[10:11]
	s_cbranch_execnz .LBB112_777
; %bb.778:
	s_or_b64 exec, exec, s[10:11]
.LBB112_779:
	s_or_b64 exec, exec, s[8:9]
	v_mov_b32_e32 v104, 0
	ds_read_b64 v[104:105], v104 offset:248
	s_waitcnt lgkmcnt(0)
	v_mul_f64 v[100:101], v[100:101], v[104:105]
	buffer_store_dword v101, off, s[0:3], 0 offset:252
	buffer_store_dword v100, off, s[0:3], 0 offset:248
.LBB112_780:
	s_or_b64 exec, exec, s[6:7]
	buffer_load_dword v100, off, s[0:3], 0 offset:256
	buffer_load_dword v101, off, s[0:3], 0 offset:260
	v_cmp_gt_u32_e32 vcc, 32, v0
	s_waitcnt vmcnt(0)
	ds_write_b64 v102, v[100:101]
	s_waitcnt lgkmcnt(0)
	; wave barrier
	s_waitcnt lgkmcnt(0)
	s_and_saveexec_b64 s[6:7], vcc
	s_cbranch_execz .LBB112_790
; %bb.781:
	s_and_b64 vcc, exec, s[4:5]
	s_cbranch_vccnz .LBB112_783
; %bb.782:
	buffer_load_dword v100, v103, s[0:3], 0 offen
	buffer_load_dword v101, v103, s[0:3], 0 offen offset:4
	ds_read_b64 v[104:105], v102
	s_waitcnt vmcnt(0) lgkmcnt(0)
	v_mul_f64 v[100:101], v[100:101], v[104:105]
	s_cbranch_execz .LBB112_784
	s_branch .LBB112_785
.LBB112_783:
                                        ; implicit-def: $vgpr100_vgpr101
.LBB112_784:
	ds_read_b64 v[100:101], v102
.LBB112_785:
	v_cmp_ne_u32_e32 vcc, 31, v0
	s_and_saveexec_b64 s[8:9], vcc
	s_cbranch_execz .LBB112_789
; %bb.786:
	v_mov_b32_e32 v105, 0
	v_add_u32_e32 v104, 0x198, v1
	v_add3_u32 v105, v1, v105, 8
	s_mov_b64 s[10:11], 0
	v_mov_b32_e32 v106, v0
.LBB112_787:                            ; =>This Inner Loop Header: Depth=1
	buffer_load_dword v108, v105, s[0:3], 0 offen
	buffer_load_dword v109, v105, s[0:3], 0 offen offset:4
	ds_read_b64 v[110:111], v104
	v_add_u32_e32 v106, 1, v106
	v_cmp_lt_u32_e32 vcc, 30, v106
	v_add_u32_e32 v104, 8, v104
	v_add_u32_e32 v105, 8, v105
	s_or_b64 s[10:11], vcc, s[10:11]
	s_waitcnt vmcnt(0) lgkmcnt(0)
	v_fmac_f64_e32 v[100:101], v[108:109], v[110:111]
	s_andn2_b64 exec, exec, s[10:11]
	s_cbranch_execnz .LBB112_787
; %bb.788:
	s_or_b64 exec, exec, s[10:11]
.LBB112_789:
	s_or_b64 exec, exec, s[8:9]
	v_mov_b32_e32 v104, 0
	ds_read_b64 v[104:105], v104 offset:256
	s_waitcnt lgkmcnt(0)
	v_mul_f64 v[100:101], v[100:101], v[104:105]
	buffer_store_dword v101, off, s[0:3], 0 offset:260
	buffer_store_dword v100, off, s[0:3], 0 offset:256
.LBB112_790:
	s_or_b64 exec, exec, s[6:7]
	buffer_load_dword v100, off, s[0:3], 0 offset:264
	buffer_load_dword v101, off, s[0:3], 0 offset:268
	v_cmp_gt_u32_e32 vcc, 33, v0
	s_waitcnt vmcnt(0)
	ds_write_b64 v102, v[100:101]
	s_waitcnt lgkmcnt(0)
	; wave barrier
	s_waitcnt lgkmcnt(0)
	s_and_saveexec_b64 s[6:7], vcc
	s_cbranch_execz .LBB112_800
; %bb.791:
	s_and_b64 vcc, exec, s[4:5]
	s_cbranch_vccnz .LBB112_793
; %bb.792:
	buffer_load_dword v100, v103, s[0:3], 0 offen
	buffer_load_dword v101, v103, s[0:3], 0 offen offset:4
	ds_read_b64 v[104:105], v102
	s_waitcnt vmcnt(0) lgkmcnt(0)
	v_mul_f64 v[100:101], v[100:101], v[104:105]
	s_cbranch_execz .LBB112_794
	s_branch .LBB112_795
.LBB112_793:
                                        ; implicit-def: $vgpr100_vgpr101
.LBB112_794:
	ds_read_b64 v[100:101], v102
.LBB112_795:
	v_cmp_ne_u32_e32 vcc, 32, v0
	s_and_saveexec_b64 s[8:9], vcc
	s_cbranch_execz .LBB112_799
; %bb.796:
	v_mov_b32_e32 v105, 0
	v_add_u32_e32 v104, 0x198, v1
	v_add3_u32 v105, v1, v105, 8
	s_mov_b64 s[10:11], 0
	v_mov_b32_e32 v106, v0
.LBB112_797:                            ; =>This Inner Loop Header: Depth=1
	buffer_load_dword v108, v105, s[0:3], 0 offen
	buffer_load_dword v109, v105, s[0:3], 0 offen offset:4
	ds_read_b64 v[110:111], v104
	v_add_u32_e32 v106, 1, v106
	v_cmp_lt_u32_e32 vcc, 31, v106
	v_add_u32_e32 v104, 8, v104
	v_add_u32_e32 v105, 8, v105
	s_or_b64 s[10:11], vcc, s[10:11]
	s_waitcnt vmcnt(0) lgkmcnt(0)
	v_fmac_f64_e32 v[100:101], v[108:109], v[110:111]
	s_andn2_b64 exec, exec, s[10:11]
	s_cbranch_execnz .LBB112_797
; %bb.798:
	s_or_b64 exec, exec, s[10:11]
.LBB112_799:
	s_or_b64 exec, exec, s[8:9]
	v_mov_b32_e32 v104, 0
	ds_read_b64 v[104:105], v104 offset:264
	s_waitcnt lgkmcnt(0)
	v_mul_f64 v[100:101], v[100:101], v[104:105]
	buffer_store_dword v101, off, s[0:3], 0 offset:268
	buffer_store_dword v100, off, s[0:3], 0 offset:264
.LBB112_800:
	s_or_b64 exec, exec, s[6:7]
	buffer_load_dword v100, off, s[0:3], 0 offset:272
	buffer_load_dword v101, off, s[0:3], 0 offset:276
	v_cmp_gt_u32_e32 vcc, 34, v0
	s_waitcnt vmcnt(0)
	ds_write_b64 v102, v[100:101]
	s_waitcnt lgkmcnt(0)
	; wave barrier
	s_waitcnt lgkmcnt(0)
	s_and_saveexec_b64 s[6:7], vcc
	s_cbranch_execz .LBB112_810
; %bb.801:
	s_and_b64 vcc, exec, s[4:5]
	s_cbranch_vccnz .LBB112_803
; %bb.802:
	buffer_load_dword v100, v103, s[0:3], 0 offen
	buffer_load_dword v101, v103, s[0:3], 0 offen offset:4
	ds_read_b64 v[104:105], v102
	s_waitcnt vmcnt(0) lgkmcnt(0)
	v_mul_f64 v[100:101], v[100:101], v[104:105]
	s_cbranch_execz .LBB112_804
	s_branch .LBB112_805
.LBB112_803:
                                        ; implicit-def: $vgpr100_vgpr101
.LBB112_804:
	ds_read_b64 v[100:101], v102
.LBB112_805:
	v_cmp_ne_u32_e32 vcc, 33, v0
	s_and_saveexec_b64 s[8:9], vcc
	s_cbranch_execz .LBB112_809
; %bb.806:
	v_mov_b32_e32 v105, 0
	v_add_u32_e32 v104, 0x198, v1
	v_add3_u32 v105, v1, v105, 8
	s_mov_b64 s[10:11], 0
	v_mov_b32_e32 v106, v0
.LBB112_807:                            ; =>This Inner Loop Header: Depth=1
	buffer_load_dword v108, v105, s[0:3], 0 offen
	buffer_load_dword v109, v105, s[0:3], 0 offen offset:4
	ds_read_b64 v[110:111], v104
	v_add_u32_e32 v106, 1, v106
	v_cmp_lt_u32_e32 vcc, 32, v106
	v_add_u32_e32 v104, 8, v104
	v_add_u32_e32 v105, 8, v105
	s_or_b64 s[10:11], vcc, s[10:11]
	s_waitcnt vmcnt(0) lgkmcnt(0)
	v_fmac_f64_e32 v[100:101], v[108:109], v[110:111]
	s_andn2_b64 exec, exec, s[10:11]
	s_cbranch_execnz .LBB112_807
; %bb.808:
	s_or_b64 exec, exec, s[10:11]
.LBB112_809:
	s_or_b64 exec, exec, s[8:9]
	v_mov_b32_e32 v104, 0
	ds_read_b64 v[104:105], v104 offset:272
	s_waitcnt lgkmcnt(0)
	v_mul_f64 v[100:101], v[100:101], v[104:105]
	buffer_store_dword v101, off, s[0:3], 0 offset:276
	buffer_store_dword v100, off, s[0:3], 0 offset:272
.LBB112_810:
	s_or_b64 exec, exec, s[6:7]
	buffer_load_dword v100, off, s[0:3], 0 offset:280
	buffer_load_dword v101, off, s[0:3], 0 offset:284
	v_cmp_gt_u32_e32 vcc, 35, v0
	s_waitcnt vmcnt(0)
	ds_write_b64 v102, v[100:101]
	s_waitcnt lgkmcnt(0)
	; wave barrier
	s_waitcnt lgkmcnt(0)
	s_and_saveexec_b64 s[6:7], vcc
	s_cbranch_execz .LBB112_820
; %bb.811:
	s_and_b64 vcc, exec, s[4:5]
	s_cbranch_vccnz .LBB112_813
; %bb.812:
	buffer_load_dword v100, v103, s[0:3], 0 offen
	buffer_load_dword v101, v103, s[0:3], 0 offen offset:4
	ds_read_b64 v[104:105], v102
	s_waitcnt vmcnt(0) lgkmcnt(0)
	v_mul_f64 v[100:101], v[100:101], v[104:105]
	s_cbranch_execz .LBB112_814
	s_branch .LBB112_815
.LBB112_813:
                                        ; implicit-def: $vgpr100_vgpr101
.LBB112_814:
	ds_read_b64 v[100:101], v102
.LBB112_815:
	v_cmp_ne_u32_e32 vcc, 34, v0
	s_and_saveexec_b64 s[8:9], vcc
	s_cbranch_execz .LBB112_819
; %bb.816:
	v_mov_b32_e32 v105, 0
	v_add_u32_e32 v104, 0x198, v1
	v_add3_u32 v105, v1, v105, 8
	s_mov_b64 s[10:11], 0
	v_mov_b32_e32 v106, v0
.LBB112_817:                            ; =>This Inner Loop Header: Depth=1
	buffer_load_dword v108, v105, s[0:3], 0 offen
	buffer_load_dword v109, v105, s[0:3], 0 offen offset:4
	ds_read_b64 v[110:111], v104
	v_add_u32_e32 v106, 1, v106
	v_cmp_lt_u32_e32 vcc, 33, v106
	v_add_u32_e32 v104, 8, v104
	v_add_u32_e32 v105, 8, v105
	s_or_b64 s[10:11], vcc, s[10:11]
	s_waitcnt vmcnt(0) lgkmcnt(0)
	v_fmac_f64_e32 v[100:101], v[108:109], v[110:111]
	s_andn2_b64 exec, exec, s[10:11]
	s_cbranch_execnz .LBB112_817
; %bb.818:
	s_or_b64 exec, exec, s[10:11]
.LBB112_819:
	s_or_b64 exec, exec, s[8:9]
	v_mov_b32_e32 v104, 0
	ds_read_b64 v[104:105], v104 offset:280
	s_waitcnt lgkmcnt(0)
	v_mul_f64 v[100:101], v[100:101], v[104:105]
	buffer_store_dword v101, off, s[0:3], 0 offset:284
	buffer_store_dword v100, off, s[0:3], 0 offset:280
.LBB112_820:
	s_or_b64 exec, exec, s[6:7]
	buffer_load_dword v100, off, s[0:3], 0 offset:288
	buffer_load_dword v101, off, s[0:3], 0 offset:292
	v_cmp_gt_u32_e32 vcc, 36, v0
	s_waitcnt vmcnt(0)
	ds_write_b64 v102, v[100:101]
	s_waitcnt lgkmcnt(0)
	; wave barrier
	s_waitcnt lgkmcnt(0)
	s_and_saveexec_b64 s[6:7], vcc
	s_cbranch_execz .LBB112_830
; %bb.821:
	s_and_b64 vcc, exec, s[4:5]
	s_cbranch_vccnz .LBB112_823
; %bb.822:
	buffer_load_dword v100, v103, s[0:3], 0 offen
	buffer_load_dword v101, v103, s[0:3], 0 offen offset:4
	ds_read_b64 v[104:105], v102
	s_waitcnt vmcnt(0) lgkmcnt(0)
	v_mul_f64 v[100:101], v[100:101], v[104:105]
	s_cbranch_execz .LBB112_824
	s_branch .LBB112_825
.LBB112_823:
                                        ; implicit-def: $vgpr100_vgpr101
.LBB112_824:
	ds_read_b64 v[100:101], v102
.LBB112_825:
	v_cmp_ne_u32_e32 vcc, 35, v0
	s_and_saveexec_b64 s[8:9], vcc
	s_cbranch_execz .LBB112_829
; %bb.826:
	v_mov_b32_e32 v105, 0
	v_add_u32_e32 v104, 0x198, v1
	v_add3_u32 v105, v1, v105, 8
	s_mov_b64 s[10:11], 0
	v_mov_b32_e32 v106, v0
.LBB112_827:                            ; =>This Inner Loop Header: Depth=1
	buffer_load_dword v108, v105, s[0:3], 0 offen
	buffer_load_dword v109, v105, s[0:3], 0 offen offset:4
	ds_read_b64 v[110:111], v104
	v_add_u32_e32 v106, 1, v106
	v_cmp_lt_u32_e32 vcc, 34, v106
	v_add_u32_e32 v104, 8, v104
	v_add_u32_e32 v105, 8, v105
	s_or_b64 s[10:11], vcc, s[10:11]
	s_waitcnt vmcnt(0) lgkmcnt(0)
	v_fmac_f64_e32 v[100:101], v[108:109], v[110:111]
	s_andn2_b64 exec, exec, s[10:11]
	s_cbranch_execnz .LBB112_827
; %bb.828:
	s_or_b64 exec, exec, s[10:11]
.LBB112_829:
	s_or_b64 exec, exec, s[8:9]
	v_mov_b32_e32 v104, 0
	ds_read_b64 v[104:105], v104 offset:288
	s_waitcnt lgkmcnt(0)
	v_mul_f64 v[100:101], v[100:101], v[104:105]
	buffer_store_dword v101, off, s[0:3], 0 offset:292
	buffer_store_dword v100, off, s[0:3], 0 offset:288
.LBB112_830:
	s_or_b64 exec, exec, s[6:7]
	buffer_load_dword v100, off, s[0:3], 0 offset:296
	buffer_load_dword v101, off, s[0:3], 0 offset:300
	v_cmp_gt_u32_e32 vcc, 37, v0
	s_waitcnt vmcnt(0)
	ds_write_b64 v102, v[100:101]
	s_waitcnt lgkmcnt(0)
	; wave barrier
	s_waitcnt lgkmcnt(0)
	s_and_saveexec_b64 s[6:7], vcc
	s_cbranch_execz .LBB112_840
; %bb.831:
	s_and_b64 vcc, exec, s[4:5]
	s_cbranch_vccnz .LBB112_833
; %bb.832:
	buffer_load_dword v100, v103, s[0:3], 0 offen
	buffer_load_dword v101, v103, s[0:3], 0 offen offset:4
	ds_read_b64 v[104:105], v102
	s_waitcnt vmcnt(0) lgkmcnt(0)
	v_mul_f64 v[100:101], v[100:101], v[104:105]
	s_cbranch_execz .LBB112_834
	s_branch .LBB112_835
.LBB112_833:
                                        ; implicit-def: $vgpr100_vgpr101
.LBB112_834:
	ds_read_b64 v[100:101], v102
.LBB112_835:
	v_cmp_ne_u32_e32 vcc, 36, v0
	s_and_saveexec_b64 s[8:9], vcc
	s_cbranch_execz .LBB112_839
; %bb.836:
	v_mov_b32_e32 v105, 0
	v_add_u32_e32 v104, 0x198, v1
	v_add3_u32 v105, v1, v105, 8
	s_mov_b64 s[10:11], 0
	v_mov_b32_e32 v106, v0
.LBB112_837:                            ; =>This Inner Loop Header: Depth=1
	buffer_load_dword v108, v105, s[0:3], 0 offen
	buffer_load_dword v109, v105, s[0:3], 0 offen offset:4
	ds_read_b64 v[110:111], v104
	v_add_u32_e32 v106, 1, v106
	v_cmp_lt_u32_e32 vcc, 35, v106
	v_add_u32_e32 v104, 8, v104
	v_add_u32_e32 v105, 8, v105
	s_or_b64 s[10:11], vcc, s[10:11]
	s_waitcnt vmcnt(0) lgkmcnt(0)
	v_fmac_f64_e32 v[100:101], v[108:109], v[110:111]
	s_andn2_b64 exec, exec, s[10:11]
	s_cbranch_execnz .LBB112_837
; %bb.838:
	s_or_b64 exec, exec, s[10:11]
.LBB112_839:
	s_or_b64 exec, exec, s[8:9]
	v_mov_b32_e32 v104, 0
	ds_read_b64 v[104:105], v104 offset:296
	s_waitcnt lgkmcnt(0)
	v_mul_f64 v[100:101], v[100:101], v[104:105]
	buffer_store_dword v101, off, s[0:3], 0 offset:300
	buffer_store_dword v100, off, s[0:3], 0 offset:296
.LBB112_840:
	s_or_b64 exec, exec, s[6:7]
	buffer_load_dword v100, off, s[0:3], 0 offset:304
	buffer_load_dword v101, off, s[0:3], 0 offset:308
	v_cmp_gt_u32_e32 vcc, 38, v0
	s_waitcnt vmcnt(0)
	ds_write_b64 v102, v[100:101]
	s_waitcnt lgkmcnt(0)
	; wave barrier
	s_waitcnt lgkmcnt(0)
	s_and_saveexec_b64 s[6:7], vcc
	s_cbranch_execz .LBB112_850
; %bb.841:
	s_and_b64 vcc, exec, s[4:5]
	s_cbranch_vccnz .LBB112_843
; %bb.842:
	buffer_load_dword v100, v103, s[0:3], 0 offen
	buffer_load_dword v101, v103, s[0:3], 0 offen offset:4
	ds_read_b64 v[104:105], v102
	s_waitcnt vmcnt(0) lgkmcnt(0)
	v_mul_f64 v[100:101], v[100:101], v[104:105]
	s_cbranch_execz .LBB112_844
	s_branch .LBB112_845
.LBB112_843:
                                        ; implicit-def: $vgpr100_vgpr101
.LBB112_844:
	ds_read_b64 v[100:101], v102
.LBB112_845:
	v_cmp_ne_u32_e32 vcc, 37, v0
	s_and_saveexec_b64 s[8:9], vcc
	s_cbranch_execz .LBB112_849
; %bb.846:
	v_mov_b32_e32 v105, 0
	v_add_u32_e32 v104, 0x198, v1
	v_add3_u32 v105, v1, v105, 8
	s_mov_b64 s[10:11], 0
	v_mov_b32_e32 v106, v0
.LBB112_847:                            ; =>This Inner Loop Header: Depth=1
	buffer_load_dword v108, v105, s[0:3], 0 offen
	buffer_load_dword v109, v105, s[0:3], 0 offen offset:4
	ds_read_b64 v[110:111], v104
	v_add_u32_e32 v106, 1, v106
	v_cmp_lt_u32_e32 vcc, 36, v106
	v_add_u32_e32 v104, 8, v104
	v_add_u32_e32 v105, 8, v105
	s_or_b64 s[10:11], vcc, s[10:11]
	s_waitcnt vmcnt(0) lgkmcnt(0)
	v_fmac_f64_e32 v[100:101], v[108:109], v[110:111]
	s_andn2_b64 exec, exec, s[10:11]
	s_cbranch_execnz .LBB112_847
; %bb.848:
	s_or_b64 exec, exec, s[10:11]
.LBB112_849:
	s_or_b64 exec, exec, s[8:9]
	v_mov_b32_e32 v104, 0
	ds_read_b64 v[104:105], v104 offset:304
	s_waitcnt lgkmcnt(0)
	v_mul_f64 v[100:101], v[100:101], v[104:105]
	buffer_store_dword v101, off, s[0:3], 0 offset:308
	buffer_store_dword v100, off, s[0:3], 0 offset:304
.LBB112_850:
	s_or_b64 exec, exec, s[6:7]
	buffer_load_dword v100, off, s[0:3], 0 offset:312
	buffer_load_dword v101, off, s[0:3], 0 offset:316
	v_cmp_gt_u32_e32 vcc, 39, v0
	s_waitcnt vmcnt(0)
	ds_write_b64 v102, v[100:101]
	s_waitcnt lgkmcnt(0)
	; wave barrier
	s_waitcnt lgkmcnt(0)
	s_and_saveexec_b64 s[6:7], vcc
	s_cbranch_execz .LBB112_860
; %bb.851:
	s_and_b64 vcc, exec, s[4:5]
	s_cbranch_vccnz .LBB112_853
; %bb.852:
	buffer_load_dword v100, v103, s[0:3], 0 offen
	buffer_load_dword v101, v103, s[0:3], 0 offen offset:4
	ds_read_b64 v[104:105], v102
	s_waitcnt vmcnt(0) lgkmcnt(0)
	v_mul_f64 v[100:101], v[100:101], v[104:105]
	s_cbranch_execz .LBB112_854
	s_branch .LBB112_855
.LBB112_853:
                                        ; implicit-def: $vgpr100_vgpr101
.LBB112_854:
	ds_read_b64 v[100:101], v102
.LBB112_855:
	v_cmp_ne_u32_e32 vcc, 38, v0
	s_and_saveexec_b64 s[8:9], vcc
	s_cbranch_execz .LBB112_859
; %bb.856:
	v_mov_b32_e32 v105, 0
	v_add_u32_e32 v104, 0x198, v1
	v_add3_u32 v105, v1, v105, 8
	s_mov_b64 s[10:11], 0
	v_mov_b32_e32 v106, v0
.LBB112_857:                            ; =>This Inner Loop Header: Depth=1
	buffer_load_dword v108, v105, s[0:3], 0 offen
	buffer_load_dword v109, v105, s[0:3], 0 offen offset:4
	ds_read_b64 v[110:111], v104
	v_add_u32_e32 v106, 1, v106
	v_cmp_lt_u32_e32 vcc, 37, v106
	v_add_u32_e32 v104, 8, v104
	v_add_u32_e32 v105, 8, v105
	s_or_b64 s[10:11], vcc, s[10:11]
	s_waitcnt vmcnt(0) lgkmcnt(0)
	v_fmac_f64_e32 v[100:101], v[108:109], v[110:111]
	s_andn2_b64 exec, exec, s[10:11]
	s_cbranch_execnz .LBB112_857
; %bb.858:
	s_or_b64 exec, exec, s[10:11]
.LBB112_859:
	s_or_b64 exec, exec, s[8:9]
	v_mov_b32_e32 v104, 0
	ds_read_b64 v[104:105], v104 offset:312
	s_waitcnt lgkmcnt(0)
	v_mul_f64 v[100:101], v[100:101], v[104:105]
	buffer_store_dword v101, off, s[0:3], 0 offset:316
	buffer_store_dword v100, off, s[0:3], 0 offset:312
.LBB112_860:
	s_or_b64 exec, exec, s[6:7]
	buffer_load_dword v100, off, s[0:3], 0 offset:320
	buffer_load_dword v101, off, s[0:3], 0 offset:324
	v_cmp_gt_u32_e32 vcc, 40, v0
	s_waitcnt vmcnt(0)
	ds_write_b64 v102, v[100:101]
	s_waitcnt lgkmcnt(0)
	; wave barrier
	s_waitcnt lgkmcnt(0)
	s_and_saveexec_b64 s[6:7], vcc
	s_cbranch_execz .LBB112_870
; %bb.861:
	s_and_b64 vcc, exec, s[4:5]
	s_cbranch_vccnz .LBB112_863
; %bb.862:
	buffer_load_dword v100, v103, s[0:3], 0 offen
	buffer_load_dword v101, v103, s[0:3], 0 offen offset:4
	ds_read_b64 v[104:105], v102
	s_waitcnt vmcnt(0) lgkmcnt(0)
	v_mul_f64 v[100:101], v[100:101], v[104:105]
	s_cbranch_execz .LBB112_864
	s_branch .LBB112_865
.LBB112_863:
                                        ; implicit-def: $vgpr100_vgpr101
.LBB112_864:
	ds_read_b64 v[100:101], v102
.LBB112_865:
	v_cmp_ne_u32_e32 vcc, 39, v0
	s_and_saveexec_b64 s[8:9], vcc
	s_cbranch_execz .LBB112_869
; %bb.866:
	v_mov_b32_e32 v105, 0
	v_add_u32_e32 v104, 0x198, v1
	v_add3_u32 v105, v1, v105, 8
	s_mov_b64 s[10:11], 0
	v_mov_b32_e32 v106, v0
.LBB112_867:                            ; =>This Inner Loop Header: Depth=1
	buffer_load_dword v108, v105, s[0:3], 0 offen
	buffer_load_dword v109, v105, s[0:3], 0 offen offset:4
	ds_read_b64 v[110:111], v104
	v_add_u32_e32 v106, 1, v106
	v_cmp_lt_u32_e32 vcc, 38, v106
	v_add_u32_e32 v104, 8, v104
	v_add_u32_e32 v105, 8, v105
	s_or_b64 s[10:11], vcc, s[10:11]
	s_waitcnt vmcnt(0) lgkmcnt(0)
	v_fmac_f64_e32 v[100:101], v[108:109], v[110:111]
	s_andn2_b64 exec, exec, s[10:11]
	s_cbranch_execnz .LBB112_867
; %bb.868:
	s_or_b64 exec, exec, s[10:11]
.LBB112_869:
	s_or_b64 exec, exec, s[8:9]
	v_mov_b32_e32 v104, 0
	ds_read_b64 v[104:105], v104 offset:320
	s_waitcnt lgkmcnt(0)
	v_mul_f64 v[100:101], v[100:101], v[104:105]
	buffer_store_dword v101, off, s[0:3], 0 offset:324
	buffer_store_dword v100, off, s[0:3], 0 offset:320
.LBB112_870:
	s_or_b64 exec, exec, s[6:7]
	buffer_load_dword v100, off, s[0:3], 0 offset:328
	buffer_load_dword v101, off, s[0:3], 0 offset:332
	v_cmp_gt_u32_e32 vcc, 41, v0
	s_waitcnt vmcnt(0)
	ds_write_b64 v102, v[100:101]
	s_waitcnt lgkmcnt(0)
	; wave barrier
	s_waitcnt lgkmcnt(0)
	s_and_saveexec_b64 s[6:7], vcc
	s_cbranch_execz .LBB112_880
; %bb.871:
	s_and_b64 vcc, exec, s[4:5]
	s_cbranch_vccnz .LBB112_873
; %bb.872:
	buffer_load_dword v100, v103, s[0:3], 0 offen
	buffer_load_dword v101, v103, s[0:3], 0 offen offset:4
	ds_read_b64 v[104:105], v102
	s_waitcnt vmcnt(0) lgkmcnt(0)
	v_mul_f64 v[100:101], v[100:101], v[104:105]
	s_cbranch_execz .LBB112_874
	s_branch .LBB112_875
.LBB112_873:
                                        ; implicit-def: $vgpr100_vgpr101
.LBB112_874:
	ds_read_b64 v[100:101], v102
.LBB112_875:
	v_cmp_ne_u32_e32 vcc, 40, v0
	s_and_saveexec_b64 s[8:9], vcc
	s_cbranch_execz .LBB112_879
; %bb.876:
	v_mov_b32_e32 v105, 0
	v_add_u32_e32 v104, 0x198, v1
	v_add3_u32 v105, v1, v105, 8
	s_mov_b64 s[10:11], 0
	v_mov_b32_e32 v106, v0
.LBB112_877:                            ; =>This Inner Loop Header: Depth=1
	buffer_load_dword v108, v105, s[0:3], 0 offen
	buffer_load_dword v109, v105, s[0:3], 0 offen offset:4
	ds_read_b64 v[110:111], v104
	v_add_u32_e32 v106, 1, v106
	v_cmp_lt_u32_e32 vcc, 39, v106
	v_add_u32_e32 v104, 8, v104
	v_add_u32_e32 v105, 8, v105
	s_or_b64 s[10:11], vcc, s[10:11]
	s_waitcnt vmcnt(0) lgkmcnt(0)
	v_fmac_f64_e32 v[100:101], v[108:109], v[110:111]
	s_andn2_b64 exec, exec, s[10:11]
	s_cbranch_execnz .LBB112_877
; %bb.878:
	s_or_b64 exec, exec, s[10:11]
.LBB112_879:
	s_or_b64 exec, exec, s[8:9]
	v_mov_b32_e32 v104, 0
	ds_read_b64 v[104:105], v104 offset:328
	s_waitcnt lgkmcnt(0)
	v_mul_f64 v[100:101], v[100:101], v[104:105]
	buffer_store_dword v101, off, s[0:3], 0 offset:332
	buffer_store_dword v100, off, s[0:3], 0 offset:328
.LBB112_880:
	s_or_b64 exec, exec, s[6:7]
	buffer_load_dword v100, off, s[0:3], 0 offset:336
	buffer_load_dword v101, off, s[0:3], 0 offset:340
	v_cmp_gt_u32_e32 vcc, 42, v0
	s_waitcnt vmcnt(0)
	ds_write_b64 v102, v[100:101]
	s_waitcnt lgkmcnt(0)
	; wave barrier
	s_waitcnt lgkmcnt(0)
	s_and_saveexec_b64 s[6:7], vcc
	s_cbranch_execz .LBB112_890
; %bb.881:
	s_and_b64 vcc, exec, s[4:5]
	s_cbranch_vccnz .LBB112_883
; %bb.882:
	buffer_load_dword v100, v103, s[0:3], 0 offen
	buffer_load_dword v101, v103, s[0:3], 0 offen offset:4
	ds_read_b64 v[104:105], v102
	s_waitcnt vmcnt(0) lgkmcnt(0)
	v_mul_f64 v[100:101], v[100:101], v[104:105]
	s_cbranch_execz .LBB112_884
	s_branch .LBB112_885
.LBB112_883:
                                        ; implicit-def: $vgpr100_vgpr101
.LBB112_884:
	ds_read_b64 v[100:101], v102
.LBB112_885:
	v_cmp_ne_u32_e32 vcc, 41, v0
	s_and_saveexec_b64 s[8:9], vcc
	s_cbranch_execz .LBB112_889
; %bb.886:
	v_mov_b32_e32 v105, 0
	v_add_u32_e32 v104, 0x198, v1
	v_add3_u32 v105, v1, v105, 8
	s_mov_b64 s[10:11], 0
	v_mov_b32_e32 v106, v0
.LBB112_887:                            ; =>This Inner Loop Header: Depth=1
	buffer_load_dword v108, v105, s[0:3], 0 offen
	buffer_load_dword v109, v105, s[0:3], 0 offen offset:4
	ds_read_b64 v[110:111], v104
	v_add_u32_e32 v106, 1, v106
	v_cmp_lt_u32_e32 vcc, 40, v106
	v_add_u32_e32 v104, 8, v104
	v_add_u32_e32 v105, 8, v105
	s_or_b64 s[10:11], vcc, s[10:11]
	s_waitcnt vmcnt(0) lgkmcnt(0)
	v_fmac_f64_e32 v[100:101], v[108:109], v[110:111]
	s_andn2_b64 exec, exec, s[10:11]
	s_cbranch_execnz .LBB112_887
; %bb.888:
	s_or_b64 exec, exec, s[10:11]
.LBB112_889:
	s_or_b64 exec, exec, s[8:9]
	v_mov_b32_e32 v104, 0
	ds_read_b64 v[104:105], v104 offset:336
	s_waitcnt lgkmcnt(0)
	v_mul_f64 v[100:101], v[100:101], v[104:105]
	buffer_store_dword v101, off, s[0:3], 0 offset:340
	buffer_store_dword v100, off, s[0:3], 0 offset:336
.LBB112_890:
	s_or_b64 exec, exec, s[6:7]
	buffer_load_dword v100, off, s[0:3], 0 offset:344
	buffer_load_dword v101, off, s[0:3], 0 offset:348
	v_cmp_gt_u32_e32 vcc, 43, v0
	s_waitcnt vmcnt(0)
	ds_write_b64 v102, v[100:101]
	s_waitcnt lgkmcnt(0)
	; wave barrier
	s_waitcnt lgkmcnt(0)
	s_and_saveexec_b64 s[6:7], vcc
	s_cbranch_execz .LBB112_900
; %bb.891:
	s_and_b64 vcc, exec, s[4:5]
	s_cbranch_vccnz .LBB112_893
; %bb.892:
	buffer_load_dword v100, v103, s[0:3], 0 offen
	buffer_load_dword v101, v103, s[0:3], 0 offen offset:4
	ds_read_b64 v[104:105], v102
	s_waitcnt vmcnt(0) lgkmcnt(0)
	v_mul_f64 v[100:101], v[100:101], v[104:105]
	s_cbranch_execz .LBB112_894
	s_branch .LBB112_895
.LBB112_893:
                                        ; implicit-def: $vgpr100_vgpr101
.LBB112_894:
	ds_read_b64 v[100:101], v102
.LBB112_895:
	v_cmp_ne_u32_e32 vcc, 42, v0
	s_and_saveexec_b64 s[8:9], vcc
	s_cbranch_execz .LBB112_899
; %bb.896:
	v_mov_b32_e32 v105, 0
	v_add_u32_e32 v104, 0x198, v1
	v_add3_u32 v105, v1, v105, 8
	s_mov_b64 s[10:11], 0
	v_mov_b32_e32 v106, v0
.LBB112_897:                            ; =>This Inner Loop Header: Depth=1
	buffer_load_dword v108, v105, s[0:3], 0 offen
	buffer_load_dword v109, v105, s[0:3], 0 offen offset:4
	ds_read_b64 v[110:111], v104
	v_add_u32_e32 v106, 1, v106
	v_cmp_lt_u32_e32 vcc, 41, v106
	v_add_u32_e32 v104, 8, v104
	v_add_u32_e32 v105, 8, v105
	s_or_b64 s[10:11], vcc, s[10:11]
	s_waitcnt vmcnt(0) lgkmcnt(0)
	v_fmac_f64_e32 v[100:101], v[108:109], v[110:111]
	s_andn2_b64 exec, exec, s[10:11]
	s_cbranch_execnz .LBB112_897
; %bb.898:
	s_or_b64 exec, exec, s[10:11]
.LBB112_899:
	s_or_b64 exec, exec, s[8:9]
	v_mov_b32_e32 v104, 0
	ds_read_b64 v[104:105], v104 offset:344
	s_waitcnt lgkmcnt(0)
	v_mul_f64 v[100:101], v[100:101], v[104:105]
	buffer_store_dword v101, off, s[0:3], 0 offset:348
	buffer_store_dword v100, off, s[0:3], 0 offset:344
.LBB112_900:
	s_or_b64 exec, exec, s[6:7]
	buffer_load_dword v100, off, s[0:3], 0 offset:352
	buffer_load_dword v101, off, s[0:3], 0 offset:356
	v_cmp_gt_u32_e32 vcc, 44, v0
	s_waitcnt vmcnt(0)
	ds_write_b64 v102, v[100:101]
	s_waitcnt lgkmcnt(0)
	; wave barrier
	s_waitcnt lgkmcnt(0)
	s_and_saveexec_b64 s[6:7], vcc
	s_cbranch_execz .LBB112_910
; %bb.901:
	s_and_b64 vcc, exec, s[4:5]
	s_cbranch_vccnz .LBB112_903
; %bb.902:
	buffer_load_dword v100, v103, s[0:3], 0 offen
	buffer_load_dword v101, v103, s[0:3], 0 offen offset:4
	ds_read_b64 v[104:105], v102
	s_waitcnt vmcnt(0) lgkmcnt(0)
	v_mul_f64 v[100:101], v[100:101], v[104:105]
	s_cbranch_execz .LBB112_904
	s_branch .LBB112_905
.LBB112_903:
                                        ; implicit-def: $vgpr100_vgpr101
.LBB112_904:
	ds_read_b64 v[100:101], v102
.LBB112_905:
	v_cmp_ne_u32_e32 vcc, 43, v0
	s_and_saveexec_b64 s[8:9], vcc
	s_cbranch_execz .LBB112_909
; %bb.906:
	v_mov_b32_e32 v105, 0
	v_add_u32_e32 v104, 0x198, v1
	v_add3_u32 v105, v1, v105, 8
	s_mov_b64 s[10:11], 0
	v_mov_b32_e32 v106, v0
.LBB112_907:                            ; =>This Inner Loop Header: Depth=1
	buffer_load_dword v108, v105, s[0:3], 0 offen
	buffer_load_dword v109, v105, s[0:3], 0 offen offset:4
	ds_read_b64 v[110:111], v104
	v_add_u32_e32 v106, 1, v106
	v_cmp_lt_u32_e32 vcc, 42, v106
	v_add_u32_e32 v104, 8, v104
	v_add_u32_e32 v105, 8, v105
	s_or_b64 s[10:11], vcc, s[10:11]
	s_waitcnt vmcnt(0) lgkmcnt(0)
	v_fmac_f64_e32 v[100:101], v[108:109], v[110:111]
	s_andn2_b64 exec, exec, s[10:11]
	s_cbranch_execnz .LBB112_907
; %bb.908:
	s_or_b64 exec, exec, s[10:11]
.LBB112_909:
	s_or_b64 exec, exec, s[8:9]
	v_mov_b32_e32 v104, 0
	ds_read_b64 v[104:105], v104 offset:352
	s_waitcnt lgkmcnt(0)
	v_mul_f64 v[100:101], v[100:101], v[104:105]
	buffer_store_dword v101, off, s[0:3], 0 offset:356
	buffer_store_dword v100, off, s[0:3], 0 offset:352
.LBB112_910:
	s_or_b64 exec, exec, s[6:7]
	buffer_load_dword v100, off, s[0:3], 0 offset:360
	buffer_load_dword v101, off, s[0:3], 0 offset:364
	v_cmp_gt_u32_e32 vcc, 45, v0
	s_waitcnt vmcnt(0)
	ds_write_b64 v102, v[100:101]
	s_waitcnt lgkmcnt(0)
	; wave barrier
	s_waitcnt lgkmcnt(0)
	s_and_saveexec_b64 s[6:7], vcc
	s_cbranch_execz .LBB112_920
; %bb.911:
	s_and_b64 vcc, exec, s[4:5]
	s_cbranch_vccnz .LBB112_913
; %bb.912:
	buffer_load_dword v100, v103, s[0:3], 0 offen
	buffer_load_dword v101, v103, s[0:3], 0 offen offset:4
	ds_read_b64 v[104:105], v102
	s_waitcnt vmcnt(0) lgkmcnt(0)
	v_mul_f64 v[100:101], v[100:101], v[104:105]
	s_cbranch_execz .LBB112_914
	s_branch .LBB112_915
.LBB112_913:
                                        ; implicit-def: $vgpr100_vgpr101
.LBB112_914:
	ds_read_b64 v[100:101], v102
.LBB112_915:
	v_cmp_ne_u32_e32 vcc, 44, v0
	s_and_saveexec_b64 s[8:9], vcc
	s_cbranch_execz .LBB112_919
; %bb.916:
	v_mov_b32_e32 v105, 0
	v_add_u32_e32 v104, 0x198, v1
	v_add3_u32 v105, v1, v105, 8
	s_mov_b64 s[10:11], 0
	v_mov_b32_e32 v106, v0
.LBB112_917:                            ; =>This Inner Loop Header: Depth=1
	buffer_load_dword v108, v105, s[0:3], 0 offen
	buffer_load_dword v109, v105, s[0:3], 0 offen offset:4
	ds_read_b64 v[110:111], v104
	v_add_u32_e32 v106, 1, v106
	v_cmp_lt_u32_e32 vcc, 43, v106
	v_add_u32_e32 v104, 8, v104
	v_add_u32_e32 v105, 8, v105
	s_or_b64 s[10:11], vcc, s[10:11]
	s_waitcnt vmcnt(0) lgkmcnt(0)
	v_fmac_f64_e32 v[100:101], v[108:109], v[110:111]
	s_andn2_b64 exec, exec, s[10:11]
	s_cbranch_execnz .LBB112_917
; %bb.918:
	s_or_b64 exec, exec, s[10:11]
.LBB112_919:
	s_or_b64 exec, exec, s[8:9]
	v_mov_b32_e32 v104, 0
	ds_read_b64 v[104:105], v104 offset:360
	s_waitcnt lgkmcnt(0)
	v_mul_f64 v[100:101], v[100:101], v[104:105]
	buffer_store_dword v101, off, s[0:3], 0 offset:364
	buffer_store_dword v100, off, s[0:3], 0 offset:360
.LBB112_920:
	s_or_b64 exec, exec, s[6:7]
	buffer_load_dword v100, off, s[0:3], 0 offset:368
	buffer_load_dword v101, off, s[0:3], 0 offset:372
	v_cmp_gt_u32_e32 vcc, 46, v0
	s_waitcnt vmcnt(0)
	ds_write_b64 v102, v[100:101]
	s_waitcnt lgkmcnt(0)
	; wave barrier
	s_waitcnt lgkmcnt(0)
	s_and_saveexec_b64 s[6:7], vcc
	s_cbranch_execz .LBB112_930
; %bb.921:
	s_and_b64 vcc, exec, s[4:5]
	s_cbranch_vccnz .LBB112_923
; %bb.922:
	buffer_load_dword v100, v103, s[0:3], 0 offen
	buffer_load_dword v101, v103, s[0:3], 0 offen offset:4
	ds_read_b64 v[104:105], v102
	s_waitcnt vmcnt(0) lgkmcnt(0)
	v_mul_f64 v[100:101], v[100:101], v[104:105]
	s_cbranch_execz .LBB112_924
	s_branch .LBB112_925
.LBB112_923:
                                        ; implicit-def: $vgpr100_vgpr101
.LBB112_924:
	ds_read_b64 v[100:101], v102
.LBB112_925:
	v_cmp_ne_u32_e32 vcc, 45, v0
	s_and_saveexec_b64 s[8:9], vcc
	s_cbranch_execz .LBB112_929
; %bb.926:
	v_mov_b32_e32 v105, 0
	v_add_u32_e32 v104, 0x198, v1
	v_add3_u32 v105, v1, v105, 8
	s_mov_b64 s[10:11], 0
	v_mov_b32_e32 v106, v0
.LBB112_927:                            ; =>This Inner Loop Header: Depth=1
	buffer_load_dword v108, v105, s[0:3], 0 offen
	buffer_load_dword v109, v105, s[0:3], 0 offen offset:4
	ds_read_b64 v[110:111], v104
	v_add_u32_e32 v106, 1, v106
	v_cmp_lt_u32_e32 vcc, 44, v106
	v_add_u32_e32 v104, 8, v104
	v_add_u32_e32 v105, 8, v105
	s_or_b64 s[10:11], vcc, s[10:11]
	s_waitcnt vmcnt(0) lgkmcnt(0)
	v_fmac_f64_e32 v[100:101], v[108:109], v[110:111]
	s_andn2_b64 exec, exec, s[10:11]
	s_cbranch_execnz .LBB112_927
; %bb.928:
	s_or_b64 exec, exec, s[10:11]
.LBB112_929:
	s_or_b64 exec, exec, s[8:9]
	v_mov_b32_e32 v104, 0
	ds_read_b64 v[104:105], v104 offset:368
	s_waitcnt lgkmcnt(0)
	v_mul_f64 v[100:101], v[100:101], v[104:105]
	buffer_store_dword v101, off, s[0:3], 0 offset:372
	buffer_store_dword v100, off, s[0:3], 0 offset:368
.LBB112_930:
	s_or_b64 exec, exec, s[6:7]
	buffer_load_dword v100, off, s[0:3], 0 offset:376
	buffer_load_dword v101, off, s[0:3], 0 offset:380
	v_cmp_gt_u32_e64 s[6:7], 47, v0
	s_waitcnt vmcnt(0)
	ds_write_b64 v102, v[100:101]
	s_waitcnt lgkmcnt(0)
	; wave barrier
	s_waitcnt lgkmcnt(0)
	s_and_saveexec_b64 s[8:9], s[6:7]
	s_cbranch_execz .LBB112_940
; %bb.931:
	s_and_b64 vcc, exec, s[4:5]
	s_cbranch_vccnz .LBB112_933
; %bb.932:
	buffer_load_dword v100, v103, s[0:3], 0 offen
	buffer_load_dword v101, v103, s[0:3], 0 offen offset:4
	ds_read_b64 v[104:105], v102
	s_waitcnt vmcnt(0) lgkmcnt(0)
	v_mul_f64 v[100:101], v[100:101], v[104:105]
	s_cbranch_execz .LBB112_934
	s_branch .LBB112_935
.LBB112_933:
                                        ; implicit-def: $vgpr100_vgpr101
.LBB112_934:
	ds_read_b64 v[100:101], v102
.LBB112_935:
	v_cmp_ne_u32_e32 vcc, 46, v0
	s_and_saveexec_b64 s[10:11], vcc
	s_cbranch_execz .LBB112_939
; %bb.936:
	v_mov_b32_e32 v105, 0
	v_add_u32_e32 v104, 0x198, v1
	v_add3_u32 v105, v1, v105, 8
	s_mov_b64 s[12:13], 0
	v_mov_b32_e32 v106, v0
.LBB112_937:                            ; =>This Inner Loop Header: Depth=1
	buffer_load_dword v108, v105, s[0:3], 0 offen
	buffer_load_dword v109, v105, s[0:3], 0 offen offset:4
	ds_read_b64 v[110:111], v104
	v_add_u32_e32 v106, 1, v106
	v_cmp_lt_u32_e32 vcc, 45, v106
	v_add_u32_e32 v104, 8, v104
	v_add_u32_e32 v105, 8, v105
	s_or_b64 s[12:13], vcc, s[12:13]
	s_waitcnt vmcnt(0) lgkmcnt(0)
	v_fmac_f64_e32 v[100:101], v[108:109], v[110:111]
	s_andn2_b64 exec, exec, s[12:13]
	s_cbranch_execnz .LBB112_937
; %bb.938:
	s_or_b64 exec, exec, s[12:13]
.LBB112_939:
	s_or_b64 exec, exec, s[10:11]
	v_mov_b32_e32 v104, 0
	ds_read_b64 v[104:105], v104 offset:376
	s_waitcnt lgkmcnt(0)
	v_mul_f64 v[100:101], v[100:101], v[104:105]
	buffer_store_dword v101, off, s[0:3], 0 offset:380
	buffer_store_dword v100, off, s[0:3], 0 offset:376
.LBB112_940:
	s_or_b64 exec, exec, s[8:9]
	buffer_load_dword v100, off, s[0:3], 0 offset:384
	buffer_load_dword v101, off, s[0:3], 0 offset:388
	v_cmp_ne_u32_e32 vcc, 48, v0
	s_waitcnt vmcnt(0)
	ds_write_b64 v102, v[100:101]
	s_waitcnt lgkmcnt(0)
	; wave barrier
	s_waitcnt lgkmcnt(0)
	s_and_saveexec_b64 s[8:9], vcc
	s_cbranch_execz .LBB112_950
; %bb.941:
	s_and_b64 vcc, exec, s[4:5]
	s_cbranch_vccnz .LBB112_943
; %bb.942:
	buffer_load_dword v100, v103, s[0:3], 0 offen
	buffer_load_dword v101, v103, s[0:3], 0 offen offset:4
	ds_read_b64 v[104:105], v102
	s_waitcnt vmcnt(0) lgkmcnt(0)
	v_mul_f64 v[100:101], v[100:101], v[104:105]
	s_cbranch_execz .LBB112_944
	s_branch .LBB112_945
.LBB112_943:
                                        ; implicit-def: $vgpr100_vgpr101
.LBB112_944:
	ds_read_b64 v[100:101], v102
.LBB112_945:
	s_and_saveexec_b64 s[4:5], s[6:7]
	s_cbranch_execz .LBB112_949
; %bb.946:
	v_mov_b32_e32 v103, 0
	v_add_u32_e32 v102, 0x198, v1
	v_add3_u32 v1, v1, v103, 8
	s_mov_b64 s[6:7], 0
.LBB112_947:                            ; =>This Inner Loop Header: Depth=1
	buffer_load_dword v104, v1, s[0:3], 0 offen
	buffer_load_dword v105, v1, s[0:3], 0 offen offset:4
	ds_read_b64 v[106:107], v102
	v_add_u32_e32 v0, 1, v0
	v_cmp_lt_u32_e32 vcc, 46, v0
	v_add_u32_e32 v102, 8, v102
	v_add_u32_e32 v1, 8, v1
	s_or_b64 s[6:7], vcc, s[6:7]
	s_waitcnt vmcnt(0) lgkmcnt(0)
	v_fmac_f64_e32 v[100:101], v[104:105], v[106:107]
	s_andn2_b64 exec, exec, s[6:7]
	s_cbranch_execnz .LBB112_947
; %bb.948:
	s_or_b64 exec, exec, s[6:7]
.LBB112_949:
	s_or_b64 exec, exec, s[4:5]
	v_mov_b32_e32 v0, 0
	ds_read_b64 v[0:1], v0 offset:384
	s_waitcnt lgkmcnt(0)
	v_mul_f64 v[0:1], v[100:101], v[0:1]
	buffer_store_dword v1, off, s[0:3], 0 offset:388
	buffer_store_dword v0, off, s[0:3], 0 offset:384
.LBB112_950:
	s_or_b64 exec, exec, s[8:9]
.LBB112_951:
	buffer_load_dword v0, off, s[0:3], 0
	buffer_load_dword v1, off, s[0:3], 0 offset:4
	buffer_load_dword v100, off, s[0:3], 0 offset:8
	;; [unrolled: 1-line block ×15, first 2 shown]
	s_waitcnt vmcnt(14)
	global_store_dwordx2 v[96:97], v[0:1], off
	s_waitcnt vmcnt(13)
	global_store_dwordx2 v[98:99], v[100:101], off
	;; [unrolled: 2-line block ×8, first 2 shown]
	buffer_load_dword v1, off, s[0:3], 0 offset:68
	buffer_load_dword v0, off, s[0:3], 0 offset:64
	s_waitcnt vmcnt(0)
	global_store_dwordx2 v[20:21], v[0:1], off
	buffer_load_dword v0, off, s[0:3], 0 offset:72
	s_nop 0
	buffer_load_dword v1, off, s[0:3], 0 offset:76
	s_waitcnt vmcnt(0)
	global_store_dwordx2 v[12:13], v[0:1], off
	buffer_load_dword v0, off, s[0:3], 0 offset:80
	s_nop 0
	;; [unrolled: 5-line block ×40, first 2 shown]
	buffer_load_dword v1, off, s[0:3], 0 offset:388
	s_waitcnt vmcnt(0)
	global_store_dwordx2 v[80:81], v[0:1], off
.LBB112_952:
	s_endpgm
	.section	.rodata,"a",@progbits
	.p2align	6, 0x0
	.amdhsa_kernel _ZN9rocsolver6v33100L18trti2_kernel_smallILi49EdPKPdEEv13rocblas_fill_17rocblas_diagonal_T1_iil
		.amdhsa_group_segment_fixed_size 792
		.amdhsa_private_segment_fixed_size 400
		.amdhsa_kernarg_size 32
		.amdhsa_user_sgpr_count 8
		.amdhsa_user_sgpr_private_segment_buffer 1
		.amdhsa_user_sgpr_dispatch_ptr 0
		.amdhsa_user_sgpr_queue_ptr 0
		.amdhsa_user_sgpr_kernarg_segment_ptr 1
		.amdhsa_user_sgpr_dispatch_id 0
		.amdhsa_user_sgpr_flat_scratch_init 1
		.amdhsa_user_sgpr_kernarg_preload_length 0
		.amdhsa_user_sgpr_kernarg_preload_offset 0
		.amdhsa_user_sgpr_private_segment_size 0
		.amdhsa_uses_dynamic_stack 0
		.amdhsa_system_sgpr_private_segment_wavefront_offset 1
		.amdhsa_system_sgpr_workgroup_id_x 1
		.amdhsa_system_sgpr_workgroup_id_y 0
		.amdhsa_system_sgpr_workgroup_id_z 0
		.amdhsa_system_sgpr_workgroup_info 0
		.amdhsa_system_vgpr_workitem_id 0
		.amdhsa_next_free_vgpr 164
		.amdhsa_next_free_sgpr 16
		.amdhsa_accum_offset 164
		.amdhsa_reserve_vcc 1
		.amdhsa_reserve_flat_scratch 0
		.amdhsa_float_round_mode_32 0
		.amdhsa_float_round_mode_16_64 0
		.amdhsa_float_denorm_mode_32 3
		.amdhsa_float_denorm_mode_16_64 3
		.amdhsa_dx10_clamp 1
		.amdhsa_ieee_mode 1
		.amdhsa_fp16_overflow 0
		.amdhsa_tg_split 0
		.amdhsa_exception_fp_ieee_invalid_op 0
		.amdhsa_exception_fp_denorm_src 0
		.amdhsa_exception_fp_ieee_div_zero 0
		.amdhsa_exception_fp_ieee_overflow 0
		.amdhsa_exception_fp_ieee_underflow 0
		.amdhsa_exception_fp_ieee_inexact 0
		.amdhsa_exception_int_div_zero 0
	.end_amdhsa_kernel
	.section	.text._ZN9rocsolver6v33100L18trti2_kernel_smallILi49EdPKPdEEv13rocblas_fill_17rocblas_diagonal_T1_iil,"axG",@progbits,_ZN9rocsolver6v33100L18trti2_kernel_smallILi49EdPKPdEEv13rocblas_fill_17rocblas_diagonal_T1_iil,comdat
.Lfunc_end112:
	.size	_ZN9rocsolver6v33100L18trti2_kernel_smallILi49EdPKPdEEv13rocblas_fill_17rocblas_diagonal_T1_iil, .Lfunc_end112-_ZN9rocsolver6v33100L18trti2_kernel_smallILi49EdPKPdEEv13rocblas_fill_17rocblas_diagonal_T1_iil
                                        ; -- End function
	.section	.AMDGPU.csdata,"",@progbits
; Kernel info:
; codeLenInByte = 28748
; NumSgprs: 20
; NumVgprs: 164
; NumAgprs: 0
; TotalNumVgprs: 164
; ScratchSize: 400
; MemoryBound: 0
; FloatMode: 240
; IeeeMode: 1
; LDSByteSize: 792 bytes/workgroup (compile time only)
; SGPRBlocks: 2
; VGPRBlocks: 20
; NumSGPRsForWavesPerEU: 20
; NumVGPRsForWavesPerEU: 164
; AccumOffset: 164
; Occupancy: 3
; WaveLimiterHint : 1
; COMPUTE_PGM_RSRC2:SCRATCH_EN: 1
; COMPUTE_PGM_RSRC2:USER_SGPR: 8
; COMPUTE_PGM_RSRC2:TRAP_HANDLER: 0
; COMPUTE_PGM_RSRC2:TGID_X_EN: 1
; COMPUTE_PGM_RSRC2:TGID_Y_EN: 0
; COMPUTE_PGM_RSRC2:TGID_Z_EN: 0
; COMPUTE_PGM_RSRC2:TIDIG_COMP_CNT: 0
; COMPUTE_PGM_RSRC3_GFX90A:ACCUM_OFFSET: 40
; COMPUTE_PGM_RSRC3_GFX90A:TG_SPLIT: 0
	.section	.text._ZN9rocsolver6v33100L18trti2_kernel_smallILi50EdPKPdEEv13rocblas_fill_17rocblas_diagonal_T1_iil,"axG",@progbits,_ZN9rocsolver6v33100L18trti2_kernel_smallILi50EdPKPdEEv13rocblas_fill_17rocblas_diagonal_T1_iil,comdat
	.globl	_ZN9rocsolver6v33100L18trti2_kernel_smallILi50EdPKPdEEv13rocblas_fill_17rocblas_diagonal_T1_iil ; -- Begin function _ZN9rocsolver6v33100L18trti2_kernel_smallILi50EdPKPdEEv13rocblas_fill_17rocblas_diagonal_T1_iil
	.p2align	8
	.type	_ZN9rocsolver6v33100L18trti2_kernel_smallILi50EdPKPdEEv13rocblas_fill_17rocblas_diagonal_T1_iil,@function
_ZN9rocsolver6v33100L18trti2_kernel_smallILi50EdPKPdEEv13rocblas_fill_17rocblas_diagonal_T1_iil: ; @_ZN9rocsolver6v33100L18trti2_kernel_smallILi50EdPKPdEEv13rocblas_fill_17rocblas_diagonal_T1_iil
; %bb.0:
	s_add_u32 s0, s0, s9
	s_addc_u32 s1, s1, 0
	v_cmp_gt_u32_e32 vcc, 50, v0
	s_and_saveexec_b64 s[6:7], vcc
	s_cbranch_execz .LBB113_972
; %bb.1:
	s_load_dwordx2 s[6:7], s[4:5], 0x10
	s_load_dwordx4 s[12:15], s[4:5], 0x0
	s_ashr_i32 s9, s8, 31
	s_lshl_b64 s[4:5], s[8:9], 3
	s_waitcnt lgkmcnt(0)
	s_ashr_i32 s9, s6, 31
	s_add_u32 s4, s14, s4
	s_addc_u32 s5, s15, s5
	s_load_dwordx2 s[4:5], s[4:5], 0x0
	s_mov_b32 s8, s6
	s_lshl_b64 s[8:9], s[8:9], 3
	s_waitcnt lgkmcnt(0)
	s_add_u32 s4, s4, s8
	s_addc_u32 s5, s5, s9
	s_add_i32 s6, s7, s7
	v_add_u32_e32 v4, s6, v0
	v_ashrrev_i32_e32 v5, 31, v4
	v_lshlrev_b64 v[2:3], 3, v[4:5]
	v_add_u32_e32 v6, s7, v4
	v_mov_b32_e32 v1, s5
	v_add_co_u32_e32 v2, vcc, s4, v2
	v_ashrrev_i32_e32 v7, 31, v6
	v_addc_co_u32_e32 v3, vcc, v1, v3, vcc
	v_lshlrev_b64 v[4:5], 3, v[6:7]
	v_add_u32_e32 v8, s7, v6
	v_add_co_u32_e32 v4, vcc, s4, v4
	v_ashrrev_i32_e32 v9, 31, v8
	v_addc_co_u32_e32 v5, vcc, v1, v5, vcc
	v_lshlrev_b64 v[6:7], 3, v[8:9]
	v_add_u32_e32 v10, s7, v8
	;; [unrolled: 5-line block ×5, first 2 shown]
	v_add_co_u32_e32 v14, vcc, s4, v14
	v_ashrrev_i32_e32 v13, 31, v12
	v_addc_co_u32_e32 v15, vcc, v1, v15, vcc
	v_lshlrev_b64 v[16:17], 3, v[12:13]
	v_add_co_u32_e32 v20, vcc, s4, v16
	v_add_u32_e32 v16, s7, v12
	v_addc_co_u32_e32 v21, vcc, v1, v17, vcc
	v_ashrrev_i32_e32 v17, 31, v16
	v_lshlrev_b64 v[12:13], 3, v[16:17]
	v_add_u32_e32 v18, s7, v16
	v_add_co_u32_e32 v12, vcc, s4, v12
	v_ashrrev_i32_e32 v19, 31, v18
	v_addc_co_u32_e32 v13, vcc, v1, v13, vcc
	v_lshlrev_b64 v[16:17], 3, v[18:19]
	v_add_u32_e32 v22, s7, v18
	v_add_co_u32_e32 v16, vcc, s4, v16
	v_ashrrev_i32_e32 v23, 31, v22
	v_addc_co_u32_e32 v17, vcc, v1, v17, vcc
	;; [unrolled: 5-line block ×32, first 2 shown]
	v_lshlrev_b64 v[80:81], 3, v[82:83]
	v_add_co_u32_e32 v80, vcc, s4, v80
	v_add_u32_e32 v82, s7, v82
	v_addc_co_u32_e32 v81, vcc, v1, v81, vcc
	v_ashrrev_i32_e32 v83, 31, v82
	v_lshlrev_b32_e32 v1, 3, v0
	v_lshlrev_b64 v[84:85], 3, v[82:83]
	v_mov_b32_e32 v83, s5
	v_add_co_u32_e32 v98, vcc, s4, v1
	s_ashr_i32 s9, s7, 31
	s_mov_b32 s8, s7
	v_addc_co_u32_e32 v99, vcc, 0, v83, vcc
	s_lshl_b64 s[8:9], s[8:9], 3
	v_mov_b32_e32 v83, s9
	v_add_co_u32_e32 v100, vcc, s8, v98
	v_addc_co_u32_e32 v101, vcc, v99, v83, vcc
	global_load_dwordx2 v[102:103], v1, s[4:5]
	global_load_dwordx2 v[104:105], v[100:101], off
	global_load_dwordx2 v[106:107], v[2:3], off
	;; [unrolled: 1-line block ×18, first 2 shown]
	v_add_u32_e32 v82, s7, v82
	v_mov_b32_e32 v86, s5
	v_add_co_u32_e32 v84, vcc, s4, v84
	v_ashrrev_i32_e32 v83, 31, v82
	v_addc_co_u32_e32 v85, vcc, v86, v85, vcc
	v_lshlrev_b64 v[86:87], 3, v[82:83]
	v_add_u32_e32 v82, s7, v82
	v_mov_b32_e32 v88, s5
	v_add_co_u32_e32 v86, vcc, s4, v86
	v_ashrrev_i32_e32 v83, 31, v82
	v_addc_co_u32_e32 v87, vcc, v88, v87, vcc
	v_lshlrev_b64 v[88:89], 3, v[82:83]
	;; [unrolled: 6-line block ×7, first 2 shown]
	v_add_co_u32_e32 v82, vcc, s4, v82
	v_addc_co_u32_e32 v83, vcc, v140, v83, vcc
	global_load_dwordx2 v[140:141], v[82:83], off
	s_waitcnt vmcnt(19)
	buffer_store_dword v103, off, s[0:3], 0 offset:4
	buffer_store_dword v102, off, s[0:3], 0
	s_waitcnt vmcnt(20)
	buffer_store_dword v105, off, s[0:3], 0 offset:12
	buffer_store_dword v104, off, s[0:3], 0 offset:8
	s_waitcnt vmcnt(21)
	buffer_store_dword v107, off, s[0:3], 0 offset:20
	buffer_store_dword v106, off, s[0:3], 0 offset:16
	;; [unrolled: 3-line block ×3, first 2 shown]
	s_waitcnt vmcnt(23)
	buffer_store_dword v111, off, s[0:3], 0 offset:36
	global_load_dwordx2 v[102:103], v[36:37], off
	global_load_dwordx2 v[104:105], v[38:39], off
	;; [unrolled: 1-line block ×15, first 2 shown]
	s_cmpk_lg_i32 s13, 0x84
	buffer_store_dword v110, off, s[0:3], 0 offset:32
	global_load_dwordx2 v[110:111], v[44:45], off
	s_cselect_b64 s[8:9], -1, 0
	s_waitcnt vmcnt(40)
	buffer_store_dword v113, off, s[0:3], 0 offset:44
	buffer_store_dword v112, off, s[0:3], 0 offset:40
	global_load_dwordx2 v[112:113], v[46:47], off
	s_cmpk_eq_i32 s13, 0x84
	s_waitcnt vmcnt(42)
	buffer_store_dword v115, off, s[0:3], 0 offset:52
	buffer_store_dword v114, off, s[0:3], 0 offset:48
	global_load_dwordx2 v[114:115], v[48:49], off
	s_waitcnt vmcnt(44)
	buffer_store_dword v117, off, s[0:3], 0 offset:60
	buffer_store_dword v116, off, s[0:3], 0 offset:56
	global_load_dwordx2 v[116:117], v[50:51], off
	;; [unrolled: 4-line block ×12, first 2 shown]
	s_nop 0
	buffer_store_dword v138, off, s[0:3], 0 offset:144
	buffer_store_dword v139, off, s[0:3], 0 offset:148
	global_load_dwordx2 v[138:139], v[96:97], off
	s_waitcnt vmcnt(58)
	buffer_store_dword v103, off, s[0:3], 0 offset:156
	buffer_store_dword v102, off, s[0:3], 0 offset:152
	s_waitcnt vmcnt(59)
	buffer_store_dword v105, off, s[0:3], 0 offset:164
	buffer_store_dword v104, off, s[0:3], 0 offset:160
	;; [unrolled: 3-line block ×8, first 2 shown]
	buffer_store_dword v142, off, s[0:3], 0 offset:216
	buffer_store_dword v143, off, s[0:3], 0 offset:220
	s_waitcnt vmcnt(48)
	buffer_store_dword v118, off, s[0:3], 0 offset:224
	buffer_store_dword v119, off, s[0:3], 0 offset:228
	buffer_store_dword v144, off, s[0:3], 0 offset:232
	buffer_store_dword v145, off, s[0:3], 0 offset:236
	s_waitcnt vmcnt(49)
	buffer_store_dword v120, off, s[0:3], 0 offset:240
	buffer_store_dword v121, off, s[0:3], 0 offset:244
	;; [unrolled: 5-line block ×11, first 2 shown]
	buffer_store_dword v141, off, s[0:3], 0 offset:396
	buffer_store_dword v140, off, s[0:3], 0 offset:392
	v_mov_b32_e32 v102, 0
	v_mov_b32_e32 v152, 0
	;; [unrolled: 1-line block ×3, first 2 shown]
	s_cbranch_scc1 .LBB113_3
; %bb.2:
	v_lshl_add_u32 v112, v0, 3, v152
	buffer_load_dword v102, v112, s[0:3], 0 offen
	buffer_load_dword v103, v112, s[0:3], 0 offen offset:4
	s_waitcnt vmcnt(0)
	v_div_scale_f64 v[104:105], s[4:5], v[102:103], v[102:103], 1.0
	v_rcp_f64_e32 v[106:107], v[104:105]
	v_div_scale_f64 v[108:109], vcc, 1.0, v[102:103], 1.0
	v_fma_f64 v[110:111], -v[104:105], v[106:107], 1.0
	v_fmac_f64_e32 v[106:107], v[106:107], v[110:111]
	v_fma_f64 v[110:111], -v[104:105], v[106:107], 1.0
	v_fmac_f64_e32 v[106:107], v[106:107], v[110:111]
	v_mul_f64 v[110:111], v[108:109], v[106:107]
	v_fma_f64 v[104:105], -v[104:105], v[110:111], v[108:109]
	v_div_fmas_f64 v[104:105], v[104:105], v[106:107], v[110:111]
	v_div_fixup_f64 v[102:103], v[104:105], v[102:103], 1.0
	buffer_store_dword v102, v112, s[0:3], 0 offen
	buffer_store_dword v103, v112, s[0:3], 0 offen offset:4
	v_xor_b32_e32 v103, 0x80000000, v103
.LBB113_3:
	s_cmpk_eq_i32 s12, 0x79
	v_add_u32_e32 v104, 0x190, v1
	v_add_u32_e32 v105, 0, v1
	s_mov_b64 s[4:5], -1
	ds_write_b64 v1, v[102:103]
	s_cbranch_scc1 .LBB113_487
; %bb.4:
	buffer_load_dword v102, off, s[0:3], 0 offset:384
	buffer_load_dword v103, off, s[0:3], 0 offset:388
	v_cmp_eq_u32_e64 s[4:5], 49, v0
	s_waitcnt vmcnt(0)
	ds_write_b64 v104, v[102:103]
	s_waitcnt lgkmcnt(0)
	; wave barrier
	s_waitcnt lgkmcnt(0)
	s_and_saveexec_b64 s[6:7], s[4:5]
	s_cbranch_execz .LBB113_10
; %bb.5:
	s_and_b64 vcc, exec, s[8:9]
	s_cbranch_vccz .LBB113_7
; %bb.6:
	buffer_load_dword v102, v105, s[0:3], 0 offen
	buffer_load_dword v103, v105, s[0:3], 0 offen offset:4
	ds_read_b64 v[106:107], v104
	s_waitcnt vmcnt(0) lgkmcnt(0)
	v_mul_f64 v[102:103], v[102:103], v[106:107]
	s_cbranch_execz .LBB113_8
	s_branch .LBB113_9
.LBB113_7:
                                        ; implicit-def: $vgpr102_vgpr103
.LBB113_8:
	ds_read_b64 v[102:103], v104
.LBB113_9:
	v_mov_b32_e32 v106, 0
	ds_read_b64 v[106:107], v106 offset:384
	s_waitcnt lgkmcnt(0)
	v_mul_f64 v[102:103], v[102:103], v[106:107]
	buffer_store_dword v103, off, s[0:3], 0 offset:388
	buffer_store_dword v102, off, s[0:3], 0 offset:384
.LBB113_10:
	s_or_b64 exec, exec, s[6:7]
	buffer_load_dword v102, off, s[0:3], 0 offset:376
	buffer_load_dword v103, off, s[0:3], 0 offset:380
	v_or_b32_e32 v106, 8, v152
	v_add_u32_e32 v107, 16, v152
	v_add_u32_e32 v108, 24, v152
	;; [unrolled: 1-line block ×46, first 2 shown]
	v_cmp_lt_u32_e64 s[6:7], 47, v0
	s_waitcnt vmcnt(0)
	ds_write_b64 v104, v[102:103]
	s_waitcnt lgkmcnt(0)
	; wave barrier
	s_waitcnt lgkmcnt(0)
	s_and_saveexec_b64 s[10:11], s[6:7]
	s_cbranch_execz .LBB113_16
; %bb.11:
	s_andn2_b64 vcc, exec, s[8:9]
	s_cbranch_vccnz .LBB113_13
; %bb.12:
	buffer_load_dword v102, v105, s[0:3], 0 offen
	buffer_load_dword v103, v105, s[0:3], 0 offen offset:4
	ds_read_b64 v[154:155], v104
	s_waitcnt vmcnt(0) lgkmcnt(0)
	v_mul_f64 v[102:103], v[102:103], v[154:155]
	s_cbranch_execz .LBB113_14
	s_branch .LBB113_15
.LBB113_13:
                                        ; implicit-def: $vgpr102_vgpr103
.LBB113_14:
	ds_read_b64 v[102:103], v104
.LBB113_15:
	buffer_load_dword v158, off, s[0:3], 0 offset:384
	buffer_load_dword v159, off, s[0:3], 0 offset:388
	v_mov_b32_e32 v153, 0
	ds_read2_b64 v[154:157], v153 offset0:47 offset1:98
	s_waitcnt vmcnt(0) lgkmcnt(0)
	v_fma_f64 v[156:157], v[158:159], v[156:157], v[102:103]
	v_cndmask_b32_e64 v103, v103, v157, s[4:5]
	v_cndmask_b32_e64 v102, v102, v156, s[4:5]
	v_mul_f64 v[102:103], v[102:103], v[154:155]
	buffer_store_dword v103, off, s[0:3], 0 offset:380
	buffer_store_dword v102, off, s[0:3], 0 offset:376
.LBB113_16:
	s_or_b64 exec, exec, s[10:11]
	buffer_load_dword v102, off, s[0:3], 0 offset:368
	buffer_load_dword v103, off, s[0:3], 0 offset:372
	v_cmp_lt_u32_e64 s[4:5], 46, v0
	s_waitcnt vmcnt(0)
	ds_write_b64 v104, v[102:103]
	s_waitcnt lgkmcnt(0)
	; wave barrier
	s_waitcnt lgkmcnt(0)
	s_and_saveexec_b64 s[10:11], s[4:5]
	s_cbranch_execz .LBB113_26
; %bb.17:
	s_andn2_b64 vcc, exec, s[8:9]
	s_cbranch_vccnz .LBB113_19
; %bb.18:
	buffer_load_dword v102, v105, s[0:3], 0 offen
	buffer_load_dword v103, v105, s[0:3], 0 offen offset:4
	ds_read_b64 v[154:155], v104
	s_waitcnt vmcnt(0) lgkmcnt(0)
	v_mul_f64 v[102:103], v[102:103], v[154:155]
	s_cbranch_execz .LBB113_20
	s_branch .LBB113_21
.LBB113_19:
                                        ; implicit-def: $vgpr102_vgpr103
.LBB113_20:
	ds_read_b64 v[102:103], v104
.LBB113_21:
	s_and_saveexec_b64 s[12:13], s[6:7]
	s_cbranch_execz .LBB113_25
; %bb.22:
	v_subrev_u32_e32 v153, 47, v0
	s_movk_i32 s14, 0x308
	s_mov_b64 s[6:7], 0
.LBB113_23:                             ; =>This Inner Loop Header: Depth=1
	buffer_load_dword v154, v152, s[0:3], 0 offen
	buffer_load_dword v155, v152, s[0:3], 0 offen offset:4
	v_mov_b32_e32 v156, s14
	ds_read_b64 v[156:157], v156
	v_add_u32_e32 v153, -1, v153
	s_add_i32 s14, s14, 8
	v_cmp_eq_u32_e32 vcc, 0, v153
	v_add_u32_e32 v152, 8, v152
	s_or_b64 s[6:7], vcc, s[6:7]
	s_waitcnt vmcnt(0) lgkmcnt(0)
	v_fmac_f64_e32 v[102:103], v[154:155], v[156:157]
	s_andn2_b64 exec, exec, s[6:7]
	s_cbranch_execnz .LBB113_23
; %bb.24:
	s_or_b64 exec, exec, s[6:7]
.LBB113_25:
	s_or_b64 exec, exec, s[12:13]
	v_mov_b32_e32 v152, 0
	ds_read_b64 v[152:153], v152 offset:368
	s_waitcnt lgkmcnt(0)
	v_mul_f64 v[102:103], v[102:103], v[152:153]
	buffer_store_dword v103, off, s[0:3], 0 offset:372
	buffer_store_dword v102, off, s[0:3], 0 offset:368
.LBB113_26:
	s_or_b64 exec, exec, s[10:11]
	buffer_load_dword v102, off, s[0:3], 0 offset:360
	buffer_load_dword v103, off, s[0:3], 0 offset:364
	v_cmp_lt_u32_e64 s[6:7], 45, v0
	s_waitcnt vmcnt(0)
	ds_write_b64 v104, v[102:103]
	s_waitcnt lgkmcnt(0)
	; wave barrier
	s_waitcnt lgkmcnt(0)
	s_and_saveexec_b64 s[10:11], s[6:7]
	s_cbranch_execz .LBB113_36
; %bb.27:
	s_andn2_b64 vcc, exec, s[8:9]
	s_cbranch_vccnz .LBB113_29
; %bb.28:
	buffer_load_dword v102, v105, s[0:3], 0 offen
	buffer_load_dword v103, v105, s[0:3], 0 offen offset:4
	ds_read_b64 v[152:153], v104
	s_waitcnt vmcnt(0) lgkmcnt(0)
	v_mul_f64 v[102:103], v[102:103], v[152:153]
	s_cbranch_execz .LBB113_30
	s_branch .LBB113_31
.LBB113_29:
                                        ; implicit-def: $vgpr102_vgpr103
.LBB113_30:
	ds_read_b64 v[102:103], v104
.LBB113_31:
	s_and_saveexec_b64 s[12:13], s[4:5]
	s_cbranch_execz .LBB113_35
; %bb.32:
	v_subrev_u32_e32 v152, 46, v0
	s_movk_i32 s14, 0x300
	s_mov_b64 s[4:5], 0
.LBB113_33:                             ; =>This Inner Loop Header: Depth=1
	buffer_load_dword v154, v151, s[0:3], 0 offen
	buffer_load_dword v155, v151, s[0:3], 0 offen offset:4
	v_mov_b32_e32 v153, s14
	ds_read_b64 v[156:157], v153
	v_add_u32_e32 v152, -1, v152
	s_add_i32 s14, s14, 8
	v_cmp_eq_u32_e32 vcc, 0, v152
	v_add_u32_e32 v151, 8, v151
	s_or_b64 s[4:5], vcc, s[4:5]
	s_waitcnt vmcnt(0) lgkmcnt(0)
	v_fmac_f64_e32 v[102:103], v[154:155], v[156:157]
	s_andn2_b64 exec, exec, s[4:5]
	s_cbranch_execnz .LBB113_33
; %bb.34:
	s_or_b64 exec, exec, s[4:5]
.LBB113_35:
	s_or_b64 exec, exec, s[12:13]
	v_mov_b32_e32 v151, 0
	ds_read_b64 v[152:153], v151 offset:360
	s_waitcnt lgkmcnt(0)
	v_mul_f64 v[102:103], v[102:103], v[152:153]
	buffer_store_dword v103, off, s[0:3], 0 offset:364
	buffer_store_dword v102, off, s[0:3], 0 offset:360
.LBB113_36:
	;; [unrolled: 58-line block ×8, first 2 shown]
	s_or_b64 exec, exec, s[10:11]
	buffer_load_dword v102, off, s[0:3], 0 offset:304
	buffer_load_dword v103, off, s[0:3], 0 offset:308
	v_cmp_lt_u32_e64 s[4:5], 38, v0
	s_waitcnt vmcnt(0)
	ds_write_b64 v104, v[102:103]
	s_waitcnt lgkmcnt(0)
	; wave barrier
	s_waitcnt lgkmcnt(0)
	s_and_saveexec_b64 s[10:11], s[4:5]
	s_cbranch_execz .LBB113_106
; %bb.97:
	s_andn2_b64 vcc, exec, s[8:9]
	s_cbranch_vccnz .LBB113_99
; %bb.98:
	buffer_load_dword v102, v105, s[0:3], 0 offen
	buffer_load_dword v103, v105, s[0:3], 0 offen offset:4
	ds_read_b64 v[146:147], v104
	s_waitcnt vmcnt(0) lgkmcnt(0)
	v_mul_f64 v[102:103], v[102:103], v[146:147]
	s_cbranch_execz .LBB113_100
	s_branch .LBB113_101
.LBB113_99:
                                        ; implicit-def: $vgpr102_vgpr103
.LBB113_100:
	ds_read_b64 v[102:103], v104
.LBB113_101:
	s_and_saveexec_b64 s[12:13], s[6:7]
	s_cbranch_execz .LBB113_105
; %bb.102:
	v_subrev_u32_e32 v145, 39, v0
	s_movk_i32 s14, 0x2c8
	s_mov_b64 s[6:7], 0
.LBB113_103:                            ; =>This Inner Loop Header: Depth=1
	buffer_load_dword v146, v144, s[0:3], 0 offen
	buffer_load_dword v147, v144, s[0:3], 0 offen offset:4
	v_mov_b32_e32 v148, s14
	ds_read_b64 v[148:149], v148
	v_add_u32_e32 v145, -1, v145
	s_add_i32 s14, s14, 8
	v_cmp_eq_u32_e32 vcc, 0, v145
	v_add_u32_e32 v144, 8, v144
	s_or_b64 s[6:7], vcc, s[6:7]
	s_waitcnt vmcnt(0) lgkmcnt(0)
	v_fmac_f64_e32 v[102:103], v[146:147], v[148:149]
	s_andn2_b64 exec, exec, s[6:7]
	s_cbranch_execnz .LBB113_103
; %bb.104:
	s_or_b64 exec, exec, s[6:7]
.LBB113_105:
	s_or_b64 exec, exec, s[12:13]
	v_mov_b32_e32 v144, 0
	ds_read_b64 v[144:145], v144 offset:304
	s_waitcnt lgkmcnt(0)
	v_mul_f64 v[102:103], v[102:103], v[144:145]
	buffer_store_dword v103, off, s[0:3], 0 offset:308
	buffer_store_dword v102, off, s[0:3], 0 offset:304
.LBB113_106:
	s_or_b64 exec, exec, s[10:11]
	buffer_load_dword v102, off, s[0:3], 0 offset:296
	buffer_load_dword v103, off, s[0:3], 0 offset:300
	v_cmp_lt_u32_e64 s[6:7], 37, v0
	s_waitcnt vmcnt(0)
	ds_write_b64 v104, v[102:103]
	s_waitcnt lgkmcnt(0)
	; wave barrier
	s_waitcnt lgkmcnt(0)
	s_and_saveexec_b64 s[10:11], s[6:7]
	s_cbranch_execz .LBB113_116
; %bb.107:
	s_andn2_b64 vcc, exec, s[8:9]
	s_cbranch_vccnz .LBB113_109
; %bb.108:
	buffer_load_dword v102, v105, s[0:3], 0 offen
	buffer_load_dword v103, v105, s[0:3], 0 offen offset:4
	ds_read_b64 v[144:145], v104
	s_waitcnt vmcnt(0) lgkmcnt(0)
	v_mul_f64 v[102:103], v[102:103], v[144:145]
	s_cbranch_execz .LBB113_110
	s_branch .LBB113_111
.LBB113_109:
                                        ; implicit-def: $vgpr102_vgpr103
.LBB113_110:
	ds_read_b64 v[102:103], v104
.LBB113_111:
	s_and_saveexec_b64 s[12:13], s[4:5]
	s_cbranch_execz .LBB113_115
; %bb.112:
	v_subrev_u32_e32 v144, 38, v0
	s_movk_i32 s14, 0x2c0
	s_mov_b64 s[4:5], 0
.LBB113_113:                            ; =>This Inner Loop Header: Depth=1
	buffer_load_dword v146, v143, s[0:3], 0 offen
	buffer_load_dword v147, v143, s[0:3], 0 offen offset:4
	v_mov_b32_e32 v145, s14
	ds_read_b64 v[148:149], v145
	v_add_u32_e32 v144, -1, v144
	s_add_i32 s14, s14, 8
	v_cmp_eq_u32_e32 vcc, 0, v144
	v_add_u32_e32 v143, 8, v143
	s_or_b64 s[4:5], vcc, s[4:5]
	s_waitcnt vmcnt(0) lgkmcnt(0)
	v_fmac_f64_e32 v[102:103], v[146:147], v[148:149]
	s_andn2_b64 exec, exec, s[4:5]
	s_cbranch_execnz .LBB113_113
; %bb.114:
	s_or_b64 exec, exec, s[4:5]
.LBB113_115:
	s_or_b64 exec, exec, s[12:13]
	v_mov_b32_e32 v143, 0
	ds_read_b64 v[144:145], v143 offset:296
	s_waitcnt lgkmcnt(0)
	v_mul_f64 v[102:103], v[102:103], v[144:145]
	buffer_store_dword v103, off, s[0:3], 0 offset:300
	buffer_store_dword v102, off, s[0:3], 0 offset:296
.LBB113_116:
	;; [unrolled: 58-line block ×23, first 2 shown]
	s_or_b64 exec, exec, s[10:11]
	buffer_load_dword v102, off, s[0:3], 0 offset:120
	buffer_load_dword v103, off, s[0:3], 0 offset:124
	v_cmp_lt_u32_e64 s[6:7], 15, v0
	s_waitcnt vmcnt(0)
	ds_write_b64 v104, v[102:103]
	s_waitcnt lgkmcnt(0)
	; wave barrier
	s_waitcnt lgkmcnt(0)
	s_and_saveexec_b64 s[10:11], s[6:7]
	s_cbranch_execz .LBB113_336
; %bb.327:
	s_andn2_b64 vcc, exec, s[8:9]
	s_cbranch_vccnz .LBB113_329
; %bb.328:
	buffer_load_dword v102, v105, s[0:3], 0 offen
	buffer_load_dword v103, v105, s[0:3], 0 offen offset:4
	ds_read_b64 v[122:123], v104
	s_waitcnt vmcnt(0) lgkmcnt(0)
	v_mul_f64 v[102:103], v[102:103], v[122:123]
	s_cbranch_execz .LBB113_330
	s_branch .LBB113_331
.LBB113_329:
                                        ; implicit-def: $vgpr102_vgpr103
.LBB113_330:
	ds_read_b64 v[102:103], v104
.LBB113_331:
	s_and_saveexec_b64 s[12:13], s[4:5]
	s_cbranch_execz .LBB113_335
; %bb.332:
	v_add_u32_e32 v122, -16, v0
	s_movk_i32 s14, 0x210
	s_mov_b64 s[4:5], 0
.LBB113_333:                            ; =>This Inner Loop Header: Depth=1
	buffer_load_dword v124, v121, s[0:3], 0 offen
	buffer_load_dword v125, v121, s[0:3], 0 offen offset:4
	v_mov_b32_e32 v123, s14
	ds_read_b64 v[126:127], v123
	v_add_u32_e32 v122, -1, v122
	s_add_i32 s14, s14, 8
	v_cmp_eq_u32_e32 vcc, 0, v122
	v_add_u32_e32 v121, 8, v121
	s_or_b64 s[4:5], vcc, s[4:5]
	s_waitcnt vmcnt(0) lgkmcnt(0)
	v_fmac_f64_e32 v[102:103], v[124:125], v[126:127]
	s_andn2_b64 exec, exec, s[4:5]
	s_cbranch_execnz .LBB113_333
; %bb.334:
	s_or_b64 exec, exec, s[4:5]
.LBB113_335:
	s_or_b64 exec, exec, s[12:13]
	v_mov_b32_e32 v121, 0
	ds_read_b64 v[122:123], v121 offset:120
	s_waitcnt lgkmcnt(0)
	v_mul_f64 v[102:103], v[102:103], v[122:123]
	buffer_store_dword v103, off, s[0:3], 0 offset:124
	buffer_store_dword v102, off, s[0:3], 0 offset:120
.LBB113_336:
	s_or_b64 exec, exec, s[10:11]
	buffer_load_dword v102, off, s[0:3], 0 offset:112
	buffer_load_dword v103, off, s[0:3], 0 offset:116
	v_cmp_lt_u32_e64 s[4:5], 14, v0
	s_waitcnt vmcnt(0)
	ds_write_b64 v104, v[102:103]
	s_waitcnt lgkmcnt(0)
	; wave barrier
	s_waitcnt lgkmcnt(0)
	s_and_saveexec_b64 s[10:11], s[4:5]
	s_cbranch_execz .LBB113_346
; %bb.337:
	s_andn2_b64 vcc, exec, s[8:9]
	s_cbranch_vccnz .LBB113_339
; %bb.338:
	buffer_load_dword v102, v105, s[0:3], 0 offen
	buffer_load_dword v103, v105, s[0:3], 0 offen offset:4
	ds_read_b64 v[122:123], v104
	s_waitcnt vmcnt(0) lgkmcnt(0)
	v_mul_f64 v[102:103], v[102:103], v[122:123]
	s_cbranch_execz .LBB113_340
	s_branch .LBB113_341
.LBB113_339:
                                        ; implicit-def: $vgpr102_vgpr103
.LBB113_340:
	ds_read_b64 v[102:103], v104
.LBB113_341:
	s_and_saveexec_b64 s[12:13], s[6:7]
	s_cbranch_execz .LBB113_345
; %bb.342:
	v_add_u32_e32 v121, -15, v0
	s_movk_i32 s14, 0x208
	s_mov_b64 s[6:7], 0
.LBB113_343:                            ; =>This Inner Loop Header: Depth=1
	buffer_load_dword v122, v120, s[0:3], 0 offen
	buffer_load_dword v123, v120, s[0:3], 0 offen offset:4
	v_mov_b32_e32 v124, s14
	ds_read_b64 v[124:125], v124
	v_add_u32_e32 v121, -1, v121
	s_add_i32 s14, s14, 8
	v_cmp_eq_u32_e32 vcc, 0, v121
	v_add_u32_e32 v120, 8, v120
	s_or_b64 s[6:7], vcc, s[6:7]
	s_waitcnt vmcnt(0) lgkmcnt(0)
	v_fmac_f64_e32 v[102:103], v[122:123], v[124:125]
	s_andn2_b64 exec, exec, s[6:7]
	s_cbranch_execnz .LBB113_343
; %bb.344:
	s_or_b64 exec, exec, s[6:7]
.LBB113_345:
	s_or_b64 exec, exec, s[12:13]
	v_mov_b32_e32 v120, 0
	ds_read_b64 v[120:121], v120 offset:112
	s_waitcnt lgkmcnt(0)
	v_mul_f64 v[102:103], v[102:103], v[120:121]
	buffer_store_dword v103, off, s[0:3], 0 offset:116
	buffer_store_dword v102, off, s[0:3], 0 offset:112
.LBB113_346:
	;; [unrolled: 58-line block ×15, first 2 shown]
	s_or_b64 exec, exec, s[10:11]
	buffer_load_dword v102, off, s[0:3], 0
	buffer_load_dword v103, off, s[0:3], 0 offset:4
	v_cmp_ne_u32_e32 vcc, 0, v0
	s_waitcnt vmcnt(0)
	ds_write_b64 v104, v[102:103]
	s_waitcnt lgkmcnt(0)
	; wave barrier
	s_waitcnt lgkmcnt(0)
	s_and_saveexec_b64 s[4:5], vcc
	s_cbranch_execz .LBB113_486
; %bb.477:
	s_andn2_b64 vcc, exec, s[8:9]
	s_cbranch_vccnz .LBB113_479
; %bb.478:
	buffer_load_dword v102, v105, s[0:3], 0 offen
	buffer_load_dword v103, v105, s[0:3], 0 offen offset:4
	ds_read_b64 v[108:109], v104
	s_waitcnt vmcnt(0) lgkmcnt(0)
	v_mul_f64 v[102:103], v[102:103], v[108:109]
	s_cbranch_execz .LBB113_480
	s_branch .LBB113_481
.LBB113_479:
                                        ; implicit-def: $vgpr102_vgpr103
.LBB113_480:
	ds_read_b64 v[102:103], v104
.LBB113_481:
	s_and_saveexec_b64 s[10:11], s[6:7]
	s_cbranch_execz .LBB113_485
; %bb.482:
	v_add_u32_e32 v107, -1, v0
	s_movk_i32 s12, 0x198
	s_mov_b64 s[6:7], 0
.LBB113_483:                            ; =>This Inner Loop Header: Depth=1
	buffer_load_dword v108, v106, s[0:3], 0 offen
	buffer_load_dword v109, v106, s[0:3], 0 offen offset:4
	v_mov_b32_e32 v110, s12
	ds_read_b64 v[110:111], v110
	v_add_u32_e32 v107, -1, v107
	s_add_i32 s12, s12, 8
	v_cmp_eq_u32_e32 vcc, 0, v107
	v_add_u32_e32 v106, 8, v106
	s_or_b64 s[6:7], vcc, s[6:7]
	s_waitcnt vmcnt(0) lgkmcnt(0)
	v_fmac_f64_e32 v[102:103], v[108:109], v[110:111]
	s_andn2_b64 exec, exec, s[6:7]
	s_cbranch_execnz .LBB113_483
; %bb.484:
	s_or_b64 exec, exec, s[6:7]
.LBB113_485:
	s_or_b64 exec, exec, s[10:11]
	v_mov_b32_e32 v106, 0
	ds_read_b64 v[106:107], v106
	s_waitcnt lgkmcnt(0)
	v_mul_f64 v[102:103], v[102:103], v[106:107]
	buffer_store_dword v103, off, s[0:3], 0 offset:4
	buffer_store_dword v102, off, s[0:3], 0
.LBB113_486:
	s_or_b64 exec, exec, s[4:5]
	s_mov_b64 s[4:5], 0
.LBB113_487:
	s_and_b64 vcc, exec, s[4:5]
	s_cbranch_vccz .LBB113_971
; %bb.488:
	buffer_load_dword v102, off, s[0:3], 0 offset:8
	buffer_load_dword v103, off, s[0:3], 0 offset:12
	v_cmp_eq_u32_e64 s[6:7], 0, v0
	s_waitcnt vmcnt(0)
	ds_write_b64 v104, v[102:103]
	s_waitcnt lgkmcnt(0)
	; wave barrier
	s_waitcnt lgkmcnt(0)
	s_and_saveexec_b64 s[4:5], s[6:7]
	s_cbranch_execz .LBB113_494
; %bb.489:
	s_and_b64 vcc, exec, s[8:9]
	s_cbranch_vccz .LBB113_491
; %bb.490:
	buffer_load_dword v102, v105, s[0:3], 0 offen
	buffer_load_dword v103, v105, s[0:3], 0 offen offset:4
	ds_read_b64 v[106:107], v104
	s_waitcnt vmcnt(0) lgkmcnt(0)
	v_mul_f64 v[102:103], v[102:103], v[106:107]
	s_cbranch_execz .LBB113_492
	s_branch .LBB113_493
.LBB113_491:
                                        ; implicit-def: $vgpr102_vgpr103
.LBB113_492:
	ds_read_b64 v[102:103], v104
.LBB113_493:
	v_mov_b32_e32 v106, 0
	ds_read_b64 v[106:107], v106 offset:8
	s_waitcnt lgkmcnt(0)
	v_mul_f64 v[102:103], v[102:103], v[106:107]
	buffer_store_dword v103, off, s[0:3], 0 offset:12
	buffer_store_dword v102, off, s[0:3], 0 offset:8
.LBB113_494:
	s_or_b64 exec, exec, s[4:5]
	buffer_load_dword v102, off, s[0:3], 0 offset:16
	buffer_load_dword v103, off, s[0:3], 0 offset:20
	v_cndmask_b32_e64 v106, 0, 1, s[8:9]
	v_cmp_gt_u32_e32 vcc, 2, v0
	v_cmp_ne_u32_e64 s[4:5], 1, v106
	s_waitcnt vmcnt(0)
	ds_write_b64 v104, v[102:103]
	s_waitcnt lgkmcnt(0)
	; wave barrier
	s_waitcnt lgkmcnt(0)
	s_and_saveexec_b64 s[8:9], vcc
	s_cbranch_execz .LBB113_502
; %bb.495:
	s_and_b64 vcc, exec, s[4:5]
	s_cbranch_vccnz .LBB113_497
; %bb.496:
	buffer_load_dword v102, v105, s[0:3], 0 offen
	buffer_load_dword v103, v105, s[0:3], 0 offen offset:4
	ds_read_b64 v[106:107], v104
	s_waitcnt vmcnt(0) lgkmcnt(0)
	v_mul_f64 v[102:103], v[102:103], v[106:107]
	s_cbranch_execz .LBB113_498
	s_branch .LBB113_499
.LBB113_497:
                                        ; implicit-def: $vgpr102_vgpr103
.LBB113_498:
	ds_read_b64 v[102:103], v104
.LBB113_499:
	s_and_saveexec_b64 s[10:11], s[6:7]
	s_cbranch_execz .LBB113_501
; %bb.500:
	buffer_load_dword v106, v105, s[0:3], 0 offen offset:8
	buffer_load_dword v107, v105, s[0:3], 0 offen offset:12
	ds_read_b64 v[108:109], v104 offset:8
	s_waitcnt vmcnt(0) lgkmcnt(0)
	v_fmac_f64_e32 v[102:103], v[106:107], v[108:109]
.LBB113_501:
	s_or_b64 exec, exec, s[10:11]
	v_mov_b32_e32 v106, 0
	ds_read_b64 v[106:107], v106 offset:16
	s_waitcnt lgkmcnt(0)
	v_mul_f64 v[102:103], v[102:103], v[106:107]
	buffer_store_dword v103, off, s[0:3], 0 offset:20
	buffer_store_dword v102, off, s[0:3], 0 offset:16
.LBB113_502:
	s_or_b64 exec, exec, s[8:9]
	buffer_load_dword v102, off, s[0:3], 0 offset:24
	buffer_load_dword v103, off, s[0:3], 0 offset:28
	v_cmp_gt_u32_e32 vcc, 3, v0
	s_waitcnt vmcnt(0)
	ds_write_b64 v104, v[102:103]
	s_waitcnt lgkmcnt(0)
	; wave barrier
	s_waitcnt lgkmcnt(0)
	s_and_saveexec_b64 s[8:9], vcc
	s_cbranch_execz .LBB113_510
; %bb.503:
	s_and_b64 vcc, exec, s[4:5]
	s_cbranch_vccnz .LBB113_505
; %bb.504:
	buffer_load_dword v102, v105, s[0:3], 0 offen
	buffer_load_dword v103, v105, s[0:3], 0 offen offset:4
	ds_read_b64 v[106:107], v104
	s_waitcnt vmcnt(0) lgkmcnt(0)
	v_mul_f64 v[102:103], v[102:103], v[106:107]
	s_cbranch_execz .LBB113_506
	s_branch .LBB113_507
.LBB113_505:
                                        ; implicit-def: $vgpr102_vgpr103
.LBB113_506:
	ds_read_b64 v[102:103], v104
.LBB113_507:
	v_cmp_ne_u32_e32 vcc, 2, v0
	s_and_saveexec_b64 s[10:11], vcc
	s_cbranch_execz .LBB113_509
; %bb.508:
	buffer_load_dword v107, v105, s[0:3], 0 offen offset:12
	buffer_load_dword v108, off, s[0:3], 0 offset:16
	buffer_load_dword v106, v105, s[0:3], 0 offen offset:8
	buffer_load_dword v109, off, s[0:3], 0 offset:20
	v_mov_b32_e32 v112, 0
	ds_read_b64 v[110:111], v104 offset:8
	ds_read_b64 v[112:113], v112 offset:416
	s_waitcnt vmcnt(1) lgkmcnt(1)
	v_fmac_f64_e32 v[102:103], v[106:107], v[110:111]
	s_waitcnt vmcnt(0) lgkmcnt(0)
	v_fma_f64 v[106:107], v[108:109], v[112:113], v[102:103]
	v_cndmask_b32_e64 v103, v103, v107, s[6:7]
	v_cndmask_b32_e64 v102, v102, v106, s[6:7]
.LBB113_509:
	s_or_b64 exec, exec, s[10:11]
	v_mov_b32_e32 v106, 0
	ds_read_b64 v[106:107], v106 offset:24
	s_waitcnt lgkmcnt(0)
	v_mul_f64 v[102:103], v[102:103], v[106:107]
	buffer_store_dword v103, off, s[0:3], 0 offset:28
	buffer_store_dword v102, off, s[0:3], 0 offset:24
.LBB113_510:
	s_or_b64 exec, exec, s[8:9]
	buffer_load_dword v102, off, s[0:3], 0 offset:32
	buffer_load_dword v103, off, s[0:3], 0 offset:36
	v_cmp_gt_u32_e32 vcc, 4, v0
	s_waitcnt vmcnt(0)
	ds_write_b64 v104, v[102:103]
	s_waitcnt lgkmcnt(0)
	; wave barrier
	s_waitcnt lgkmcnt(0)
	s_and_saveexec_b64 s[6:7], vcc
	s_cbranch_execz .LBB113_520
; %bb.511:
	s_and_b64 vcc, exec, s[4:5]
	s_cbranch_vccnz .LBB113_513
; %bb.512:
	buffer_load_dword v102, v105, s[0:3], 0 offen
	buffer_load_dword v103, v105, s[0:3], 0 offen offset:4
	ds_read_b64 v[106:107], v104
	s_waitcnt vmcnt(0) lgkmcnt(0)
	v_mul_f64 v[102:103], v[102:103], v[106:107]
	s_cbranch_execz .LBB113_514
	s_branch .LBB113_515
.LBB113_513:
                                        ; implicit-def: $vgpr102_vgpr103
.LBB113_514:
	ds_read_b64 v[102:103], v104
.LBB113_515:
	v_cmp_ne_u32_e32 vcc, 3, v0
	s_and_saveexec_b64 s[8:9], vcc
	s_cbranch_execz .LBB113_519
; %bb.516:
	v_mov_b32_e32 v107, 0
	v_add_u32_e32 v106, 0x198, v1
	v_add3_u32 v107, v1, v107, 8
	s_mov_b64 s[10:11], 0
	v_mov_b32_e32 v108, v0
.LBB113_517:                            ; =>This Inner Loop Header: Depth=1
	buffer_load_dword v110, v107, s[0:3], 0 offen
	buffer_load_dword v111, v107, s[0:3], 0 offen offset:4
	ds_read_b64 v[112:113], v106
	v_add_u32_e32 v108, 1, v108
	v_cmp_lt_u32_e32 vcc, 2, v108
	v_add_u32_e32 v106, 8, v106
	v_add_u32_e32 v107, 8, v107
	s_or_b64 s[10:11], vcc, s[10:11]
	s_waitcnt vmcnt(0) lgkmcnt(0)
	v_fmac_f64_e32 v[102:103], v[110:111], v[112:113]
	s_andn2_b64 exec, exec, s[10:11]
	s_cbranch_execnz .LBB113_517
; %bb.518:
	s_or_b64 exec, exec, s[10:11]
.LBB113_519:
	s_or_b64 exec, exec, s[8:9]
	v_mov_b32_e32 v106, 0
	ds_read_b64 v[106:107], v106 offset:32
	s_waitcnt lgkmcnt(0)
	v_mul_f64 v[102:103], v[102:103], v[106:107]
	buffer_store_dword v103, off, s[0:3], 0 offset:36
	buffer_store_dword v102, off, s[0:3], 0 offset:32
.LBB113_520:
	s_or_b64 exec, exec, s[6:7]
	buffer_load_dword v102, off, s[0:3], 0 offset:40
	buffer_load_dword v103, off, s[0:3], 0 offset:44
	v_cmp_gt_u32_e32 vcc, 5, v0
	s_waitcnt vmcnt(0)
	ds_write_b64 v104, v[102:103]
	s_waitcnt lgkmcnt(0)
	; wave barrier
	s_waitcnt lgkmcnt(0)
	s_and_saveexec_b64 s[6:7], vcc
	s_cbranch_execz .LBB113_530
; %bb.521:
	s_and_b64 vcc, exec, s[4:5]
	s_cbranch_vccnz .LBB113_523
; %bb.522:
	buffer_load_dword v102, v105, s[0:3], 0 offen
	buffer_load_dword v103, v105, s[0:3], 0 offen offset:4
	ds_read_b64 v[106:107], v104
	s_waitcnt vmcnt(0) lgkmcnt(0)
	v_mul_f64 v[102:103], v[102:103], v[106:107]
	s_cbranch_execz .LBB113_524
	s_branch .LBB113_525
.LBB113_523:
                                        ; implicit-def: $vgpr102_vgpr103
.LBB113_524:
	ds_read_b64 v[102:103], v104
.LBB113_525:
	v_cmp_ne_u32_e32 vcc, 4, v0
	s_and_saveexec_b64 s[8:9], vcc
	s_cbranch_execz .LBB113_529
; %bb.526:
	v_mov_b32_e32 v107, 0
	v_add_u32_e32 v106, 0x198, v1
	v_add3_u32 v107, v1, v107, 8
	s_mov_b64 s[10:11], 0
	v_mov_b32_e32 v108, v0
.LBB113_527:                            ; =>This Inner Loop Header: Depth=1
	buffer_load_dword v110, v107, s[0:3], 0 offen
	buffer_load_dword v111, v107, s[0:3], 0 offen offset:4
	ds_read_b64 v[112:113], v106
	v_add_u32_e32 v108, 1, v108
	v_cmp_lt_u32_e32 vcc, 3, v108
	v_add_u32_e32 v106, 8, v106
	v_add_u32_e32 v107, 8, v107
	s_or_b64 s[10:11], vcc, s[10:11]
	s_waitcnt vmcnt(0) lgkmcnt(0)
	v_fmac_f64_e32 v[102:103], v[110:111], v[112:113]
	s_andn2_b64 exec, exec, s[10:11]
	s_cbranch_execnz .LBB113_527
; %bb.528:
	s_or_b64 exec, exec, s[10:11]
.LBB113_529:
	s_or_b64 exec, exec, s[8:9]
	v_mov_b32_e32 v106, 0
	ds_read_b64 v[106:107], v106 offset:40
	s_waitcnt lgkmcnt(0)
	v_mul_f64 v[102:103], v[102:103], v[106:107]
	buffer_store_dword v103, off, s[0:3], 0 offset:44
	buffer_store_dword v102, off, s[0:3], 0 offset:40
.LBB113_530:
	;; [unrolled: 60-line block ×44, first 2 shown]
	s_or_b64 exec, exec, s[6:7]
	buffer_load_dword v102, off, s[0:3], 0 offset:384
	buffer_load_dword v103, off, s[0:3], 0 offset:388
	v_cmp_gt_u32_e64 s[6:7], 48, v0
	s_waitcnt vmcnt(0)
	ds_write_b64 v104, v[102:103]
	s_waitcnt lgkmcnt(0)
	; wave barrier
	s_waitcnt lgkmcnt(0)
	s_and_saveexec_b64 s[8:9], s[6:7]
	s_cbranch_execz .LBB113_960
; %bb.951:
	s_and_b64 vcc, exec, s[4:5]
	s_cbranch_vccnz .LBB113_953
; %bb.952:
	buffer_load_dword v102, v105, s[0:3], 0 offen
	buffer_load_dword v103, v105, s[0:3], 0 offen offset:4
	ds_read_b64 v[106:107], v104
	s_waitcnt vmcnt(0) lgkmcnt(0)
	v_mul_f64 v[102:103], v[102:103], v[106:107]
	s_cbranch_execz .LBB113_954
	s_branch .LBB113_955
.LBB113_953:
                                        ; implicit-def: $vgpr102_vgpr103
.LBB113_954:
	ds_read_b64 v[102:103], v104
.LBB113_955:
	v_cmp_ne_u32_e32 vcc, 47, v0
	s_and_saveexec_b64 s[10:11], vcc
	s_cbranch_execz .LBB113_959
; %bb.956:
	v_mov_b32_e32 v107, 0
	v_add_u32_e32 v106, 0x198, v1
	v_add3_u32 v107, v1, v107, 8
	s_mov_b64 s[12:13], 0
	v_mov_b32_e32 v108, v0
.LBB113_957:                            ; =>This Inner Loop Header: Depth=1
	buffer_load_dword v110, v107, s[0:3], 0 offen
	buffer_load_dword v111, v107, s[0:3], 0 offen offset:4
	ds_read_b64 v[112:113], v106
	v_add_u32_e32 v108, 1, v108
	v_cmp_lt_u32_e32 vcc, 46, v108
	v_add_u32_e32 v106, 8, v106
	v_add_u32_e32 v107, 8, v107
	s_or_b64 s[12:13], vcc, s[12:13]
	s_waitcnt vmcnt(0) lgkmcnt(0)
	v_fmac_f64_e32 v[102:103], v[110:111], v[112:113]
	s_andn2_b64 exec, exec, s[12:13]
	s_cbranch_execnz .LBB113_957
; %bb.958:
	s_or_b64 exec, exec, s[12:13]
.LBB113_959:
	s_or_b64 exec, exec, s[10:11]
	v_mov_b32_e32 v106, 0
	ds_read_b64 v[106:107], v106 offset:384
	s_waitcnt lgkmcnt(0)
	v_mul_f64 v[102:103], v[102:103], v[106:107]
	buffer_store_dword v103, off, s[0:3], 0 offset:388
	buffer_store_dword v102, off, s[0:3], 0 offset:384
.LBB113_960:
	s_or_b64 exec, exec, s[8:9]
	buffer_load_dword v102, off, s[0:3], 0 offset:392
	buffer_load_dword v103, off, s[0:3], 0 offset:396
	v_cmp_ne_u32_e32 vcc, 49, v0
	s_waitcnt vmcnt(0)
	ds_write_b64 v104, v[102:103]
	s_waitcnt lgkmcnt(0)
	; wave barrier
	s_waitcnt lgkmcnt(0)
	s_and_saveexec_b64 s[8:9], vcc
	s_cbranch_execz .LBB113_970
; %bb.961:
	s_and_b64 vcc, exec, s[4:5]
	s_cbranch_vccnz .LBB113_963
; %bb.962:
	buffer_load_dword v102, v105, s[0:3], 0 offen
	buffer_load_dword v103, v105, s[0:3], 0 offen offset:4
	ds_read_b64 v[106:107], v104
	s_waitcnt vmcnt(0) lgkmcnt(0)
	v_mul_f64 v[102:103], v[102:103], v[106:107]
	s_cbranch_execz .LBB113_964
	s_branch .LBB113_965
.LBB113_963:
                                        ; implicit-def: $vgpr102_vgpr103
.LBB113_964:
	ds_read_b64 v[102:103], v104
.LBB113_965:
	s_and_saveexec_b64 s[4:5], s[6:7]
	s_cbranch_execz .LBB113_969
; %bb.966:
	v_mov_b32_e32 v105, 0
	v_add_u32_e32 v104, 0x198, v1
	v_add3_u32 v1, v1, v105, 8
	s_mov_b64 s[6:7], 0
.LBB113_967:                            ; =>This Inner Loop Header: Depth=1
	buffer_load_dword v106, v1, s[0:3], 0 offen
	buffer_load_dword v107, v1, s[0:3], 0 offen offset:4
	ds_read_b64 v[108:109], v104
	v_add_u32_e32 v0, 1, v0
	v_cmp_lt_u32_e32 vcc, 47, v0
	v_add_u32_e32 v104, 8, v104
	v_add_u32_e32 v1, 8, v1
	s_or_b64 s[6:7], vcc, s[6:7]
	s_waitcnt vmcnt(0) lgkmcnt(0)
	v_fmac_f64_e32 v[102:103], v[106:107], v[108:109]
	s_andn2_b64 exec, exec, s[6:7]
	s_cbranch_execnz .LBB113_967
; %bb.968:
	s_or_b64 exec, exec, s[6:7]
.LBB113_969:
	s_or_b64 exec, exec, s[4:5]
	v_mov_b32_e32 v0, 0
	ds_read_b64 v[0:1], v0 offset:392
	s_waitcnt lgkmcnt(0)
	v_mul_f64 v[0:1], v[102:103], v[0:1]
	buffer_store_dword v1, off, s[0:3], 0 offset:396
	buffer_store_dword v0, off, s[0:3], 0 offset:392
.LBB113_970:
	s_or_b64 exec, exec, s[8:9]
.LBB113_971:
	buffer_load_dword v0, off, s[0:3], 0
	buffer_load_dword v1, off, s[0:3], 0 offset:4
	buffer_load_dword v102, off, s[0:3], 0 offset:8
	buffer_load_dword v103, off, s[0:3], 0 offset:12
	buffer_load_dword v104, off, s[0:3], 0 offset:16
	buffer_load_dword v105, off, s[0:3], 0 offset:20
	buffer_load_dword v106, off, s[0:3], 0 offset:24
	buffer_load_dword v107, off, s[0:3], 0 offset:28
	buffer_load_dword v108, off, s[0:3], 0 offset:32
	buffer_load_dword v109, off, s[0:3], 0 offset:36
	buffer_load_dword v110, off, s[0:3], 0 offset:40
	buffer_load_dword v111, off, s[0:3], 0 offset:44
	buffer_load_dword v112, off, s[0:3], 0 offset:48
	buffer_load_dword v113, off, s[0:3], 0 offset:52
	buffer_load_dword v114, off, s[0:3], 0 offset:56
	buffer_load_dword v115, off, s[0:3], 0 offset:60
	s_waitcnt vmcnt(14)
	global_store_dwordx2 v[98:99], v[0:1], off
	s_waitcnt vmcnt(13)
	global_store_dwordx2 v[100:101], v[102:103], off
	;; [unrolled: 2-line block ×8, first 2 shown]
	buffer_load_dword v1, off, s[0:3], 0 offset:68
	buffer_load_dword v0, off, s[0:3], 0 offset:64
	s_waitcnt vmcnt(0)
	global_store_dwordx2 v[20:21], v[0:1], off
	buffer_load_dword v0, off, s[0:3], 0 offset:72
	s_nop 0
	buffer_load_dword v1, off, s[0:3], 0 offset:76
	s_waitcnt vmcnt(0)
	global_store_dwordx2 v[12:13], v[0:1], off
	buffer_load_dword v0, off, s[0:3], 0 offset:80
	s_nop 0
	;; [unrolled: 5-line block ×41, first 2 shown]
	buffer_load_dword v1, off, s[0:3], 0 offset:396
	s_waitcnt vmcnt(0)
	global_store_dwordx2 v[82:83], v[0:1], off
.LBB113_972:
	s_endpgm
	.section	.rodata,"a",@progbits
	.p2align	6, 0x0
	.amdhsa_kernel _ZN9rocsolver6v33100L18trti2_kernel_smallILi50EdPKPdEEv13rocblas_fill_17rocblas_diagonal_T1_iil
		.amdhsa_group_segment_fixed_size 800
		.amdhsa_private_segment_fixed_size 416
		.amdhsa_kernarg_size 32
		.amdhsa_user_sgpr_count 8
		.amdhsa_user_sgpr_private_segment_buffer 1
		.amdhsa_user_sgpr_dispatch_ptr 0
		.amdhsa_user_sgpr_queue_ptr 0
		.amdhsa_user_sgpr_kernarg_segment_ptr 1
		.amdhsa_user_sgpr_dispatch_id 0
		.amdhsa_user_sgpr_flat_scratch_init 1
		.amdhsa_user_sgpr_kernarg_preload_length 0
		.amdhsa_user_sgpr_kernarg_preload_offset 0
		.amdhsa_user_sgpr_private_segment_size 0
		.amdhsa_uses_dynamic_stack 0
		.amdhsa_system_sgpr_private_segment_wavefront_offset 1
		.amdhsa_system_sgpr_workgroup_id_x 1
		.amdhsa_system_sgpr_workgroup_id_y 0
		.amdhsa_system_sgpr_workgroup_id_z 0
		.amdhsa_system_sgpr_workgroup_info 0
		.amdhsa_system_vgpr_workitem_id 0
		.amdhsa_next_free_vgpr 164
		.amdhsa_next_free_sgpr 16
		.amdhsa_accum_offset 164
		.amdhsa_reserve_vcc 1
		.amdhsa_reserve_flat_scratch 0
		.amdhsa_float_round_mode_32 0
		.amdhsa_float_round_mode_16_64 0
		.amdhsa_float_denorm_mode_32 3
		.amdhsa_float_denorm_mode_16_64 3
		.amdhsa_dx10_clamp 1
		.amdhsa_ieee_mode 1
		.amdhsa_fp16_overflow 0
		.amdhsa_tg_split 0
		.amdhsa_exception_fp_ieee_invalid_op 0
		.amdhsa_exception_fp_denorm_src 0
		.amdhsa_exception_fp_ieee_div_zero 0
		.amdhsa_exception_fp_ieee_overflow 0
		.amdhsa_exception_fp_ieee_underflow 0
		.amdhsa_exception_fp_ieee_inexact 0
		.amdhsa_exception_int_div_zero 0
	.end_amdhsa_kernel
	.section	.text._ZN9rocsolver6v33100L18trti2_kernel_smallILi50EdPKPdEEv13rocblas_fill_17rocblas_diagonal_T1_iil,"axG",@progbits,_ZN9rocsolver6v33100L18trti2_kernel_smallILi50EdPKPdEEv13rocblas_fill_17rocblas_diagonal_T1_iil,comdat
.Lfunc_end113:
	.size	_ZN9rocsolver6v33100L18trti2_kernel_smallILi50EdPKPdEEv13rocblas_fill_17rocblas_diagonal_T1_iil, .Lfunc_end113-_ZN9rocsolver6v33100L18trti2_kernel_smallILi50EdPKPdEEv13rocblas_fill_17rocblas_diagonal_T1_iil
                                        ; -- End function
	.section	.AMDGPU.csdata,"",@progbits
; Kernel info:
; codeLenInByte = 29368
; NumSgprs: 20
; NumVgprs: 164
; NumAgprs: 0
; TotalNumVgprs: 164
; ScratchSize: 416
; MemoryBound: 0
; FloatMode: 240
; IeeeMode: 1
; LDSByteSize: 800 bytes/workgroup (compile time only)
; SGPRBlocks: 2
; VGPRBlocks: 20
; NumSGPRsForWavesPerEU: 20
; NumVGPRsForWavesPerEU: 164
; AccumOffset: 164
; Occupancy: 3
; WaveLimiterHint : 1
; COMPUTE_PGM_RSRC2:SCRATCH_EN: 1
; COMPUTE_PGM_RSRC2:USER_SGPR: 8
; COMPUTE_PGM_RSRC2:TRAP_HANDLER: 0
; COMPUTE_PGM_RSRC2:TGID_X_EN: 1
; COMPUTE_PGM_RSRC2:TGID_Y_EN: 0
; COMPUTE_PGM_RSRC2:TGID_Z_EN: 0
; COMPUTE_PGM_RSRC2:TIDIG_COMP_CNT: 0
; COMPUTE_PGM_RSRC3_GFX90A:ACCUM_OFFSET: 40
; COMPUTE_PGM_RSRC3_GFX90A:TG_SPLIT: 0
	.section	.text._ZN9rocsolver6v33100L18trti2_kernel_smallILi51EdPKPdEEv13rocblas_fill_17rocblas_diagonal_T1_iil,"axG",@progbits,_ZN9rocsolver6v33100L18trti2_kernel_smallILi51EdPKPdEEv13rocblas_fill_17rocblas_diagonal_T1_iil,comdat
	.globl	_ZN9rocsolver6v33100L18trti2_kernel_smallILi51EdPKPdEEv13rocblas_fill_17rocblas_diagonal_T1_iil ; -- Begin function _ZN9rocsolver6v33100L18trti2_kernel_smallILi51EdPKPdEEv13rocblas_fill_17rocblas_diagonal_T1_iil
	.p2align	8
	.type	_ZN9rocsolver6v33100L18trti2_kernel_smallILi51EdPKPdEEv13rocblas_fill_17rocblas_diagonal_T1_iil,@function
_ZN9rocsolver6v33100L18trti2_kernel_smallILi51EdPKPdEEv13rocblas_fill_17rocblas_diagonal_T1_iil: ; @_ZN9rocsolver6v33100L18trti2_kernel_smallILi51EdPKPdEEv13rocblas_fill_17rocblas_diagonal_T1_iil
; %bb.0:
	s_add_u32 s0, s0, s9
	s_addc_u32 s1, s1, 0
	v_cmp_gt_u32_e32 vcc, 51, v0
	s_and_saveexec_b64 s[6:7], vcc
	s_cbranch_execz .LBB114_992
; %bb.1:
	s_load_dwordx2 s[6:7], s[4:5], 0x10
	s_load_dwordx4 s[12:15], s[4:5], 0x0
	s_ashr_i32 s9, s8, 31
	s_lshl_b64 s[4:5], s[8:9], 3
	s_waitcnt lgkmcnt(0)
	s_ashr_i32 s9, s6, 31
	s_add_u32 s4, s14, s4
	s_addc_u32 s5, s15, s5
	s_load_dwordx2 s[4:5], s[4:5], 0x0
	s_mov_b32 s8, s6
	s_lshl_b64 s[8:9], s[8:9], 3
	s_waitcnt lgkmcnt(0)
	s_add_u32 s4, s4, s8
	s_addc_u32 s5, s5, s9
	s_add_i32 s6, s7, s7
	v_add_u32_e32 v4, s6, v0
	v_ashrrev_i32_e32 v5, 31, v4
	v_lshlrev_b64 v[2:3], 3, v[4:5]
	v_add_u32_e32 v6, s7, v4
	v_mov_b32_e32 v1, s5
	v_add_co_u32_e32 v2, vcc, s4, v2
	v_ashrrev_i32_e32 v7, 31, v6
	v_addc_co_u32_e32 v3, vcc, v1, v3, vcc
	v_lshlrev_b64 v[4:5], 3, v[6:7]
	v_add_u32_e32 v8, s7, v6
	v_add_co_u32_e32 v4, vcc, s4, v4
	v_ashrrev_i32_e32 v9, 31, v8
	v_addc_co_u32_e32 v5, vcc, v1, v5, vcc
	v_lshlrev_b64 v[6:7], 3, v[8:9]
	v_add_u32_e32 v10, s7, v8
	;; [unrolled: 5-line block ×5, first 2 shown]
	v_add_co_u32_e32 v14, vcc, s4, v14
	v_ashrrev_i32_e32 v13, 31, v12
	v_addc_co_u32_e32 v15, vcc, v1, v15, vcc
	v_lshlrev_b64 v[16:17], 3, v[12:13]
	v_add_co_u32_e32 v20, vcc, s4, v16
	v_add_u32_e32 v16, s7, v12
	v_addc_co_u32_e32 v21, vcc, v1, v17, vcc
	v_ashrrev_i32_e32 v17, 31, v16
	v_lshlrev_b64 v[12:13], 3, v[16:17]
	v_add_u32_e32 v18, s7, v16
	v_add_co_u32_e32 v12, vcc, s4, v12
	v_ashrrev_i32_e32 v19, 31, v18
	v_addc_co_u32_e32 v13, vcc, v1, v13, vcc
	v_lshlrev_b64 v[16:17], 3, v[18:19]
	v_add_u32_e32 v22, s7, v18
	v_add_co_u32_e32 v16, vcc, s4, v16
	v_ashrrev_i32_e32 v23, 31, v22
	v_addc_co_u32_e32 v17, vcc, v1, v17, vcc
	;; [unrolled: 5-line block ×33, first 2 shown]
	v_lshlrev_b64 v[82:83], 3, v[84:85]
	v_add_co_u32_e32 v82, vcc, s4, v82
	v_add_u32_e32 v84, s7, v84
	v_addc_co_u32_e32 v83, vcc, v1, v83, vcc
	v_ashrrev_i32_e32 v85, 31, v84
	v_lshlrev_b32_e32 v1, 3, v0
	v_lshlrev_b64 v[86:87], 3, v[84:85]
	v_mov_b32_e32 v85, s5
	v_add_co_u32_e32 v100, vcc, s4, v1
	s_ashr_i32 s9, s7, 31
	s_mov_b32 s8, s7
	v_addc_co_u32_e32 v101, vcc, 0, v85, vcc
	s_lshl_b64 s[8:9], s[8:9], 3
	v_mov_b32_e32 v85, s9
	v_add_co_u32_e32 v102, vcc, s8, v100
	global_load_dwordx2 v[104:105], v1, s[4:5]
	global_load_dwordx2 v[108:109], v[2:3], off
	global_load_dwordx2 v[110:111], v[4:5], off
	;; [unrolled: 1-line block ×3, first 2 shown]
	v_addc_co_u32_e32 v103, vcc, v101, v85, vcc
	global_load_dwordx2 v[106:107], v[102:103], off
	global_load_dwordx2 v[114:115], v[8:9], off
	;; [unrolled: 1-line block ×17, first 2 shown]
	v_add_u32_e32 v84, s7, v84
	v_mov_b32_e32 v88, s5
	v_add_co_u32_e32 v86, vcc, s4, v86
	v_ashrrev_i32_e32 v85, 31, v84
	v_addc_co_u32_e32 v87, vcc, v88, v87, vcc
	v_lshlrev_b64 v[88:89], 3, v[84:85]
	v_add_u32_e32 v84, s7, v84
	v_mov_b32_e32 v90, s5
	v_add_co_u32_e32 v88, vcc, s4, v88
	v_ashrrev_i32_e32 v85, 31, v84
	v_addc_co_u32_e32 v89, vcc, v90, v89, vcc
	v_lshlrev_b64 v[90:91], 3, v[84:85]
	;; [unrolled: 6-line block ×7, first 2 shown]
	v_add_co_u32_e32 v84, vcc, s4, v84
	v_addc_co_u32_e32 v85, vcc, v146, v85, vcc
	global_load_dwordx2 v[146:147], v[84:85], off
	s_waitcnt vmcnt(21)
	buffer_store_dword v105, off, s[0:3], 0 offset:4
	buffer_store_dword v104, off, s[0:3], 0
	s_waitcnt vmcnt(19)
	buffer_store_dword v107, off, s[0:3], 0 offset:12
	buffer_store_dword v106, off, s[0:3], 0 offset:8
	;; [unrolled: 1-line block ×8, first 2 shown]
	s_waitcnt vmcnt(26)
	buffer_store_dword v115, off, s[0:3], 0 offset:44
	buffer_store_dword v114, off, s[0:3], 0 offset:40
	s_waitcnt vmcnt(27)
	buffer_store_dword v117, off, s[0:3], 0 offset:52
	buffer_store_dword v116, off, s[0:3], 0 offset:48
	global_load_dwordx2 v[104:105], v[40:41], off
	global_load_dwordx2 v[106:107], v[42:43], off
	;; [unrolled: 1-line block ×15, first 2 shown]
	s_cmpk_lg_i32 s13, 0x84
	s_waitcnt vmcnt(43)
	buffer_store_dword v119, off, s[0:3], 0 offset:60
	buffer_store_dword v118, off, s[0:3], 0 offset:56
	global_load_dwordx2 v[118:119], v[54:55], off
	s_cselect_b64 s[8:9], -1, 0
	s_waitcnt vmcnt(45)
	buffer_store_dword v121, off, s[0:3], 0 offset:68
	buffer_store_dword v120, off, s[0:3], 0 offset:64
	global_load_dwordx2 v[120:121], v[56:57], off
	s_cmpk_eq_i32 s13, 0x84
	s_waitcnt vmcnt(47)
	buffer_store_dword v122, off, s[0:3], 0 offset:72
	buffer_store_dword v123, off, s[0:3], 0 offset:76
	global_load_dwordx2 v[122:123], v[58:59], off
	s_waitcnt vmcnt(49)
	buffer_store_dword v124, off, s[0:3], 0 offset:80
	buffer_store_dword v125, off, s[0:3], 0 offset:84
	global_load_dwordx2 v[124:125], v[60:61], off
	;; [unrolled: 4-line block ×9, first 2 shown]
	s_nop 0
	buffer_store_dword v140, off, s[0:3], 0 offset:144
	buffer_store_dword v141, off, s[0:3], 0 offset:148
	global_load_dwordx2 v[140:141], v[90:91], off
	s_waitcnt vmcnt(62)
	buffer_store_dword v143, off, s[0:3], 0 offset:156
	buffer_store_dword v142, off, s[0:3], 0 offset:152
	global_load_dwordx2 v[142:143], v[94:95], off
	s_nop 0
	buffer_store_dword v145, off, s[0:3], 0 offset:164
	buffer_store_dword v144, off, s[0:3], 0 offset:160
	global_load_dwordx2 v[144:145], v[98:99], off
	s_waitcnt vmcnt(56)
	buffer_store_dword v104, off, s[0:3], 0 offset:168
	buffer_store_dword v105, off, s[0:3], 0 offset:172
	s_waitcnt vmcnt(57)
	buffer_store_dword v106, off, s[0:3], 0 offset:176
	buffer_store_dword v107, off, s[0:3], 0 offset:180
	;; [unrolled: 3-line block ×13, first 2 shown]
	buffer_store_dword v148, off, s[0:3], 0 offset:272
	buffer_store_dword v149, off, s[0:3], 0 offset:276
	s_waitcnt vmcnt(49)
	buffer_store_dword v130, off, s[0:3], 0 offset:280
	buffer_store_dword v131, off, s[0:3], 0 offset:284
	buffer_store_dword v150, off, s[0:3], 0 offset:288
	buffer_store_dword v151, off, s[0:3], 0 offset:292
	s_waitcnt vmcnt(50)
	buffer_store_dword v133, off, s[0:3], 0 offset:300
	buffer_store_dword v132, off, s[0:3], 0 offset:296
	;; [unrolled: 5-line block ×8, first 2 shown]
	buffer_store_dword v147, off, s[0:3], 0 offset:404
	buffer_store_dword v146, off, s[0:3], 0 offset:400
	v_mov_b32_e32 v104, 0
	v_mov_b32_e32 v155, 0
	;; [unrolled: 1-line block ×3, first 2 shown]
	s_cbranch_scc1 .LBB114_3
; %bb.2:
	v_lshl_add_u32 v114, v0, 3, v155
	buffer_load_dword v104, v114, s[0:3], 0 offen
	buffer_load_dword v105, v114, s[0:3], 0 offen offset:4
	s_waitcnt vmcnt(0)
	v_div_scale_f64 v[106:107], s[4:5], v[104:105], v[104:105], 1.0
	v_rcp_f64_e32 v[108:109], v[106:107]
	v_div_scale_f64 v[110:111], vcc, 1.0, v[104:105], 1.0
	v_fma_f64 v[112:113], -v[106:107], v[108:109], 1.0
	v_fmac_f64_e32 v[108:109], v[108:109], v[112:113]
	v_fma_f64 v[112:113], -v[106:107], v[108:109], 1.0
	v_fmac_f64_e32 v[108:109], v[108:109], v[112:113]
	v_mul_f64 v[112:113], v[110:111], v[108:109]
	v_fma_f64 v[106:107], -v[106:107], v[112:113], v[110:111]
	v_div_fmas_f64 v[106:107], v[106:107], v[108:109], v[112:113]
	v_div_fixup_f64 v[104:105], v[106:107], v[104:105], 1.0
	buffer_store_dword v104, v114, s[0:3], 0 offen
	buffer_store_dword v105, v114, s[0:3], 0 offen offset:4
	v_xor_b32_e32 v105, 0x80000000, v105
.LBB114_3:
	s_cmpk_eq_i32 s12, 0x79
	v_add_u32_e32 v106, 0x1a0, v1
	v_add_u32_e32 v107, 0, v1
	s_mov_b64 s[4:5], -1
	ds_write_b64 v1, v[104:105]
	s_cbranch_scc1 .LBB114_497
; %bb.4:
	buffer_load_dword v104, off, s[0:3], 0 offset:392
	buffer_load_dword v105, off, s[0:3], 0 offset:396
	v_cmp_eq_u32_e64 s[4:5], 50, v0
	s_waitcnt vmcnt(0)
	ds_write_b64 v106, v[104:105]
	s_waitcnt lgkmcnt(0)
	; wave barrier
	s_waitcnt lgkmcnt(0)
	s_and_saveexec_b64 s[6:7], s[4:5]
	s_cbranch_execz .LBB114_10
; %bb.5:
	s_and_b64 vcc, exec, s[8:9]
	s_cbranch_vccz .LBB114_7
; %bb.6:
	buffer_load_dword v104, v107, s[0:3], 0 offen
	buffer_load_dword v105, v107, s[0:3], 0 offen offset:4
	ds_read_b64 v[108:109], v106
	s_waitcnt vmcnt(0) lgkmcnt(0)
	v_mul_f64 v[104:105], v[104:105], v[108:109]
	s_cbranch_execz .LBB114_8
	s_branch .LBB114_9
.LBB114_7:
                                        ; implicit-def: $vgpr104_vgpr105
.LBB114_8:
	ds_read_b64 v[104:105], v106
.LBB114_9:
	v_mov_b32_e32 v108, 0
	ds_read_b64 v[108:109], v108 offset:392
	s_waitcnt lgkmcnt(0)
	v_mul_f64 v[104:105], v[104:105], v[108:109]
	buffer_store_dword v105, off, s[0:3], 0 offset:396
	buffer_store_dword v104, off, s[0:3], 0 offset:392
.LBB114_10:
	s_or_b64 exec, exec, s[6:7]
	buffer_load_dword v104, off, s[0:3], 0 offset:384
	buffer_load_dword v105, off, s[0:3], 0 offset:388
	v_or_b32_e32 v108, 8, v155
	v_add_u32_e32 v109, 16, v155
	v_add_u32_e32 v110, 24, v155
	;; [unrolled: 1-line block ×47, first 2 shown]
	v_cmp_lt_u32_e64 s[6:7], 48, v0
	s_waitcnt vmcnt(0)
	ds_write_b64 v106, v[104:105]
	s_waitcnt lgkmcnt(0)
	; wave barrier
	s_waitcnt lgkmcnt(0)
	s_and_saveexec_b64 s[10:11], s[6:7]
	s_cbranch_execz .LBB114_16
; %bb.11:
	s_andn2_b64 vcc, exec, s[8:9]
	s_cbranch_vccnz .LBB114_13
; %bb.12:
	buffer_load_dword v104, v107, s[0:3], 0 offen
	buffer_load_dword v105, v107, s[0:3], 0 offen offset:4
	ds_read_b64 v[156:157], v106
	s_waitcnt vmcnt(0) lgkmcnt(0)
	v_mul_f64 v[104:105], v[104:105], v[156:157]
	s_cbranch_execz .LBB114_14
	s_branch .LBB114_15
.LBB114_13:
                                        ; implicit-def: $vgpr104_vgpr105
.LBB114_14:
	ds_read_b64 v[104:105], v106
.LBB114_15:
	buffer_load_dword v160, off, s[0:3], 0 offset:392
	buffer_load_dword v161, off, s[0:3], 0 offset:396
	v_mov_b32_e32 v156, 0
	ds_read2_b64 v[156:159], v156 offset0:48 offset1:101
	s_waitcnt vmcnt(0) lgkmcnt(0)
	v_fma_f64 v[158:159], v[160:161], v[158:159], v[104:105]
	v_cndmask_b32_e64 v105, v105, v159, s[4:5]
	v_cndmask_b32_e64 v104, v104, v158, s[4:5]
	v_mul_f64 v[104:105], v[104:105], v[156:157]
	buffer_store_dword v105, off, s[0:3], 0 offset:388
	buffer_store_dword v104, off, s[0:3], 0 offset:384
.LBB114_16:
	s_or_b64 exec, exec, s[10:11]
	buffer_load_dword v104, off, s[0:3], 0 offset:376
	buffer_load_dword v105, off, s[0:3], 0 offset:380
	v_cmp_lt_u32_e64 s[4:5], 47, v0
	s_waitcnt vmcnt(0)
	ds_write_b64 v106, v[104:105]
	s_waitcnt lgkmcnt(0)
	; wave barrier
	s_waitcnt lgkmcnt(0)
	s_and_saveexec_b64 s[10:11], s[4:5]
	s_cbranch_execz .LBB114_26
; %bb.17:
	s_andn2_b64 vcc, exec, s[8:9]
	s_cbranch_vccnz .LBB114_19
; %bb.18:
	buffer_load_dword v104, v107, s[0:3], 0 offen
	buffer_load_dword v105, v107, s[0:3], 0 offen offset:4
	ds_read_b64 v[156:157], v106
	s_waitcnt vmcnt(0) lgkmcnt(0)
	v_mul_f64 v[104:105], v[104:105], v[156:157]
	s_cbranch_execz .LBB114_20
	s_branch .LBB114_21
.LBB114_19:
                                        ; implicit-def: $vgpr104_vgpr105
.LBB114_20:
	ds_read_b64 v[104:105], v106
.LBB114_21:
	s_and_saveexec_b64 s[12:13], s[6:7]
	s_cbranch_execz .LBB114_25
; %bb.22:
	v_subrev_u32_e32 v156, 48, v0
	s_movk_i32 s14, 0x320
	s_mov_b64 s[6:7], 0
.LBB114_23:                             ; =>This Inner Loop Header: Depth=1
	buffer_load_dword v158, v155, s[0:3], 0 offen
	buffer_load_dword v159, v155, s[0:3], 0 offen offset:4
	v_mov_b32_e32 v157, s14
	ds_read_b64 v[160:161], v157
	v_add_u32_e32 v156, -1, v156
	s_add_i32 s14, s14, 8
	v_cmp_eq_u32_e32 vcc, 0, v156
	v_add_u32_e32 v155, 8, v155
	s_or_b64 s[6:7], vcc, s[6:7]
	s_waitcnt vmcnt(0) lgkmcnt(0)
	v_fmac_f64_e32 v[104:105], v[158:159], v[160:161]
	s_andn2_b64 exec, exec, s[6:7]
	s_cbranch_execnz .LBB114_23
; %bb.24:
	s_or_b64 exec, exec, s[6:7]
.LBB114_25:
	s_or_b64 exec, exec, s[12:13]
	v_mov_b32_e32 v155, 0
	ds_read_b64 v[156:157], v155 offset:376
	s_waitcnt lgkmcnt(0)
	v_mul_f64 v[104:105], v[104:105], v[156:157]
	buffer_store_dword v105, off, s[0:3], 0 offset:380
	buffer_store_dword v104, off, s[0:3], 0 offset:376
.LBB114_26:
	s_or_b64 exec, exec, s[10:11]
	buffer_load_dword v104, off, s[0:3], 0 offset:368
	buffer_load_dword v105, off, s[0:3], 0 offset:372
	v_cmp_lt_u32_e64 s[6:7], 46, v0
	s_waitcnt vmcnt(0)
	ds_write_b64 v106, v[104:105]
	s_waitcnt lgkmcnt(0)
	; wave barrier
	s_waitcnt lgkmcnt(0)
	s_and_saveexec_b64 s[10:11], s[6:7]
	s_cbranch_execz .LBB114_36
; %bb.27:
	s_andn2_b64 vcc, exec, s[8:9]
	s_cbranch_vccnz .LBB114_29
; %bb.28:
	buffer_load_dword v104, v107, s[0:3], 0 offen
	buffer_load_dword v105, v107, s[0:3], 0 offen offset:4
	ds_read_b64 v[156:157], v106
	s_waitcnt vmcnt(0) lgkmcnt(0)
	v_mul_f64 v[104:105], v[104:105], v[156:157]
	s_cbranch_execz .LBB114_30
	s_branch .LBB114_31
.LBB114_29:
                                        ; implicit-def: $vgpr104_vgpr105
.LBB114_30:
	ds_read_b64 v[104:105], v106
.LBB114_31:
	s_and_saveexec_b64 s[12:13], s[4:5]
	s_cbranch_execz .LBB114_35
; %bb.32:
	v_subrev_u32_e32 v155, 47, v0
	s_movk_i32 s14, 0x318
	s_mov_b64 s[4:5], 0
.LBB114_33:                             ; =>This Inner Loop Header: Depth=1
	buffer_load_dword v156, v154, s[0:3], 0 offen
	buffer_load_dword v157, v154, s[0:3], 0 offen offset:4
	v_mov_b32_e32 v158, s14
	ds_read_b64 v[158:159], v158
	v_add_u32_e32 v155, -1, v155
	s_add_i32 s14, s14, 8
	v_cmp_eq_u32_e32 vcc, 0, v155
	v_add_u32_e32 v154, 8, v154
	s_or_b64 s[4:5], vcc, s[4:5]
	s_waitcnt vmcnt(0) lgkmcnt(0)
	v_fmac_f64_e32 v[104:105], v[156:157], v[158:159]
	s_andn2_b64 exec, exec, s[4:5]
	s_cbranch_execnz .LBB114_33
; %bb.34:
	s_or_b64 exec, exec, s[4:5]
.LBB114_35:
	s_or_b64 exec, exec, s[12:13]
	v_mov_b32_e32 v154, 0
	ds_read_b64 v[154:155], v154 offset:368
	s_waitcnt lgkmcnt(0)
	v_mul_f64 v[104:105], v[104:105], v[154:155]
	buffer_store_dword v105, off, s[0:3], 0 offset:372
	buffer_store_dword v104, off, s[0:3], 0 offset:368
.LBB114_36:
	s_or_b64 exec, exec, s[10:11]
	buffer_load_dword v104, off, s[0:3], 0 offset:360
	buffer_load_dword v105, off, s[0:3], 0 offset:364
	v_cmp_lt_u32_e64 s[4:5], 45, v0
	s_waitcnt vmcnt(0)
	ds_write_b64 v106, v[104:105]
	s_waitcnt lgkmcnt(0)
	; wave barrier
	s_waitcnt lgkmcnt(0)
	s_and_saveexec_b64 s[10:11], s[4:5]
	s_cbranch_execz .LBB114_46
; %bb.37:
	s_andn2_b64 vcc, exec, s[8:9]
	s_cbranch_vccnz .LBB114_39
; %bb.38:
	buffer_load_dword v104, v107, s[0:3], 0 offen
	buffer_load_dword v105, v107, s[0:3], 0 offen offset:4
	ds_read_b64 v[154:155], v106
	s_waitcnt vmcnt(0) lgkmcnt(0)
	v_mul_f64 v[104:105], v[104:105], v[154:155]
	s_cbranch_execz .LBB114_40
	s_branch .LBB114_41
.LBB114_39:
                                        ; implicit-def: $vgpr104_vgpr105
.LBB114_40:
	ds_read_b64 v[104:105], v106
.LBB114_41:
	s_and_saveexec_b64 s[12:13], s[6:7]
	s_cbranch_execz .LBB114_45
; %bb.42:
	v_subrev_u32_e32 v154, 46, v0
	s_movk_i32 s14, 0x310
	s_mov_b64 s[6:7], 0
.LBB114_43:                             ; =>This Inner Loop Header: Depth=1
	buffer_load_dword v156, v153, s[0:3], 0 offen
	buffer_load_dword v157, v153, s[0:3], 0 offen offset:4
	v_mov_b32_e32 v155, s14
	ds_read_b64 v[158:159], v155
	v_add_u32_e32 v154, -1, v154
	s_add_i32 s14, s14, 8
	v_cmp_eq_u32_e32 vcc, 0, v154
	v_add_u32_e32 v153, 8, v153
	s_or_b64 s[6:7], vcc, s[6:7]
	s_waitcnt vmcnt(0) lgkmcnt(0)
	v_fmac_f64_e32 v[104:105], v[156:157], v[158:159]
	s_andn2_b64 exec, exec, s[6:7]
	s_cbranch_execnz .LBB114_43
; %bb.44:
	s_or_b64 exec, exec, s[6:7]
.LBB114_45:
	s_or_b64 exec, exec, s[12:13]
	v_mov_b32_e32 v153, 0
	ds_read_b64 v[154:155], v153 offset:360
	s_waitcnt lgkmcnt(0)
	v_mul_f64 v[104:105], v[104:105], v[154:155]
	buffer_store_dword v105, off, s[0:3], 0 offset:364
	buffer_store_dword v104, off, s[0:3], 0 offset:360
.LBB114_46:
	s_or_b64 exec, exec, s[10:11]
	buffer_load_dword v104, off, s[0:3], 0 offset:352
	buffer_load_dword v105, off, s[0:3], 0 offset:356
	v_cmp_lt_u32_e64 s[6:7], 44, v0
	s_waitcnt vmcnt(0)
	ds_write_b64 v106, v[104:105]
	s_waitcnt lgkmcnt(0)
	; wave barrier
	s_waitcnt lgkmcnt(0)
	s_and_saveexec_b64 s[10:11], s[6:7]
	s_cbranch_execz .LBB114_56
; %bb.47:
	s_andn2_b64 vcc, exec, s[8:9]
	s_cbranch_vccnz .LBB114_49
; %bb.48:
	buffer_load_dword v104, v107, s[0:3], 0 offen
	buffer_load_dword v105, v107, s[0:3], 0 offen offset:4
	ds_read_b64 v[154:155], v106
	s_waitcnt vmcnt(0) lgkmcnt(0)
	v_mul_f64 v[104:105], v[104:105], v[154:155]
	s_cbranch_execz .LBB114_50
	s_branch .LBB114_51
.LBB114_49:
                                        ; implicit-def: $vgpr104_vgpr105
.LBB114_50:
	ds_read_b64 v[104:105], v106
.LBB114_51:
	s_and_saveexec_b64 s[12:13], s[4:5]
	s_cbranch_execz .LBB114_55
; %bb.52:
	v_subrev_u32_e32 v153, 45, v0
	s_movk_i32 s14, 0x308
	s_mov_b64 s[4:5], 0
.LBB114_53:                             ; =>This Inner Loop Header: Depth=1
	buffer_load_dword v154, v152, s[0:3], 0 offen
	buffer_load_dword v155, v152, s[0:3], 0 offen offset:4
	v_mov_b32_e32 v156, s14
	ds_read_b64 v[156:157], v156
	v_add_u32_e32 v153, -1, v153
	s_add_i32 s14, s14, 8
	v_cmp_eq_u32_e32 vcc, 0, v153
	v_add_u32_e32 v152, 8, v152
	s_or_b64 s[4:5], vcc, s[4:5]
	s_waitcnt vmcnt(0) lgkmcnt(0)
	v_fmac_f64_e32 v[104:105], v[154:155], v[156:157]
	s_andn2_b64 exec, exec, s[4:5]
	s_cbranch_execnz .LBB114_53
; %bb.54:
	s_or_b64 exec, exec, s[4:5]
.LBB114_55:
	s_or_b64 exec, exec, s[12:13]
	v_mov_b32_e32 v152, 0
	ds_read_b64 v[152:153], v152 offset:352
	s_waitcnt lgkmcnt(0)
	v_mul_f64 v[104:105], v[104:105], v[152:153]
	buffer_store_dword v105, off, s[0:3], 0 offset:356
	buffer_store_dword v104, off, s[0:3], 0 offset:352
.LBB114_56:
	s_or_b64 exec, exec, s[10:11]
	buffer_load_dword v104, off, s[0:3], 0 offset:344
	buffer_load_dword v105, off, s[0:3], 0 offset:348
	v_cmp_lt_u32_e64 s[4:5], 43, v0
	s_waitcnt vmcnt(0)
	ds_write_b64 v106, v[104:105]
	s_waitcnt lgkmcnt(0)
	; wave barrier
	s_waitcnt lgkmcnt(0)
	s_and_saveexec_b64 s[10:11], s[4:5]
	s_cbranch_execz .LBB114_66
; %bb.57:
	s_andn2_b64 vcc, exec, s[8:9]
	s_cbranch_vccnz .LBB114_59
; %bb.58:
	buffer_load_dword v104, v107, s[0:3], 0 offen
	buffer_load_dword v105, v107, s[0:3], 0 offen offset:4
	ds_read_b64 v[152:153], v106
	s_waitcnt vmcnt(0) lgkmcnt(0)
	v_mul_f64 v[104:105], v[104:105], v[152:153]
	s_cbranch_execz .LBB114_60
	s_branch .LBB114_61
.LBB114_59:
                                        ; implicit-def: $vgpr104_vgpr105
.LBB114_60:
	ds_read_b64 v[104:105], v106
.LBB114_61:
	s_and_saveexec_b64 s[12:13], s[6:7]
	s_cbranch_execz .LBB114_65
; %bb.62:
	v_subrev_u32_e32 v152, 44, v0
	s_movk_i32 s14, 0x300
	s_mov_b64 s[6:7], 0
.LBB114_63:                             ; =>This Inner Loop Header: Depth=1
	buffer_load_dword v154, v151, s[0:3], 0 offen
	buffer_load_dword v155, v151, s[0:3], 0 offen offset:4
	v_mov_b32_e32 v153, s14
	ds_read_b64 v[156:157], v153
	v_add_u32_e32 v152, -1, v152
	s_add_i32 s14, s14, 8
	v_cmp_eq_u32_e32 vcc, 0, v152
	v_add_u32_e32 v151, 8, v151
	s_or_b64 s[6:7], vcc, s[6:7]
	s_waitcnt vmcnt(0) lgkmcnt(0)
	v_fmac_f64_e32 v[104:105], v[154:155], v[156:157]
	s_andn2_b64 exec, exec, s[6:7]
	s_cbranch_execnz .LBB114_63
; %bb.64:
	s_or_b64 exec, exec, s[6:7]
.LBB114_65:
	s_or_b64 exec, exec, s[12:13]
	v_mov_b32_e32 v151, 0
	ds_read_b64 v[152:153], v151 offset:344
	s_waitcnt lgkmcnt(0)
	v_mul_f64 v[104:105], v[104:105], v[152:153]
	buffer_store_dword v105, off, s[0:3], 0 offset:348
	buffer_store_dword v104, off, s[0:3], 0 offset:344
.LBB114_66:
	s_or_b64 exec, exec, s[10:11]
	buffer_load_dword v104, off, s[0:3], 0 offset:336
	buffer_load_dword v105, off, s[0:3], 0 offset:340
	v_cmp_lt_u32_e64 s[6:7], 42, v0
	s_waitcnt vmcnt(0)
	ds_write_b64 v106, v[104:105]
	s_waitcnt lgkmcnt(0)
	; wave barrier
	s_waitcnt lgkmcnt(0)
	s_and_saveexec_b64 s[10:11], s[6:7]
	s_cbranch_execz .LBB114_76
; %bb.67:
	s_andn2_b64 vcc, exec, s[8:9]
	s_cbranch_vccnz .LBB114_69
; %bb.68:
	buffer_load_dword v104, v107, s[0:3], 0 offen
	buffer_load_dword v105, v107, s[0:3], 0 offen offset:4
	ds_read_b64 v[152:153], v106
	s_waitcnt vmcnt(0) lgkmcnt(0)
	v_mul_f64 v[104:105], v[104:105], v[152:153]
	s_cbranch_execz .LBB114_70
	s_branch .LBB114_71
.LBB114_69:
                                        ; implicit-def: $vgpr104_vgpr105
.LBB114_70:
	ds_read_b64 v[104:105], v106
.LBB114_71:
	s_and_saveexec_b64 s[12:13], s[4:5]
	s_cbranch_execz .LBB114_75
; %bb.72:
	v_subrev_u32_e32 v151, 43, v0
	s_movk_i32 s14, 0x2f8
	s_mov_b64 s[4:5], 0
.LBB114_73:                             ; =>This Inner Loop Header: Depth=1
	buffer_load_dword v152, v150, s[0:3], 0 offen
	buffer_load_dword v153, v150, s[0:3], 0 offen offset:4
	v_mov_b32_e32 v154, s14
	ds_read_b64 v[154:155], v154
	v_add_u32_e32 v151, -1, v151
	s_add_i32 s14, s14, 8
	v_cmp_eq_u32_e32 vcc, 0, v151
	v_add_u32_e32 v150, 8, v150
	s_or_b64 s[4:5], vcc, s[4:5]
	s_waitcnt vmcnt(0) lgkmcnt(0)
	v_fmac_f64_e32 v[104:105], v[152:153], v[154:155]
	s_andn2_b64 exec, exec, s[4:5]
	s_cbranch_execnz .LBB114_73
; %bb.74:
	s_or_b64 exec, exec, s[4:5]
.LBB114_75:
	s_or_b64 exec, exec, s[12:13]
	v_mov_b32_e32 v150, 0
	ds_read_b64 v[150:151], v150 offset:336
	s_waitcnt lgkmcnt(0)
	v_mul_f64 v[104:105], v[104:105], v[150:151]
	buffer_store_dword v105, off, s[0:3], 0 offset:340
	buffer_store_dword v104, off, s[0:3], 0 offset:336
.LBB114_76:
	s_or_b64 exec, exec, s[10:11]
	buffer_load_dword v104, off, s[0:3], 0 offset:328
	buffer_load_dword v105, off, s[0:3], 0 offset:332
	v_cmp_lt_u32_e64 s[4:5], 41, v0
	s_waitcnt vmcnt(0)
	ds_write_b64 v106, v[104:105]
	s_waitcnt lgkmcnt(0)
	; wave barrier
	s_waitcnt lgkmcnt(0)
	s_and_saveexec_b64 s[10:11], s[4:5]
	s_cbranch_execz .LBB114_86
; %bb.77:
	s_andn2_b64 vcc, exec, s[8:9]
	s_cbranch_vccnz .LBB114_79
; %bb.78:
	buffer_load_dword v104, v107, s[0:3], 0 offen
	buffer_load_dword v105, v107, s[0:3], 0 offen offset:4
	ds_read_b64 v[150:151], v106
	s_waitcnt vmcnt(0) lgkmcnt(0)
	v_mul_f64 v[104:105], v[104:105], v[150:151]
	s_cbranch_execz .LBB114_80
	s_branch .LBB114_81
.LBB114_79:
                                        ; implicit-def: $vgpr104_vgpr105
.LBB114_80:
	ds_read_b64 v[104:105], v106
.LBB114_81:
	s_and_saveexec_b64 s[12:13], s[6:7]
	s_cbranch_execz .LBB114_85
; %bb.82:
	v_subrev_u32_e32 v150, 42, v0
	s_movk_i32 s14, 0x2f0
	s_mov_b64 s[6:7], 0
.LBB114_83:                             ; =>This Inner Loop Header: Depth=1
	buffer_load_dword v152, v149, s[0:3], 0 offen
	buffer_load_dword v153, v149, s[0:3], 0 offen offset:4
	v_mov_b32_e32 v151, s14
	ds_read_b64 v[154:155], v151
	v_add_u32_e32 v150, -1, v150
	s_add_i32 s14, s14, 8
	v_cmp_eq_u32_e32 vcc, 0, v150
	v_add_u32_e32 v149, 8, v149
	s_or_b64 s[6:7], vcc, s[6:7]
	s_waitcnt vmcnt(0) lgkmcnt(0)
	v_fmac_f64_e32 v[104:105], v[152:153], v[154:155]
	s_andn2_b64 exec, exec, s[6:7]
	s_cbranch_execnz .LBB114_83
; %bb.84:
	s_or_b64 exec, exec, s[6:7]
.LBB114_85:
	s_or_b64 exec, exec, s[12:13]
	v_mov_b32_e32 v149, 0
	ds_read_b64 v[150:151], v149 offset:328
	s_waitcnt lgkmcnt(0)
	v_mul_f64 v[104:105], v[104:105], v[150:151]
	buffer_store_dword v105, off, s[0:3], 0 offset:332
	buffer_store_dword v104, off, s[0:3], 0 offset:328
.LBB114_86:
	s_or_b64 exec, exec, s[10:11]
	buffer_load_dword v104, off, s[0:3], 0 offset:320
	buffer_load_dword v105, off, s[0:3], 0 offset:324
	v_cmp_lt_u32_e64 s[6:7], 40, v0
	s_waitcnt vmcnt(0)
	ds_write_b64 v106, v[104:105]
	s_waitcnt lgkmcnt(0)
	; wave barrier
	s_waitcnt lgkmcnt(0)
	s_and_saveexec_b64 s[10:11], s[6:7]
	s_cbranch_execz .LBB114_96
; %bb.87:
	s_andn2_b64 vcc, exec, s[8:9]
	s_cbranch_vccnz .LBB114_89
; %bb.88:
	buffer_load_dword v104, v107, s[0:3], 0 offen
	buffer_load_dword v105, v107, s[0:3], 0 offen offset:4
	ds_read_b64 v[150:151], v106
	s_waitcnt vmcnt(0) lgkmcnt(0)
	v_mul_f64 v[104:105], v[104:105], v[150:151]
	s_cbranch_execz .LBB114_90
	s_branch .LBB114_91
.LBB114_89:
                                        ; implicit-def: $vgpr104_vgpr105
.LBB114_90:
	ds_read_b64 v[104:105], v106
.LBB114_91:
	s_and_saveexec_b64 s[12:13], s[4:5]
	s_cbranch_execz .LBB114_95
; %bb.92:
	v_subrev_u32_e32 v149, 41, v0
	s_movk_i32 s14, 0x2e8
	s_mov_b64 s[4:5], 0
.LBB114_93:                             ; =>This Inner Loop Header: Depth=1
	buffer_load_dword v150, v148, s[0:3], 0 offen
	buffer_load_dword v151, v148, s[0:3], 0 offen offset:4
	v_mov_b32_e32 v152, s14
	ds_read_b64 v[152:153], v152
	v_add_u32_e32 v149, -1, v149
	s_add_i32 s14, s14, 8
	v_cmp_eq_u32_e32 vcc, 0, v149
	v_add_u32_e32 v148, 8, v148
	s_or_b64 s[4:5], vcc, s[4:5]
	s_waitcnt vmcnt(0) lgkmcnt(0)
	v_fmac_f64_e32 v[104:105], v[150:151], v[152:153]
	s_andn2_b64 exec, exec, s[4:5]
	s_cbranch_execnz .LBB114_93
; %bb.94:
	s_or_b64 exec, exec, s[4:5]
.LBB114_95:
	s_or_b64 exec, exec, s[12:13]
	v_mov_b32_e32 v148, 0
	ds_read_b64 v[148:149], v148 offset:320
	s_waitcnt lgkmcnt(0)
	v_mul_f64 v[104:105], v[104:105], v[148:149]
	buffer_store_dword v105, off, s[0:3], 0 offset:324
	buffer_store_dword v104, off, s[0:3], 0 offset:320
.LBB114_96:
	s_or_b64 exec, exec, s[10:11]
	buffer_load_dword v104, off, s[0:3], 0 offset:312
	buffer_load_dword v105, off, s[0:3], 0 offset:316
	v_cmp_lt_u32_e64 s[4:5], 39, v0
	s_waitcnt vmcnt(0)
	ds_write_b64 v106, v[104:105]
	s_waitcnt lgkmcnt(0)
	; wave barrier
	s_waitcnt lgkmcnt(0)
	s_and_saveexec_b64 s[10:11], s[4:5]
	s_cbranch_execz .LBB114_106
; %bb.97:
	s_andn2_b64 vcc, exec, s[8:9]
	s_cbranch_vccnz .LBB114_99
; %bb.98:
	buffer_load_dword v104, v107, s[0:3], 0 offen
	buffer_load_dword v105, v107, s[0:3], 0 offen offset:4
	ds_read_b64 v[148:149], v106
	s_waitcnt vmcnt(0) lgkmcnt(0)
	v_mul_f64 v[104:105], v[104:105], v[148:149]
	s_cbranch_execz .LBB114_100
	s_branch .LBB114_101
.LBB114_99:
                                        ; implicit-def: $vgpr104_vgpr105
.LBB114_100:
	ds_read_b64 v[104:105], v106
.LBB114_101:
	s_and_saveexec_b64 s[12:13], s[6:7]
	s_cbranch_execz .LBB114_105
; %bb.102:
	v_subrev_u32_e32 v148, 40, v0
	s_movk_i32 s14, 0x2e0
	s_mov_b64 s[6:7], 0
.LBB114_103:                            ; =>This Inner Loop Header: Depth=1
	buffer_load_dword v150, v147, s[0:3], 0 offen
	buffer_load_dword v151, v147, s[0:3], 0 offen offset:4
	v_mov_b32_e32 v149, s14
	ds_read_b64 v[152:153], v149
	v_add_u32_e32 v148, -1, v148
	s_add_i32 s14, s14, 8
	v_cmp_eq_u32_e32 vcc, 0, v148
	v_add_u32_e32 v147, 8, v147
	s_or_b64 s[6:7], vcc, s[6:7]
	s_waitcnt vmcnt(0) lgkmcnt(0)
	v_fmac_f64_e32 v[104:105], v[150:151], v[152:153]
	s_andn2_b64 exec, exec, s[6:7]
	s_cbranch_execnz .LBB114_103
; %bb.104:
	s_or_b64 exec, exec, s[6:7]
.LBB114_105:
	s_or_b64 exec, exec, s[12:13]
	v_mov_b32_e32 v147, 0
	ds_read_b64 v[148:149], v147 offset:312
	s_waitcnt lgkmcnt(0)
	v_mul_f64 v[104:105], v[104:105], v[148:149]
	buffer_store_dword v105, off, s[0:3], 0 offset:316
	buffer_store_dword v104, off, s[0:3], 0 offset:312
.LBB114_106:
	s_or_b64 exec, exec, s[10:11]
	buffer_load_dword v104, off, s[0:3], 0 offset:304
	buffer_load_dword v105, off, s[0:3], 0 offset:308
	v_cmp_lt_u32_e64 s[6:7], 38, v0
	s_waitcnt vmcnt(0)
	ds_write_b64 v106, v[104:105]
	s_waitcnt lgkmcnt(0)
	; wave barrier
	s_waitcnt lgkmcnt(0)
	s_and_saveexec_b64 s[10:11], s[6:7]
	s_cbranch_execz .LBB114_116
; %bb.107:
	s_andn2_b64 vcc, exec, s[8:9]
	s_cbranch_vccnz .LBB114_109
; %bb.108:
	buffer_load_dword v104, v107, s[0:3], 0 offen
	buffer_load_dword v105, v107, s[0:3], 0 offen offset:4
	ds_read_b64 v[148:149], v106
	s_waitcnt vmcnt(0) lgkmcnt(0)
	v_mul_f64 v[104:105], v[104:105], v[148:149]
	s_cbranch_execz .LBB114_110
	s_branch .LBB114_111
.LBB114_109:
                                        ; implicit-def: $vgpr104_vgpr105
.LBB114_110:
	ds_read_b64 v[104:105], v106
.LBB114_111:
	s_and_saveexec_b64 s[12:13], s[4:5]
	s_cbranch_execz .LBB114_115
; %bb.112:
	v_subrev_u32_e32 v147, 39, v0
	s_movk_i32 s14, 0x2d8
	s_mov_b64 s[4:5], 0
.LBB114_113:                            ; =>This Inner Loop Header: Depth=1
	buffer_load_dword v148, v146, s[0:3], 0 offen
	buffer_load_dword v149, v146, s[0:3], 0 offen offset:4
	v_mov_b32_e32 v150, s14
	ds_read_b64 v[150:151], v150
	v_add_u32_e32 v147, -1, v147
	s_add_i32 s14, s14, 8
	v_cmp_eq_u32_e32 vcc, 0, v147
	v_add_u32_e32 v146, 8, v146
	s_or_b64 s[4:5], vcc, s[4:5]
	s_waitcnt vmcnt(0) lgkmcnt(0)
	v_fmac_f64_e32 v[104:105], v[148:149], v[150:151]
	s_andn2_b64 exec, exec, s[4:5]
	s_cbranch_execnz .LBB114_113
; %bb.114:
	s_or_b64 exec, exec, s[4:5]
.LBB114_115:
	s_or_b64 exec, exec, s[12:13]
	v_mov_b32_e32 v146, 0
	ds_read_b64 v[146:147], v146 offset:304
	s_waitcnt lgkmcnt(0)
	v_mul_f64 v[104:105], v[104:105], v[146:147]
	buffer_store_dword v105, off, s[0:3], 0 offset:308
	buffer_store_dword v104, off, s[0:3], 0 offset:304
.LBB114_116:
	s_or_b64 exec, exec, s[10:11]
	buffer_load_dword v104, off, s[0:3], 0 offset:296
	buffer_load_dword v105, off, s[0:3], 0 offset:300
	v_cmp_lt_u32_e64 s[4:5], 37, v0
	s_waitcnt vmcnt(0)
	ds_write_b64 v106, v[104:105]
	s_waitcnt lgkmcnt(0)
	; wave barrier
	s_waitcnt lgkmcnt(0)
	s_and_saveexec_b64 s[10:11], s[4:5]
	s_cbranch_execz .LBB114_126
; %bb.117:
	s_andn2_b64 vcc, exec, s[8:9]
	s_cbranch_vccnz .LBB114_119
; %bb.118:
	buffer_load_dword v104, v107, s[0:3], 0 offen
	buffer_load_dword v105, v107, s[0:3], 0 offen offset:4
	ds_read_b64 v[146:147], v106
	s_waitcnt vmcnt(0) lgkmcnt(0)
	v_mul_f64 v[104:105], v[104:105], v[146:147]
	s_cbranch_execz .LBB114_120
	s_branch .LBB114_121
.LBB114_119:
                                        ; implicit-def: $vgpr104_vgpr105
.LBB114_120:
	ds_read_b64 v[104:105], v106
.LBB114_121:
	s_and_saveexec_b64 s[12:13], s[6:7]
	s_cbranch_execz .LBB114_125
; %bb.122:
	v_subrev_u32_e32 v146, 38, v0
	s_movk_i32 s14, 0x2d0
	s_mov_b64 s[6:7], 0
.LBB114_123:                            ; =>This Inner Loop Header: Depth=1
	buffer_load_dword v148, v145, s[0:3], 0 offen
	buffer_load_dword v149, v145, s[0:3], 0 offen offset:4
	v_mov_b32_e32 v147, s14
	ds_read_b64 v[150:151], v147
	v_add_u32_e32 v146, -1, v146
	s_add_i32 s14, s14, 8
	v_cmp_eq_u32_e32 vcc, 0, v146
	v_add_u32_e32 v145, 8, v145
	s_or_b64 s[6:7], vcc, s[6:7]
	s_waitcnt vmcnt(0) lgkmcnt(0)
	v_fmac_f64_e32 v[104:105], v[148:149], v[150:151]
	s_andn2_b64 exec, exec, s[6:7]
	s_cbranch_execnz .LBB114_123
; %bb.124:
	s_or_b64 exec, exec, s[6:7]
.LBB114_125:
	s_or_b64 exec, exec, s[12:13]
	v_mov_b32_e32 v145, 0
	ds_read_b64 v[146:147], v145 offset:296
	s_waitcnt lgkmcnt(0)
	v_mul_f64 v[104:105], v[104:105], v[146:147]
	buffer_store_dword v105, off, s[0:3], 0 offset:300
	buffer_store_dword v104, off, s[0:3], 0 offset:296
.LBB114_126:
	s_or_b64 exec, exec, s[10:11]
	buffer_load_dword v104, off, s[0:3], 0 offset:288
	buffer_load_dword v105, off, s[0:3], 0 offset:292
	v_cmp_lt_u32_e64 s[6:7], 36, v0
	s_waitcnt vmcnt(0)
	ds_write_b64 v106, v[104:105]
	s_waitcnt lgkmcnt(0)
	; wave barrier
	s_waitcnt lgkmcnt(0)
	s_and_saveexec_b64 s[10:11], s[6:7]
	s_cbranch_execz .LBB114_136
; %bb.127:
	s_andn2_b64 vcc, exec, s[8:9]
	s_cbranch_vccnz .LBB114_129
; %bb.128:
	buffer_load_dword v104, v107, s[0:3], 0 offen
	buffer_load_dword v105, v107, s[0:3], 0 offen offset:4
	ds_read_b64 v[146:147], v106
	s_waitcnt vmcnt(0) lgkmcnt(0)
	v_mul_f64 v[104:105], v[104:105], v[146:147]
	s_cbranch_execz .LBB114_130
	s_branch .LBB114_131
.LBB114_129:
                                        ; implicit-def: $vgpr104_vgpr105
.LBB114_130:
	ds_read_b64 v[104:105], v106
.LBB114_131:
	s_and_saveexec_b64 s[12:13], s[4:5]
	s_cbranch_execz .LBB114_135
; %bb.132:
	v_subrev_u32_e32 v145, 37, v0
	s_movk_i32 s14, 0x2c8
	s_mov_b64 s[4:5], 0
.LBB114_133:                            ; =>This Inner Loop Header: Depth=1
	buffer_load_dword v146, v144, s[0:3], 0 offen
	buffer_load_dword v147, v144, s[0:3], 0 offen offset:4
	v_mov_b32_e32 v148, s14
	ds_read_b64 v[148:149], v148
	v_add_u32_e32 v145, -1, v145
	s_add_i32 s14, s14, 8
	v_cmp_eq_u32_e32 vcc, 0, v145
	v_add_u32_e32 v144, 8, v144
	s_or_b64 s[4:5], vcc, s[4:5]
	s_waitcnt vmcnt(0) lgkmcnt(0)
	v_fmac_f64_e32 v[104:105], v[146:147], v[148:149]
	s_andn2_b64 exec, exec, s[4:5]
	s_cbranch_execnz .LBB114_133
; %bb.134:
	s_or_b64 exec, exec, s[4:5]
.LBB114_135:
	s_or_b64 exec, exec, s[12:13]
	v_mov_b32_e32 v144, 0
	ds_read_b64 v[144:145], v144 offset:288
	s_waitcnt lgkmcnt(0)
	v_mul_f64 v[104:105], v[104:105], v[144:145]
	buffer_store_dword v105, off, s[0:3], 0 offset:292
	buffer_store_dword v104, off, s[0:3], 0 offset:288
.LBB114_136:
	s_or_b64 exec, exec, s[10:11]
	buffer_load_dword v104, off, s[0:3], 0 offset:280
	buffer_load_dword v105, off, s[0:3], 0 offset:284
	v_cmp_lt_u32_e64 s[4:5], 35, v0
	s_waitcnt vmcnt(0)
	ds_write_b64 v106, v[104:105]
	s_waitcnt lgkmcnt(0)
	; wave barrier
	s_waitcnt lgkmcnt(0)
	s_and_saveexec_b64 s[10:11], s[4:5]
	s_cbranch_execz .LBB114_146
; %bb.137:
	s_andn2_b64 vcc, exec, s[8:9]
	s_cbranch_vccnz .LBB114_139
; %bb.138:
	buffer_load_dword v104, v107, s[0:3], 0 offen
	buffer_load_dword v105, v107, s[0:3], 0 offen offset:4
	ds_read_b64 v[144:145], v106
	s_waitcnt vmcnt(0) lgkmcnt(0)
	v_mul_f64 v[104:105], v[104:105], v[144:145]
	s_cbranch_execz .LBB114_140
	s_branch .LBB114_141
.LBB114_139:
                                        ; implicit-def: $vgpr104_vgpr105
.LBB114_140:
	ds_read_b64 v[104:105], v106
.LBB114_141:
	s_and_saveexec_b64 s[12:13], s[6:7]
	s_cbranch_execz .LBB114_145
; %bb.142:
	v_subrev_u32_e32 v144, 36, v0
	s_movk_i32 s14, 0x2c0
	s_mov_b64 s[6:7], 0
.LBB114_143:                            ; =>This Inner Loop Header: Depth=1
	buffer_load_dword v146, v143, s[0:3], 0 offen
	buffer_load_dword v147, v143, s[0:3], 0 offen offset:4
	v_mov_b32_e32 v145, s14
	ds_read_b64 v[148:149], v145
	v_add_u32_e32 v144, -1, v144
	s_add_i32 s14, s14, 8
	v_cmp_eq_u32_e32 vcc, 0, v144
	v_add_u32_e32 v143, 8, v143
	s_or_b64 s[6:7], vcc, s[6:7]
	s_waitcnt vmcnt(0) lgkmcnt(0)
	v_fmac_f64_e32 v[104:105], v[146:147], v[148:149]
	s_andn2_b64 exec, exec, s[6:7]
	s_cbranch_execnz .LBB114_143
; %bb.144:
	s_or_b64 exec, exec, s[6:7]
.LBB114_145:
	s_or_b64 exec, exec, s[12:13]
	v_mov_b32_e32 v143, 0
	ds_read_b64 v[144:145], v143 offset:280
	s_waitcnt lgkmcnt(0)
	v_mul_f64 v[104:105], v[104:105], v[144:145]
	buffer_store_dword v105, off, s[0:3], 0 offset:284
	buffer_store_dword v104, off, s[0:3], 0 offset:280
.LBB114_146:
	s_or_b64 exec, exec, s[10:11]
	buffer_load_dword v104, off, s[0:3], 0 offset:272
	buffer_load_dword v105, off, s[0:3], 0 offset:276
	v_cmp_lt_u32_e64 s[6:7], 34, v0
	s_waitcnt vmcnt(0)
	ds_write_b64 v106, v[104:105]
	s_waitcnt lgkmcnt(0)
	; wave barrier
	s_waitcnt lgkmcnt(0)
	s_and_saveexec_b64 s[10:11], s[6:7]
	s_cbranch_execz .LBB114_156
; %bb.147:
	s_andn2_b64 vcc, exec, s[8:9]
	s_cbranch_vccnz .LBB114_149
; %bb.148:
	buffer_load_dword v104, v107, s[0:3], 0 offen
	buffer_load_dword v105, v107, s[0:3], 0 offen offset:4
	ds_read_b64 v[144:145], v106
	s_waitcnt vmcnt(0) lgkmcnt(0)
	v_mul_f64 v[104:105], v[104:105], v[144:145]
	s_cbranch_execz .LBB114_150
	s_branch .LBB114_151
.LBB114_149:
                                        ; implicit-def: $vgpr104_vgpr105
.LBB114_150:
	ds_read_b64 v[104:105], v106
.LBB114_151:
	s_and_saveexec_b64 s[12:13], s[4:5]
	s_cbranch_execz .LBB114_155
; %bb.152:
	v_subrev_u32_e32 v143, 35, v0
	s_movk_i32 s14, 0x2b8
	s_mov_b64 s[4:5], 0
.LBB114_153:                            ; =>This Inner Loop Header: Depth=1
	buffer_load_dword v144, v142, s[0:3], 0 offen
	buffer_load_dword v145, v142, s[0:3], 0 offen offset:4
	v_mov_b32_e32 v146, s14
	ds_read_b64 v[146:147], v146
	v_add_u32_e32 v143, -1, v143
	s_add_i32 s14, s14, 8
	v_cmp_eq_u32_e32 vcc, 0, v143
	v_add_u32_e32 v142, 8, v142
	s_or_b64 s[4:5], vcc, s[4:5]
	s_waitcnt vmcnt(0) lgkmcnt(0)
	v_fmac_f64_e32 v[104:105], v[144:145], v[146:147]
	s_andn2_b64 exec, exec, s[4:5]
	s_cbranch_execnz .LBB114_153
; %bb.154:
	s_or_b64 exec, exec, s[4:5]
.LBB114_155:
	s_or_b64 exec, exec, s[12:13]
	v_mov_b32_e32 v142, 0
	ds_read_b64 v[142:143], v142 offset:272
	s_waitcnt lgkmcnt(0)
	v_mul_f64 v[104:105], v[104:105], v[142:143]
	buffer_store_dword v105, off, s[0:3], 0 offset:276
	buffer_store_dword v104, off, s[0:3], 0 offset:272
.LBB114_156:
	s_or_b64 exec, exec, s[10:11]
	buffer_load_dword v104, off, s[0:3], 0 offset:264
	buffer_load_dword v105, off, s[0:3], 0 offset:268
	v_cmp_lt_u32_e64 s[4:5], 33, v0
	s_waitcnt vmcnt(0)
	ds_write_b64 v106, v[104:105]
	s_waitcnt lgkmcnt(0)
	; wave barrier
	s_waitcnt lgkmcnt(0)
	s_and_saveexec_b64 s[10:11], s[4:5]
	s_cbranch_execz .LBB114_166
; %bb.157:
	s_andn2_b64 vcc, exec, s[8:9]
	s_cbranch_vccnz .LBB114_159
; %bb.158:
	buffer_load_dword v104, v107, s[0:3], 0 offen
	buffer_load_dword v105, v107, s[0:3], 0 offen offset:4
	ds_read_b64 v[142:143], v106
	s_waitcnt vmcnt(0) lgkmcnt(0)
	v_mul_f64 v[104:105], v[104:105], v[142:143]
	s_cbranch_execz .LBB114_160
	s_branch .LBB114_161
.LBB114_159:
                                        ; implicit-def: $vgpr104_vgpr105
.LBB114_160:
	ds_read_b64 v[104:105], v106
.LBB114_161:
	s_and_saveexec_b64 s[12:13], s[6:7]
	s_cbranch_execz .LBB114_165
; %bb.162:
	v_subrev_u32_e32 v142, 34, v0
	s_movk_i32 s14, 0x2b0
	s_mov_b64 s[6:7], 0
.LBB114_163:                            ; =>This Inner Loop Header: Depth=1
	buffer_load_dword v144, v141, s[0:3], 0 offen
	buffer_load_dword v145, v141, s[0:3], 0 offen offset:4
	v_mov_b32_e32 v143, s14
	ds_read_b64 v[146:147], v143
	v_add_u32_e32 v142, -1, v142
	s_add_i32 s14, s14, 8
	v_cmp_eq_u32_e32 vcc, 0, v142
	v_add_u32_e32 v141, 8, v141
	s_or_b64 s[6:7], vcc, s[6:7]
	s_waitcnt vmcnt(0) lgkmcnt(0)
	v_fmac_f64_e32 v[104:105], v[144:145], v[146:147]
	s_andn2_b64 exec, exec, s[6:7]
	s_cbranch_execnz .LBB114_163
; %bb.164:
	s_or_b64 exec, exec, s[6:7]
.LBB114_165:
	s_or_b64 exec, exec, s[12:13]
	v_mov_b32_e32 v141, 0
	ds_read_b64 v[142:143], v141 offset:264
	s_waitcnt lgkmcnt(0)
	v_mul_f64 v[104:105], v[104:105], v[142:143]
	buffer_store_dword v105, off, s[0:3], 0 offset:268
	buffer_store_dword v104, off, s[0:3], 0 offset:264
.LBB114_166:
	s_or_b64 exec, exec, s[10:11]
	buffer_load_dword v104, off, s[0:3], 0 offset:256
	buffer_load_dword v105, off, s[0:3], 0 offset:260
	v_cmp_lt_u32_e64 s[6:7], 32, v0
	s_waitcnt vmcnt(0)
	ds_write_b64 v106, v[104:105]
	s_waitcnt lgkmcnt(0)
	; wave barrier
	s_waitcnt lgkmcnt(0)
	s_and_saveexec_b64 s[10:11], s[6:7]
	s_cbranch_execz .LBB114_176
; %bb.167:
	s_andn2_b64 vcc, exec, s[8:9]
	s_cbranch_vccnz .LBB114_169
; %bb.168:
	buffer_load_dword v104, v107, s[0:3], 0 offen
	buffer_load_dword v105, v107, s[0:3], 0 offen offset:4
	ds_read_b64 v[142:143], v106
	s_waitcnt vmcnt(0) lgkmcnt(0)
	v_mul_f64 v[104:105], v[104:105], v[142:143]
	s_cbranch_execz .LBB114_170
	s_branch .LBB114_171
.LBB114_169:
                                        ; implicit-def: $vgpr104_vgpr105
.LBB114_170:
	ds_read_b64 v[104:105], v106
.LBB114_171:
	s_and_saveexec_b64 s[12:13], s[4:5]
	s_cbranch_execz .LBB114_175
; %bb.172:
	v_subrev_u32_e32 v141, 33, v0
	s_movk_i32 s14, 0x2a8
	s_mov_b64 s[4:5], 0
.LBB114_173:                            ; =>This Inner Loop Header: Depth=1
	buffer_load_dword v142, v140, s[0:3], 0 offen
	buffer_load_dword v143, v140, s[0:3], 0 offen offset:4
	v_mov_b32_e32 v144, s14
	ds_read_b64 v[144:145], v144
	v_add_u32_e32 v141, -1, v141
	s_add_i32 s14, s14, 8
	v_cmp_eq_u32_e32 vcc, 0, v141
	v_add_u32_e32 v140, 8, v140
	s_or_b64 s[4:5], vcc, s[4:5]
	s_waitcnt vmcnt(0) lgkmcnt(0)
	v_fmac_f64_e32 v[104:105], v[142:143], v[144:145]
	s_andn2_b64 exec, exec, s[4:5]
	s_cbranch_execnz .LBB114_173
; %bb.174:
	s_or_b64 exec, exec, s[4:5]
.LBB114_175:
	s_or_b64 exec, exec, s[12:13]
	v_mov_b32_e32 v140, 0
	ds_read_b64 v[140:141], v140 offset:256
	s_waitcnt lgkmcnt(0)
	v_mul_f64 v[104:105], v[104:105], v[140:141]
	buffer_store_dword v105, off, s[0:3], 0 offset:260
	buffer_store_dword v104, off, s[0:3], 0 offset:256
.LBB114_176:
	s_or_b64 exec, exec, s[10:11]
	buffer_load_dword v104, off, s[0:3], 0 offset:248
	buffer_load_dword v105, off, s[0:3], 0 offset:252
	v_cmp_lt_u32_e64 s[4:5], 31, v0
	s_waitcnt vmcnt(0)
	ds_write_b64 v106, v[104:105]
	s_waitcnt lgkmcnt(0)
	; wave barrier
	s_waitcnt lgkmcnt(0)
	s_and_saveexec_b64 s[10:11], s[4:5]
	s_cbranch_execz .LBB114_186
; %bb.177:
	s_andn2_b64 vcc, exec, s[8:9]
	s_cbranch_vccnz .LBB114_179
; %bb.178:
	buffer_load_dword v104, v107, s[0:3], 0 offen
	buffer_load_dword v105, v107, s[0:3], 0 offen offset:4
	ds_read_b64 v[140:141], v106
	s_waitcnt vmcnt(0) lgkmcnt(0)
	v_mul_f64 v[104:105], v[104:105], v[140:141]
	s_cbranch_execz .LBB114_180
	s_branch .LBB114_181
.LBB114_179:
                                        ; implicit-def: $vgpr104_vgpr105
.LBB114_180:
	ds_read_b64 v[104:105], v106
.LBB114_181:
	s_and_saveexec_b64 s[12:13], s[6:7]
	s_cbranch_execz .LBB114_185
; %bb.182:
	v_subrev_u32_e32 v140, 32, v0
	s_movk_i32 s14, 0x2a0
	s_mov_b64 s[6:7], 0
.LBB114_183:                            ; =>This Inner Loop Header: Depth=1
	buffer_load_dword v142, v139, s[0:3], 0 offen
	buffer_load_dword v143, v139, s[0:3], 0 offen offset:4
	v_mov_b32_e32 v141, s14
	ds_read_b64 v[144:145], v141
	v_add_u32_e32 v140, -1, v140
	s_add_i32 s14, s14, 8
	v_cmp_eq_u32_e32 vcc, 0, v140
	v_add_u32_e32 v139, 8, v139
	s_or_b64 s[6:7], vcc, s[6:7]
	s_waitcnt vmcnt(0) lgkmcnt(0)
	v_fmac_f64_e32 v[104:105], v[142:143], v[144:145]
	s_andn2_b64 exec, exec, s[6:7]
	s_cbranch_execnz .LBB114_183
; %bb.184:
	s_or_b64 exec, exec, s[6:7]
.LBB114_185:
	s_or_b64 exec, exec, s[12:13]
	v_mov_b32_e32 v139, 0
	ds_read_b64 v[140:141], v139 offset:248
	s_waitcnt lgkmcnt(0)
	v_mul_f64 v[104:105], v[104:105], v[140:141]
	buffer_store_dword v105, off, s[0:3], 0 offset:252
	buffer_store_dword v104, off, s[0:3], 0 offset:248
.LBB114_186:
	s_or_b64 exec, exec, s[10:11]
	buffer_load_dword v104, off, s[0:3], 0 offset:240
	buffer_load_dword v105, off, s[0:3], 0 offset:244
	v_cmp_lt_u32_e64 s[6:7], 30, v0
	s_waitcnt vmcnt(0)
	ds_write_b64 v106, v[104:105]
	s_waitcnt lgkmcnt(0)
	; wave barrier
	s_waitcnt lgkmcnt(0)
	s_and_saveexec_b64 s[10:11], s[6:7]
	s_cbranch_execz .LBB114_196
; %bb.187:
	s_andn2_b64 vcc, exec, s[8:9]
	s_cbranch_vccnz .LBB114_189
; %bb.188:
	buffer_load_dword v104, v107, s[0:3], 0 offen
	buffer_load_dword v105, v107, s[0:3], 0 offen offset:4
	ds_read_b64 v[140:141], v106
	s_waitcnt vmcnt(0) lgkmcnt(0)
	v_mul_f64 v[104:105], v[104:105], v[140:141]
	s_cbranch_execz .LBB114_190
	s_branch .LBB114_191
.LBB114_189:
                                        ; implicit-def: $vgpr104_vgpr105
.LBB114_190:
	ds_read_b64 v[104:105], v106
.LBB114_191:
	s_and_saveexec_b64 s[12:13], s[4:5]
	s_cbranch_execz .LBB114_195
; %bb.192:
	v_subrev_u32_e32 v139, 31, v0
	s_movk_i32 s14, 0x298
	s_mov_b64 s[4:5], 0
.LBB114_193:                            ; =>This Inner Loop Header: Depth=1
	buffer_load_dword v140, v138, s[0:3], 0 offen
	buffer_load_dword v141, v138, s[0:3], 0 offen offset:4
	v_mov_b32_e32 v142, s14
	ds_read_b64 v[142:143], v142
	v_add_u32_e32 v139, -1, v139
	s_add_i32 s14, s14, 8
	v_cmp_eq_u32_e32 vcc, 0, v139
	v_add_u32_e32 v138, 8, v138
	s_or_b64 s[4:5], vcc, s[4:5]
	s_waitcnt vmcnt(0) lgkmcnt(0)
	v_fmac_f64_e32 v[104:105], v[140:141], v[142:143]
	s_andn2_b64 exec, exec, s[4:5]
	s_cbranch_execnz .LBB114_193
; %bb.194:
	s_or_b64 exec, exec, s[4:5]
.LBB114_195:
	s_or_b64 exec, exec, s[12:13]
	v_mov_b32_e32 v138, 0
	ds_read_b64 v[138:139], v138 offset:240
	s_waitcnt lgkmcnt(0)
	v_mul_f64 v[104:105], v[104:105], v[138:139]
	buffer_store_dword v105, off, s[0:3], 0 offset:244
	buffer_store_dword v104, off, s[0:3], 0 offset:240
.LBB114_196:
	s_or_b64 exec, exec, s[10:11]
	buffer_load_dword v104, off, s[0:3], 0 offset:232
	buffer_load_dword v105, off, s[0:3], 0 offset:236
	v_cmp_lt_u32_e64 s[4:5], 29, v0
	s_waitcnt vmcnt(0)
	ds_write_b64 v106, v[104:105]
	s_waitcnt lgkmcnt(0)
	; wave barrier
	s_waitcnt lgkmcnt(0)
	s_and_saveexec_b64 s[10:11], s[4:5]
	s_cbranch_execz .LBB114_206
; %bb.197:
	s_andn2_b64 vcc, exec, s[8:9]
	s_cbranch_vccnz .LBB114_199
; %bb.198:
	buffer_load_dword v104, v107, s[0:3], 0 offen
	buffer_load_dword v105, v107, s[0:3], 0 offen offset:4
	ds_read_b64 v[138:139], v106
	s_waitcnt vmcnt(0) lgkmcnt(0)
	v_mul_f64 v[104:105], v[104:105], v[138:139]
	s_cbranch_execz .LBB114_200
	s_branch .LBB114_201
.LBB114_199:
                                        ; implicit-def: $vgpr104_vgpr105
.LBB114_200:
	ds_read_b64 v[104:105], v106
.LBB114_201:
	s_and_saveexec_b64 s[12:13], s[6:7]
	s_cbranch_execz .LBB114_205
; %bb.202:
	v_subrev_u32_e32 v138, 30, v0
	s_movk_i32 s14, 0x290
	s_mov_b64 s[6:7], 0
.LBB114_203:                            ; =>This Inner Loop Header: Depth=1
	buffer_load_dword v140, v137, s[0:3], 0 offen
	buffer_load_dword v141, v137, s[0:3], 0 offen offset:4
	v_mov_b32_e32 v139, s14
	ds_read_b64 v[142:143], v139
	v_add_u32_e32 v138, -1, v138
	s_add_i32 s14, s14, 8
	v_cmp_eq_u32_e32 vcc, 0, v138
	v_add_u32_e32 v137, 8, v137
	s_or_b64 s[6:7], vcc, s[6:7]
	s_waitcnt vmcnt(0) lgkmcnt(0)
	v_fmac_f64_e32 v[104:105], v[140:141], v[142:143]
	s_andn2_b64 exec, exec, s[6:7]
	s_cbranch_execnz .LBB114_203
; %bb.204:
	s_or_b64 exec, exec, s[6:7]
.LBB114_205:
	s_or_b64 exec, exec, s[12:13]
	v_mov_b32_e32 v137, 0
	ds_read_b64 v[138:139], v137 offset:232
	s_waitcnt lgkmcnt(0)
	v_mul_f64 v[104:105], v[104:105], v[138:139]
	buffer_store_dword v105, off, s[0:3], 0 offset:236
	buffer_store_dword v104, off, s[0:3], 0 offset:232
.LBB114_206:
	s_or_b64 exec, exec, s[10:11]
	buffer_load_dword v104, off, s[0:3], 0 offset:224
	buffer_load_dword v105, off, s[0:3], 0 offset:228
	v_cmp_lt_u32_e64 s[6:7], 28, v0
	s_waitcnt vmcnt(0)
	ds_write_b64 v106, v[104:105]
	s_waitcnt lgkmcnt(0)
	; wave barrier
	s_waitcnt lgkmcnt(0)
	s_and_saveexec_b64 s[10:11], s[6:7]
	s_cbranch_execz .LBB114_216
; %bb.207:
	s_andn2_b64 vcc, exec, s[8:9]
	s_cbranch_vccnz .LBB114_209
; %bb.208:
	buffer_load_dword v104, v107, s[0:3], 0 offen
	buffer_load_dword v105, v107, s[0:3], 0 offen offset:4
	ds_read_b64 v[138:139], v106
	s_waitcnt vmcnt(0) lgkmcnt(0)
	v_mul_f64 v[104:105], v[104:105], v[138:139]
	s_cbranch_execz .LBB114_210
	s_branch .LBB114_211
.LBB114_209:
                                        ; implicit-def: $vgpr104_vgpr105
.LBB114_210:
	ds_read_b64 v[104:105], v106
.LBB114_211:
	s_and_saveexec_b64 s[12:13], s[4:5]
	s_cbranch_execz .LBB114_215
; %bb.212:
	v_subrev_u32_e32 v137, 29, v0
	s_movk_i32 s14, 0x288
	s_mov_b64 s[4:5], 0
.LBB114_213:                            ; =>This Inner Loop Header: Depth=1
	buffer_load_dword v138, v136, s[0:3], 0 offen
	buffer_load_dword v139, v136, s[0:3], 0 offen offset:4
	v_mov_b32_e32 v140, s14
	ds_read_b64 v[140:141], v140
	v_add_u32_e32 v137, -1, v137
	s_add_i32 s14, s14, 8
	v_cmp_eq_u32_e32 vcc, 0, v137
	v_add_u32_e32 v136, 8, v136
	s_or_b64 s[4:5], vcc, s[4:5]
	s_waitcnt vmcnt(0) lgkmcnt(0)
	v_fmac_f64_e32 v[104:105], v[138:139], v[140:141]
	s_andn2_b64 exec, exec, s[4:5]
	s_cbranch_execnz .LBB114_213
; %bb.214:
	s_or_b64 exec, exec, s[4:5]
.LBB114_215:
	s_or_b64 exec, exec, s[12:13]
	v_mov_b32_e32 v136, 0
	ds_read_b64 v[136:137], v136 offset:224
	s_waitcnt lgkmcnt(0)
	v_mul_f64 v[104:105], v[104:105], v[136:137]
	buffer_store_dword v105, off, s[0:3], 0 offset:228
	buffer_store_dword v104, off, s[0:3], 0 offset:224
.LBB114_216:
	s_or_b64 exec, exec, s[10:11]
	buffer_load_dword v104, off, s[0:3], 0 offset:216
	buffer_load_dword v105, off, s[0:3], 0 offset:220
	v_cmp_lt_u32_e64 s[4:5], 27, v0
	s_waitcnt vmcnt(0)
	ds_write_b64 v106, v[104:105]
	s_waitcnt lgkmcnt(0)
	; wave barrier
	s_waitcnt lgkmcnt(0)
	s_and_saveexec_b64 s[10:11], s[4:5]
	s_cbranch_execz .LBB114_226
; %bb.217:
	s_andn2_b64 vcc, exec, s[8:9]
	s_cbranch_vccnz .LBB114_219
; %bb.218:
	buffer_load_dword v104, v107, s[0:3], 0 offen
	buffer_load_dword v105, v107, s[0:3], 0 offen offset:4
	ds_read_b64 v[136:137], v106
	s_waitcnt vmcnt(0) lgkmcnt(0)
	v_mul_f64 v[104:105], v[104:105], v[136:137]
	s_cbranch_execz .LBB114_220
	s_branch .LBB114_221
.LBB114_219:
                                        ; implicit-def: $vgpr104_vgpr105
.LBB114_220:
	ds_read_b64 v[104:105], v106
.LBB114_221:
	s_and_saveexec_b64 s[12:13], s[6:7]
	s_cbranch_execz .LBB114_225
; %bb.222:
	v_subrev_u32_e32 v136, 28, v0
	s_movk_i32 s14, 0x280
	s_mov_b64 s[6:7], 0
.LBB114_223:                            ; =>This Inner Loop Header: Depth=1
	buffer_load_dword v138, v135, s[0:3], 0 offen
	buffer_load_dword v139, v135, s[0:3], 0 offen offset:4
	v_mov_b32_e32 v137, s14
	ds_read_b64 v[140:141], v137
	v_add_u32_e32 v136, -1, v136
	s_add_i32 s14, s14, 8
	v_cmp_eq_u32_e32 vcc, 0, v136
	v_add_u32_e32 v135, 8, v135
	s_or_b64 s[6:7], vcc, s[6:7]
	s_waitcnt vmcnt(0) lgkmcnt(0)
	v_fmac_f64_e32 v[104:105], v[138:139], v[140:141]
	s_andn2_b64 exec, exec, s[6:7]
	s_cbranch_execnz .LBB114_223
; %bb.224:
	s_or_b64 exec, exec, s[6:7]
.LBB114_225:
	s_or_b64 exec, exec, s[12:13]
	v_mov_b32_e32 v135, 0
	ds_read_b64 v[136:137], v135 offset:216
	s_waitcnt lgkmcnt(0)
	v_mul_f64 v[104:105], v[104:105], v[136:137]
	buffer_store_dword v105, off, s[0:3], 0 offset:220
	buffer_store_dword v104, off, s[0:3], 0 offset:216
.LBB114_226:
	s_or_b64 exec, exec, s[10:11]
	buffer_load_dword v104, off, s[0:3], 0 offset:208
	buffer_load_dword v105, off, s[0:3], 0 offset:212
	v_cmp_lt_u32_e64 s[6:7], 26, v0
	s_waitcnt vmcnt(0)
	ds_write_b64 v106, v[104:105]
	s_waitcnt lgkmcnt(0)
	; wave barrier
	s_waitcnt lgkmcnt(0)
	s_and_saveexec_b64 s[10:11], s[6:7]
	s_cbranch_execz .LBB114_236
; %bb.227:
	s_andn2_b64 vcc, exec, s[8:9]
	s_cbranch_vccnz .LBB114_229
; %bb.228:
	buffer_load_dword v104, v107, s[0:3], 0 offen
	buffer_load_dword v105, v107, s[0:3], 0 offen offset:4
	ds_read_b64 v[136:137], v106
	s_waitcnt vmcnt(0) lgkmcnt(0)
	v_mul_f64 v[104:105], v[104:105], v[136:137]
	s_cbranch_execz .LBB114_230
	s_branch .LBB114_231
.LBB114_229:
                                        ; implicit-def: $vgpr104_vgpr105
.LBB114_230:
	ds_read_b64 v[104:105], v106
.LBB114_231:
	s_and_saveexec_b64 s[12:13], s[4:5]
	s_cbranch_execz .LBB114_235
; %bb.232:
	v_subrev_u32_e32 v135, 27, v0
	s_movk_i32 s14, 0x278
	s_mov_b64 s[4:5], 0
.LBB114_233:                            ; =>This Inner Loop Header: Depth=1
	buffer_load_dword v136, v134, s[0:3], 0 offen
	buffer_load_dword v137, v134, s[0:3], 0 offen offset:4
	v_mov_b32_e32 v138, s14
	ds_read_b64 v[138:139], v138
	v_add_u32_e32 v135, -1, v135
	s_add_i32 s14, s14, 8
	v_cmp_eq_u32_e32 vcc, 0, v135
	v_add_u32_e32 v134, 8, v134
	s_or_b64 s[4:5], vcc, s[4:5]
	s_waitcnt vmcnt(0) lgkmcnt(0)
	v_fmac_f64_e32 v[104:105], v[136:137], v[138:139]
	s_andn2_b64 exec, exec, s[4:5]
	s_cbranch_execnz .LBB114_233
; %bb.234:
	s_or_b64 exec, exec, s[4:5]
.LBB114_235:
	s_or_b64 exec, exec, s[12:13]
	v_mov_b32_e32 v134, 0
	ds_read_b64 v[134:135], v134 offset:208
	s_waitcnt lgkmcnt(0)
	v_mul_f64 v[104:105], v[104:105], v[134:135]
	buffer_store_dword v105, off, s[0:3], 0 offset:212
	buffer_store_dword v104, off, s[0:3], 0 offset:208
.LBB114_236:
	s_or_b64 exec, exec, s[10:11]
	buffer_load_dword v104, off, s[0:3], 0 offset:200
	buffer_load_dword v105, off, s[0:3], 0 offset:204
	v_cmp_lt_u32_e64 s[4:5], 25, v0
	s_waitcnt vmcnt(0)
	ds_write_b64 v106, v[104:105]
	s_waitcnt lgkmcnt(0)
	; wave barrier
	s_waitcnt lgkmcnt(0)
	s_and_saveexec_b64 s[10:11], s[4:5]
	s_cbranch_execz .LBB114_246
; %bb.237:
	s_andn2_b64 vcc, exec, s[8:9]
	s_cbranch_vccnz .LBB114_239
; %bb.238:
	buffer_load_dword v104, v107, s[0:3], 0 offen
	buffer_load_dword v105, v107, s[0:3], 0 offen offset:4
	ds_read_b64 v[134:135], v106
	s_waitcnt vmcnt(0) lgkmcnt(0)
	v_mul_f64 v[104:105], v[104:105], v[134:135]
	s_cbranch_execz .LBB114_240
	s_branch .LBB114_241
.LBB114_239:
                                        ; implicit-def: $vgpr104_vgpr105
.LBB114_240:
	ds_read_b64 v[104:105], v106
.LBB114_241:
	s_and_saveexec_b64 s[12:13], s[6:7]
	s_cbranch_execz .LBB114_245
; %bb.242:
	v_subrev_u32_e32 v134, 26, v0
	s_movk_i32 s14, 0x270
	s_mov_b64 s[6:7], 0
.LBB114_243:                            ; =>This Inner Loop Header: Depth=1
	buffer_load_dword v136, v133, s[0:3], 0 offen
	buffer_load_dword v137, v133, s[0:3], 0 offen offset:4
	v_mov_b32_e32 v135, s14
	ds_read_b64 v[138:139], v135
	v_add_u32_e32 v134, -1, v134
	s_add_i32 s14, s14, 8
	v_cmp_eq_u32_e32 vcc, 0, v134
	v_add_u32_e32 v133, 8, v133
	s_or_b64 s[6:7], vcc, s[6:7]
	s_waitcnt vmcnt(0) lgkmcnt(0)
	v_fmac_f64_e32 v[104:105], v[136:137], v[138:139]
	s_andn2_b64 exec, exec, s[6:7]
	s_cbranch_execnz .LBB114_243
; %bb.244:
	s_or_b64 exec, exec, s[6:7]
.LBB114_245:
	s_or_b64 exec, exec, s[12:13]
	v_mov_b32_e32 v133, 0
	ds_read_b64 v[134:135], v133 offset:200
	s_waitcnt lgkmcnt(0)
	v_mul_f64 v[104:105], v[104:105], v[134:135]
	buffer_store_dword v105, off, s[0:3], 0 offset:204
	buffer_store_dword v104, off, s[0:3], 0 offset:200
.LBB114_246:
	s_or_b64 exec, exec, s[10:11]
	buffer_load_dword v104, off, s[0:3], 0 offset:192
	buffer_load_dword v105, off, s[0:3], 0 offset:196
	v_cmp_lt_u32_e64 s[6:7], 24, v0
	s_waitcnt vmcnt(0)
	ds_write_b64 v106, v[104:105]
	s_waitcnt lgkmcnt(0)
	; wave barrier
	s_waitcnt lgkmcnt(0)
	s_and_saveexec_b64 s[10:11], s[6:7]
	s_cbranch_execz .LBB114_256
; %bb.247:
	s_andn2_b64 vcc, exec, s[8:9]
	s_cbranch_vccnz .LBB114_249
; %bb.248:
	buffer_load_dword v104, v107, s[0:3], 0 offen
	buffer_load_dword v105, v107, s[0:3], 0 offen offset:4
	ds_read_b64 v[134:135], v106
	s_waitcnt vmcnt(0) lgkmcnt(0)
	v_mul_f64 v[104:105], v[104:105], v[134:135]
	s_cbranch_execz .LBB114_250
	s_branch .LBB114_251
.LBB114_249:
                                        ; implicit-def: $vgpr104_vgpr105
.LBB114_250:
	ds_read_b64 v[104:105], v106
.LBB114_251:
	s_and_saveexec_b64 s[12:13], s[4:5]
	s_cbranch_execz .LBB114_255
; %bb.252:
	v_subrev_u32_e32 v133, 25, v0
	s_movk_i32 s14, 0x268
	s_mov_b64 s[4:5], 0
.LBB114_253:                            ; =>This Inner Loop Header: Depth=1
	buffer_load_dword v134, v132, s[0:3], 0 offen
	buffer_load_dword v135, v132, s[0:3], 0 offen offset:4
	v_mov_b32_e32 v136, s14
	ds_read_b64 v[136:137], v136
	v_add_u32_e32 v133, -1, v133
	s_add_i32 s14, s14, 8
	v_cmp_eq_u32_e32 vcc, 0, v133
	v_add_u32_e32 v132, 8, v132
	s_or_b64 s[4:5], vcc, s[4:5]
	s_waitcnt vmcnt(0) lgkmcnt(0)
	v_fmac_f64_e32 v[104:105], v[134:135], v[136:137]
	s_andn2_b64 exec, exec, s[4:5]
	s_cbranch_execnz .LBB114_253
; %bb.254:
	s_or_b64 exec, exec, s[4:5]
.LBB114_255:
	s_or_b64 exec, exec, s[12:13]
	v_mov_b32_e32 v132, 0
	ds_read_b64 v[132:133], v132 offset:192
	s_waitcnt lgkmcnt(0)
	v_mul_f64 v[104:105], v[104:105], v[132:133]
	buffer_store_dword v105, off, s[0:3], 0 offset:196
	buffer_store_dword v104, off, s[0:3], 0 offset:192
.LBB114_256:
	s_or_b64 exec, exec, s[10:11]
	buffer_load_dword v104, off, s[0:3], 0 offset:184
	buffer_load_dword v105, off, s[0:3], 0 offset:188
	v_cmp_lt_u32_e64 s[4:5], 23, v0
	s_waitcnt vmcnt(0)
	ds_write_b64 v106, v[104:105]
	s_waitcnt lgkmcnt(0)
	; wave barrier
	s_waitcnt lgkmcnt(0)
	s_and_saveexec_b64 s[10:11], s[4:5]
	s_cbranch_execz .LBB114_266
; %bb.257:
	s_andn2_b64 vcc, exec, s[8:9]
	s_cbranch_vccnz .LBB114_259
; %bb.258:
	buffer_load_dword v104, v107, s[0:3], 0 offen
	buffer_load_dword v105, v107, s[0:3], 0 offen offset:4
	ds_read_b64 v[132:133], v106
	s_waitcnt vmcnt(0) lgkmcnt(0)
	v_mul_f64 v[104:105], v[104:105], v[132:133]
	s_cbranch_execz .LBB114_260
	s_branch .LBB114_261
.LBB114_259:
                                        ; implicit-def: $vgpr104_vgpr105
.LBB114_260:
	ds_read_b64 v[104:105], v106
.LBB114_261:
	s_and_saveexec_b64 s[12:13], s[6:7]
	s_cbranch_execz .LBB114_265
; %bb.262:
	v_subrev_u32_e32 v132, 24, v0
	s_movk_i32 s14, 0x260
	s_mov_b64 s[6:7], 0
.LBB114_263:                            ; =>This Inner Loop Header: Depth=1
	buffer_load_dword v134, v131, s[0:3], 0 offen
	buffer_load_dword v135, v131, s[0:3], 0 offen offset:4
	v_mov_b32_e32 v133, s14
	ds_read_b64 v[136:137], v133
	v_add_u32_e32 v132, -1, v132
	s_add_i32 s14, s14, 8
	v_cmp_eq_u32_e32 vcc, 0, v132
	v_add_u32_e32 v131, 8, v131
	s_or_b64 s[6:7], vcc, s[6:7]
	s_waitcnt vmcnt(0) lgkmcnt(0)
	v_fmac_f64_e32 v[104:105], v[134:135], v[136:137]
	s_andn2_b64 exec, exec, s[6:7]
	s_cbranch_execnz .LBB114_263
; %bb.264:
	s_or_b64 exec, exec, s[6:7]
.LBB114_265:
	s_or_b64 exec, exec, s[12:13]
	v_mov_b32_e32 v131, 0
	ds_read_b64 v[132:133], v131 offset:184
	s_waitcnt lgkmcnt(0)
	v_mul_f64 v[104:105], v[104:105], v[132:133]
	buffer_store_dword v105, off, s[0:3], 0 offset:188
	buffer_store_dword v104, off, s[0:3], 0 offset:184
.LBB114_266:
	s_or_b64 exec, exec, s[10:11]
	buffer_load_dword v104, off, s[0:3], 0 offset:176
	buffer_load_dword v105, off, s[0:3], 0 offset:180
	v_cmp_lt_u32_e64 s[6:7], 22, v0
	s_waitcnt vmcnt(0)
	ds_write_b64 v106, v[104:105]
	s_waitcnt lgkmcnt(0)
	; wave barrier
	s_waitcnt lgkmcnt(0)
	s_and_saveexec_b64 s[10:11], s[6:7]
	s_cbranch_execz .LBB114_276
; %bb.267:
	s_andn2_b64 vcc, exec, s[8:9]
	s_cbranch_vccnz .LBB114_269
; %bb.268:
	buffer_load_dword v104, v107, s[0:3], 0 offen
	buffer_load_dword v105, v107, s[0:3], 0 offen offset:4
	ds_read_b64 v[132:133], v106
	s_waitcnt vmcnt(0) lgkmcnt(0)
	v_mul_f64 v[104:105], v[104:105], v[132:133]
	s_cbranch_execz .LBB114_270
	s_branch .LBB114_271
.LBB114_269:
                                        ; implicit-def: $vgpr104_vgpr105
.LBB114_270:
	ds_read_b64 v[104:105], v106
.LBB114_271:
	s_and_saveexec_b64 s[12:13], s[4:5]
	s_cbranch_execz .LBB114_275
; %bb.272:
	v_subrev_u32_e32 v131, 23, v0
	s_movk_i32 s14, 0x258
	s_mov_b64 s[4:5], 0
.LBB114_273:                            ; =>This Inner Loop Header: Depth=1
	buffer_load_dword v132, v130, s[0:3], 0 offen
	buffer_load_dword v133, v130, s[0:3], 0 offen offset:4
	v_mov_b32_e32 v134, s14
	ds_read_b64 v[134:135], v134
	v_add_u32_e32 v131, -1, v131
	s_add_i32 s14, s14, 8
	v_cmp_eq_u32_e32 vcc, 0, v131
	v_add_u32_e32 v130, 8, v130
	s_or_b64 s[4:5], vcc, s[4:5]
	s_waitcnt vmcnt(0) lgkmcnt(0)
	v_fmac_f64_e32 v[104:105], v[132:133], v[134:135]
	s_andn2_b64 exec, exec, s[4:5]
	s_cbranch_execnz .LBB114_273
; %bb.274:
	s_or_b64 exec, exec, s[4:5]
.LBB114_275:
	s_or_b64 exec, exec, s[12:13]
	v_mov_b32_e32 v130, 0
	ds_read_b64 v[130:131], v130 offset:176
	s_waitcnt lgkmcnt(0)
	v_mul_f64 v[104:105], v[104:105], v[130:131]
	buffer_store_dword v105, off, s[0:3], 0 offset:180
	buffer_store_dword v104, off, s[0:3], 0 offset:176
.LBB114_276:
	s_or_b64 exec, exec, s[10:11]
	buffer_load_dword v104, off, s[0:3], 0 offset:168
	buffer_load_dword v105, off, s[0:3], 0 offset:172
	v_cmp_lt_u32_e64 s[4:5], 21, v0
	s_waitcnt vmcnt(0)
	ds_write_b64 v106, v[104:105]
	s_waitcnt lgkmcnt(0)
	; wave barrier
	s_waitcnt lgkmcnt(0)
	s_and_saveexec_b64 s[10:11], s[4:5]
	s_cbranch_execz .LBB114_286
; %bb.277:
	s_andn2_b64 vcc, exec, s[8:9]
	s_cbranch_vccnz .LBB114_279
; %bb.278:
	buffer_load_dword v104, v107, s[0:3], 0 offen
	buffer_load_dword v105, v107, s[0:3], 0 offen offset:4
	ds_read_b64 v[130:131], v106
	s_waitcnt vmcnt(0) lgkmcnt(0)
	v_mul_f64 v[104:105], v[104:105], v[130:131]
	s_cbranch_execz .LBB114_280
	s_branch .LBB114_281
.LBB114_279:
                                        ; implicit-def: $vgpr104_vgpr105
.LBB114_280:
	ds_read_b64 v[104:105], v106
.LBB114_281:
	s_and_saveexec_b64 s[12:13], s[6:7]
	s_cbranch_execz .LBB114_285
; %bb.282:
	v_subrev_u32_e32 v130, 22, v0
	s_movk_i32 s14, 0x250
	s_mov_b64 s[6:7], 0
.LBB114_283:                            ; =>This Inner Loop Header: Depth=1
	buffer_load_dword v132, v129, s[0:3], 0 offen
	buffer_load_dword v133, v129, s[0:3], 0 offen offset:4
	v_mov_b32_e32 v131, s14
	ds_read_b64 v[134:135], v131
	v_add_u32_e32 v130, -1, v130
	s_add_i32 s14, s14, 8
	v_cmp_eq_u32_e32 vcc, 0, v130
	v_add_u32_e32 v129, 8, v129
	s_or_b64 s[6:7], vcc, s[6:7]
	s_waitcnt vmcnt(0) lgkmcnt(0)
	v_fmac_f64_e32 v[104:105], v[132:133], v[134:135]
	s_andn2_b64 exec, exec, s[6:7]
	s_cbranch_execnz .LBB114_283
; %bb.284:
	s_or_b64 exec, exec, s[6:7]
.LBB114_285:
	s_or_b64 exec, exec, s[12:13]
	v_mov_b32_e32 v129, 0
	ds_read_b64 v[130:131], v129 offset:168
	s_waitcnt lgkmcnt(0)
	v_mul_f64 v[104:105], v[104:105], v[130:131]
	buffer_store_dword v105, off, s[0:3], 0 offset:172
	buffer_store_dword v104, off, s[0:3], 0 offset:168
.LBB114_286:
	s_or_b64 exec, exec, s[10:11]
	buffer_load_dword v104, off, s[0:3], 0 offset:160
	buffer_load_dword v105, off, s[0:3], 0 offset:164
	v_cmp_lt_u32_e64 s[6:7], 20, v0
	s_waitcnt vmcnt(0)
	ds_write_b64 v106, v[104:105]
	s_waitcnt lgkmcnt(0)
	; wave barrier
	s_waitcnt lgkmcnt(0)
	s_and_saveexec_b64 s[10:11], s[6:7]
	s_cbranch_execz .LBB114_296
; %bb.287:
	s_andn2_b64 vcc, exec, s[8:9]
	s_cbranch_vccnz .LBB114_289
; %bb.288:
	buffer_load_dword v104, v107, s[0:3], 0 offen
	buffer_load_dword v105, v107, s[0:3], 0 offen offset:4
	ds_read_b64 v[130:131], v106
	s_waitcnt vmcnt(0) lgkmcnt(0)
	v_mul_f64 v[104:105], v[104:105], v[130:131]
	s_cbranch_execz .LBB114_290
	s_branch .LBB114_291
.LBB114_289:
                                        ; implicit-def: $vgpr104_vgpr105
.LBB114_290:
	ds_read_b64 v[104:105], v106
.LBB114_291:
	s_and_saveexec_b64 s[12:13], s[4:5]
	s_cbranch_execz .LBB114_295
; %bb.292:
	v_subrev_u32_e32 v129, 21, v0
	s_movk_i32 s14, 0x248
	s_mov_b64 s[4:5], 0
.LBB114_293:                            ; =>This Inner Loop Header: Depth=1
	buffer_load_dword v130, v128, s[0:3], 0 offen
	buffer_load_dword v131, v128, s[0:3], 0 offen offset:4
	v_mov_b32_e32 v132, s14
	ds_read_b64 v[132:133], v132
	v_add_u32_e32 v129, -1, v129
	s_add_i32 s14, s14, 8
	v_cmp_eq_u32_e32 vcc, 0, v129
	v_add_u32_e32 v128, 8, v128
	s_or_b64 s[4:5], vcc, s[4:5]
	s_waitcnt vmcnt(0) lgkmcnt(0)
	v_fmac_f64_e32 v[104:105], v[130:131], v[132:133]
	s_andn2_b64 exec, exec, s[4:5]
	s_cbranch_execnz .LBB114_293
; %bb.294:
	s_or_b64 exec, exec, s[4:5]
.LBB114_295:
	s_or_b64 exec, exec, s[12:13]
	v_mov_b32_e32 v128, 0
	ds_read_b64 v[128:129], v128 offset:160
	s_waitcnt lgkmcnt(0)
	v_mul_f64 v[104:105], v[104:105], v[128:129]
	buffer_store_dword v105, off, s[0:3], 0 offset:164
	buffer_store_dword v104, off, s[0:3], 0 offset:160
.LBB114_296:
	s_or_b64 exec, exec, s[10:11]
	buffer_load_dword v104, off, s[0:3], 0 offset:152
	buffer_load_dword v105, off, s[0:3], 0 offset:156
	v_cmp_lt_u32_e64 s[4:5], 19, v0
	s_waitcnt vmcnt(0)
	ds_write_b64 v106, v[104:105]
	s_waitcnt lgkmcnt(0)
	; wave barrier
	s_waitcnt lgkmcnt(0)
	s_and_saveexec_b64 s[10:11], s[4:5]
	s_cbranch_execz .LBB114_306
; %bb.297:
	s_andn2_b64 vcc, exec, s[8:9]
	s_cbranch_vccnz .LBB114_299
; %bb.298:
	buffer_load_dword v104, v107, s[0:3], 0 offen
	buffer_load_dword v105, v107, s[0:3], 0 offen offset:4
	ds_read_b64 v[128:129], v106
	s_waitcnt vmcnt(0) lgkmcnt(0)
	v_mul_f64 v[104:105], v[104:105], v[128:129]
	s_cbranch_execz .LBB114_300
	s_branch .LBB114_301
.LBB114_299:
                                        ; implicit-def: $vgpr104_vgpr105
.LBB114_300:
	ds_read_b64 v[104:105], v106
.LBB114_301:
	s_and_saveexec_b64 s[12:13], s[6:7]
	s_cbranch_execz .LBB114_305
; %bb.302:
	v_subrev_u32_e32 v128, 20, v0
	s_movk_i32 s14, 0x240
	s_mov_b64 s[6:7], 0
.LBB114_303:                            ; =>This Inner Loop Header: Depth=1
	buffer_load_dword v130, v127, s[0:3], 0 offen
	buffer_load_dword v131, v127, s[0:3], 0 offen offset:4
	v_mov_b32_e32 v129, s14
	ds_read_b64 v[132:133], v129
	v_add_u32_e32 v128, -1, v128
	s_add_i32 s14, s14, 8
	v_cmp_eq_u32_e32 vcc, 0, v128
	v_add_u32_e32 v127, 8, v127
	s_or_b64 s[6:7], vcc, s[6:7]
	s_waitcnt vmcnt(0) lgkmcnt(0)
	v_fmac_f64_e32 v[104:105], v[130:131], v[132:133]
	s_andn2_b64 exec, exec, s[6:7]
	s_cbranch_execnz .LBB114_303
; %bb.304:
	s_or_b64 exec, exec, s[6:7]
.LBB114_305:
	s_or_b64 exec, exec, s[12:13]
	v_mov_b32_e32 v127, 0
	ds_read_b64 v[128:129], v127 offset:152
	s_waitcnt lgkmcnt(0)
	v_mul_f64 v[104:105], v[104:105], v[128:129]
	buffer_store_dword v105, off, s[0:3], 0 offset:156
	buffer_store_dword v104, off, s[0:3], 0 offset:152
.LBB114_306:
	s_or_b64 exec, exec, s[10:11]
	buffer_load_dword v104, off, s[0:3], 0 offset:144
	buffer_load_dword v105, off, s[0:3], 0 offset:148
	v_cmp_lt_u32_e64 s[6:7], 18, v0
	s_waitcnt vmcnt(0)
	ds_write_b64 v106, v[104:105]
	s_waitcnt lgkmcnt(0)
	; wave barrier
	s_waitcnt lgkmcnt(0)
	s_and_saveexec_b64 s[10:11], s[6:7]
	s_cbranch_execz .LBB114_316
; %bb.307:
	s_andn2_b64 vcc, exec, s[8:9]
	s_cbranch_vccnz .LBB114_309
; %bb.308:
	buffer_load_dword v104, v107, s[0:3], 0 offen
	buffer_load_dword v105, v107, s[0:3], 0 offen offset:4
	ds_read_b64 v[128:129], v106
	s_waitcnt vmcnt(0) lgkmcnt(0)
	v_mul_f64 v[104:105], v[104:105], v[128:129]
	s_cbranch_execz .LBB114_310
	s_branch .LBB114_311
.LBB114_309:
                                        ; implicit-def: $vgpr104_vgpr105
.LBB114_310:
	ds_read_b64 v[104:105], v106
.LBB114_311:
	s_and_saveexec_b64 s[12:13], s[4:5]
	s_cbranch_execz .LBB114_315
; %bb.312:
	v_subrev_u32_e32 v127, 19, v0
	s_movk_i32 s14, 0x238
	s_mov_b64 s[4:5], 0
.LBB114_313:                            ; =>This Inner Loop Header: Depth=1
	buffer_load_dword v128, v126, s[0:3], 0 offen
	buffer_load_dword v129, v126, s[0:3], 0 offen offset:4
	v_mov_b32_e32 v130, s14
	ds_read_b64 v[130:131], v130
	v_add_u32_e32 v127, -1, v127
	s_add_i32 s14, s14, 8
	v_cmp_eq_u32_e32 vcc, 0, v127
	v_add_u32_e32 v126, 8, v126
	s_or_b64 s[4:5], vcc, s[4:5]
	s_waitcnt vmcnt(0) lgkmcnt(0)
	v_fmac_f64_e32 v[104:105], v[128:129], v[130:131]
	s_andn2_b64 exec, exec, s[4:5]
	s_cbranch_execnz .LBB114_313
; %bb.314:
	s_or_b64 exec, exec, s[4:5]
.LBB114_315:
	s_or_b64 exec, exec, s[12:13]
	v_mov_b32_e32 v126, 0
	ds_read_b64 v[126:127], v126 offset:144
	s_waitcnt lgkmcnt(0)
	v_mul_f64 v[104:105], v[104:105], v[126:127]
	buffer_store_dword v105, off, s[0:3], 0 offset:148
	buffer_store_dword v104, off, s[0:3], 0 offset:144
.LBB114_316:
	s_or_b64 exec, exec, s[10:11]
	buffer_load_dword v104, off, s[0:3], 0 offset:136
	buffer_load_dword v105, off, s[0:3], 0 offset:140
	v_cmp_lt_u32_e64 s[4:5], 17, v0
	s_waitcnt vmcnt(0)
	ds_write_b64 v106, v[104:105]
	s_waitcnt lgkmcnt(0)
	; wave barrier
	s_waitcnt lgkmcnt(0)
	s_and_saveexec_b64 s[10:11], s[4:5]
	s_cbranch_execz .LBB114_326
; %bb.317:
	s_andn2_b64 vcc, exec, s[8:9]
	s_cbranch_vccnz .LBB114_319
; %bb.318:
	buffer_load_dword v104, v107, s[0:3], 0 offen
	buffer_load_dword v105, v107, s[0:3], 0 offen offset:4
	ds_read_b64 v[126:127], v106
	s_waitcnt vmcnt(0) lgkmcnt(0)
	v_mul_f64 v[104:105], v[104:105], v[126:127]
	s_cbranch_execz .LBB114_320
	s_branch .LBB114_321
.LBB114_319:
                                        ; implicit-def: $vgpr104_vgpr105
.LBB114_320:
	ds_read_b64 v[104:105], v106
.LBB114_321:
	s_and_saveexec_b64 s[12:13], s[6:7]
	s_cbranch_execz .LBB114_325
; %bb.322:
	v_subrev_u32_e32 v126, 18, v0
	s_movk_i32 s14, 0x230
	s_mov_b64 s[6:7], 0
.LBB114_323:                            ; =>This Inner Loop Header: Depth=1
	buffer_load_dword v128, v125, s[0:3], 0 offen
	buffer_load_dword v129, v125, s[0:3], 0 offen offset:4
	v_mov_b32_e32 v127, s14
	ds_read_b64 v[130:131], v127
	v_add_u32_e32 v126, -1, v126
	s_add_i32 s14, s14, 8
	v_cmp_eq_u32_e32 vcc, 0, v126
	v_add_u32_e32 v125, 8, v125
	s_or_b64 s[6:7], vcc, s[6:7]
	s_waitcnt vmcnt(0) lgkmcnt(0)
	v_fmac_f64_e32 v[104:105], v[128:129], v[130:131]
	s_andn2_b64 exec, exec, s[6:7]
	s_cbranch_execnz .LBB114_323
; %bb.324:
	s_or_b64 exec, exec, s[6:7]
.LBB114_325:
	s_or_b64 exec, exec, s[12:13]
	v_mov_b32_e32 v125, 0
	ds_read_b64 v[126:127], v125 offset:136
	s_waitcnt lgkmcnt(0)
	v_mul_f64 v[104:105], v[104:105], v[126:127]
	buffer_store_dword v105, off, s[0:3], 0 offset:140
	buffer_store_dword v104, off, s[0:3], 0 offset:136
.LBB114_326:
	s_or_b64 exec, exec, s[10:11]
	buffer_load_dword v104, off, s[0:3], 0 offset:128
	buffer_load_dword v105, off, s[0:3], 0 offset:132
	v_cmp_lt_u32_e64 s[6:7], 16, v0
	s_waitcnt vmcnt(0)
	ds_write_b64 v106, v[104:105]
	s_waitcnt lgkmcnt(0)
	; wave barrier
	s_waitcnt lgkmcnt(0)
	s_and_saveexec_b64 s[10:11], s[6:7]
	s_cbranch_execz .LBB114_336
; %bb.327:
	s_andn2_b64 vcc, exec, s[8:9]
	s_cbranch_vccnz .LBB114_329
; %bb.328:
	buffer_load_dword v104, v107, s[0:3], 0 offen
	buffer_load_dword v105, v107, s[0:3], 0 offen offset:4
	ds_read_b64 v[126:127], v106
	s_waitcnt vmcnt(0) lgkmcnt(0)
	v_mul_f64 v[104:105], v[104:105], v[126:127]
	s_cbranch_execz .LBB114_330
	s_branch .LBB114_331
.LBB114_329:
                                        ; implicit-def: $vgpr104_vgpr105
.LBB114_330:
	ds_read_b64 v[104:105], v106
.LBB114_331:
	s_and_saveexec_b64 s[12:13], s[4:5]
	s_cbranch_execz .LBB114_335
; %bb.332:
	v_subrev_u32_e32 v125, 17, v0
	s_movk_i32 s14, 0x228
	s_mov_b64 s[4:5], 0
.LBB114_333:                            ; =>This Inner Loop Header: Depth=1
	buffer_load_dword v126, v124, s[0:3], 0 offen
	buffer_load_dword v127, v124, s[0:3], 0 offen offset:4
	v_mov_b32_e32 v128, s14
	ds_read_b64 v[128:129], v128
	v_add_u32_e32 v125, -1, v125
	s_add_i32 s14, s14, 8
	v_cmp_eq_u32_e32 vcc, 0, v125
	v_add_u32_e32 v124, 8, v124
	s_or_b64 s[4:5], vcc, s[4:5]
	s_waitcnt vmcnt(0) lgkmcnt(0)
	v_fmac_f64_e32 v[104:105], v[126:127], v[128:129]
	s_andn2_b64 exec, exec, s[4:5]
	s_cbranch_execnz .LBB114_333
; %bb.334:
	s_or_b64 exec, exec, s[4:5]
.LBB114_335:
	s_or_b64 exec, exec, s[12:13]
	v_mov_b32_e32 v124, 0
	ds_read_b64 v[124:125], v124 offset:128
	s_waitcnt lgkmcnt(0)
	v_mul_f64 v[104:105], v[104:105], v[124:125]
	buffer_store_dword v105, off, s[0:3], 0 offset:132
	buffer_store_dword v104, off, s[0:3], 0 offset:128
.LBB114_336:
	s_or_b64 exec, exec, s[10:11]
	buffer_load_dword v104, off, s[0:3], 0 offset:120
	buffer_load_dword v105, off, s[0:3], 0 offset:124
	v_cmp_lt_u32_e64 s[4:5], 15, v0
	s_waitcnt vmcnt(0)
	ds_write_b64 v106, v[104:105]
	s_waitcnt lgkmcnt(0)
	; wave barrier
	s_waitcnt lgkmcnt(0)
	s_and_saveexec_b64 s[10:11], s[4:5]
	s_cbranch_execz .LBB114_346
; %bb.337:
	s_andn2_b64 vcc, exec, s[8:9]
	s_cbranch_vccnz .LBB114_339
; %bb.338:
	buffer_load_dword v104, v107, s[0:3], 0 offen
	buffer_load_dword v105, v107, s[0:3], 0 offen offset:4
	ds_read_b64 v[124:125], v106
	s_waitcnt vmcnt(0) lgkmcnt(0)
	v_mul_f64 v[104:105], v[104:105], v[124:125]
	s_cbranch_execz .LBB114_340
	s_branch .LBB114_341
.LBB114_339:
                                        ; implicit-def: $vgpr104_vgpr105
.LBB114_340:
	ds_read_b64 v[104:105], v106
.LBB114_341:
	s_and_saveexec_b64 s[12:13], s[6:7]
	s_cbranch_execz .LBB114_345
; %bb.342:
	v_add_u32_e32 v124, -16, v0
	s_movk_i32 s14, 0x220
	s_mov_b64 s[6:7], 0
.LBB114_343:                            ; =>This Inner Loop Header: Depth=1
	buffer_load_dword v126, v123, s[0:3], 0 offen
	buffer_load_dword v127, v123, s[0:3], 0 offen offset:4
	v_mov_b32_e32 v125, s14
	ds_read_b64 v[128:129], v125
	v_add_u32_e32 v124, -1, v124
	s_add_i32 s14, s14, 8
	v_cmp_eq_u32_e32 vcc, 0, v124
	v_add_u32_e32 v123, 8, v123
	s_or_b64 s[6:7], vcc, s[6:7]
	s_waitcnt vmcnt(0) lgkmcnt(0)
	v_fmac_f64_e32 v[104:105], v[126:127], v[128:129]
	s_andn2_b64 exec, exec, s[6:7]
	s_cbranch_execnz .LBB114_343
; %bb.344:
	s_or_b64 exec, exec, s[6:7]
.LBB114_345:
	s_or_b64 exec, exec, s[12:13]
	v_mov_b32_e32 v123, 0
	ds_read_b64 v[124:125], v123 offset:120
	s_waitcnt lgkmcnt(0)
	v_mul_f64 v[104:105], v[104:105], v[124:125]
	buffer_store_dword v105, off, s[0:3], 0 offset:124
	buffer_store_dword v104, off, s[0:3], 0 offset:120
.LBB114_346:
	s_or_b64 exec, exec, s[10:11]
	buffer_load_dword v104, off, s[0:3], 0 offset:112
	buffer_load_dword v105, off, s[0:3], 0 offset:116
	v_cmp_lt_u32_e64 s[6:7], 14, v0
	s_waitcnt vmcnt(0)
	ds_write_b64 v106, v[104:105]
	s_waitcnt lgkmcnt(0)
	; wave barrier
	s_waitcnt lgkmcnt(0)
	s_and_saveexec_b64 s[10:11], s[6:7]
	s_cbranch_execz .LBB114_356
; %bb.347:
	s_andn2_b64 vcc, exec, s[8:9]
	s_cbranch_vccnz .LBB114_349
; %bb.348:
	buffer_load_dword v104, v107, s[0:3], 0 offen
	buffer_load_dword v105, v107, s[0:3], 0 offen offset:4
	ds_read_b64 v[124:125], v106
	s_waitcnt vmcnt(0) lgkmcnt(0)
	v_mul_f64 v[104:105], v[104:105], v[124:125]
	s_cbranch_execz .LBB114_350
	s_branch .LBB114_351
.LBB114_349:
                                        ; implicit-def: $vgpr104_vgpr105
.LBB114_350:
	ds_read_b64 v[104:105], v106
.LBB114_351:
	s_and_saveexec_b64 s[12:13], s[4:5]
	s_cbranch_execz .LBB114_355
; %bb.352:
	v_add_u32_e32 v123, -15, v0
	s_movk_i32 s14, 0x218
	s_mov_b64 s[4:5], 0
.LBB114_353:                            ; =>This Inner Loop Header: Depth=1
	buffer_load_dword v124, v122, s[0:3], 0 offen
	buffer_load_dword v125, v122, s[0:3], 0 offen offset:4
	v_mov_b32_e32 v126, s14
	ds_read_b64 v[126:127], v126
	v_add_u32_e32 v123, -1, v123
	s_add_i32 s14, s14, 8
	v_cmp_eq_u32_e32 vcc, 0, v123
	v_add_u32_e32 v122, 8, v122
	s_or_b64 s[4:5], vcc, s[4:5]
	s_waitcnt vmcnt(0) lgkmcnt(0)
	v_fmac_f64_e32 v[104:105], v[124:125], v[126:127]
	s_andn2_b64 exec, exec, s[4:5]
	s_cbranch_execnz .LBB114_353
; %bb.354:
	s_or_b64 exec, exec, s[4:5]
.LBB114_355:
	s_or_b64 exec, exec, s[12:13]
	v_mov_b32_e32 v122, 0
	ds_read_b64 v[122:123], v122 offset:112
	s_waitcnt lgkmcnt(0)
	v_mul_f64 v[104:105], v[104:105], v[122:123]
	buffer_store_dword v105, off, s[0:3], 0 offset:116
	buffer_store_dword v104, off, s[0:3], 0 offset:112
.LBB114_356:
	s_or_b64 exec, exec, s[10:11]
	buffer_load_dword v104, off, s[0:3], 0 offset:104
	buffer_load_dword v105, off, s[0:3], 0 offset:108
	v_cmp_lt_u32_e64 s[4:5], 13, v0
	s_waitcnt vmcnt(0)
	ds_write_b64 v106, v[104:105]
	s_waitcnt lgkmcnt(0)
	; wave barrier
	s_waitcnt lgkmcnt(0)
	s_and_saveexec_b64 s[10:11], s[4:5]
	s_cbranch_execz .LBB114_366
; %bb.357:
	s_andn2_b64 vcc, exec, s[8:9]
	s_cbranch_vccnz .LBB114_359
; %bb.358:
	buffer_load_dword v104, v107, s[0:3], 0 offen
	buffer_load_dword v105, v107, s[0:3], 0 offen offset:4
	ds_read_b64 v[122:123], v106
	s_waitcnt vmcnt(0) lgkmcnt(0)
	v_mul_f64 v[104:105], v[104:105], v[122:123]
	s_cbranch_execz .LBB114_360
	s_branch .LBB114_361
.LBB114_359:
                                        ; implicit-def: $vgpr104_vgpr105
.LBB114_360:
	ds_read_b64 v[104:105], v106
.LBB114_361:
	s_and_saveexec_b64 s[12:13], s[6:7]
	s_cbranch_execz .LBB114_365
; %bb.362:
	v_add_u32_e32 v122, -14, v0
	s_movk_i32 s14, 0x210
	s_mov_b64 s[6:7], 0
.LBB114_363:                            ; =>This Inner Loop Header: Depth=1
	buffer_load_dword v124, v121, s[0:3], 0 offen
	buffer_load_dword v125, v121, s[0:3], 0 offen offset:4
	v_mov_b32_e32 v123, s14
	ds_read_b64 v[126:127], v123
	v_add_u32_e32 v122, -1, v122
	s_add_i32 s14, s14, 8
	v_cmp_eq_u32_e32 vcc, 0, v122
	v_add_u32_e32 v121, 8, v121
	s_or_b64 s[6:7], vcc, s[6:7]
	s_waitcnt vmcnt(0) lgkmcnt(0)
	v_fmac_f64_e32 v[104:105], v[124:125], v[126:127]
	s_andn2_b64 exec, exec, s[6:7]
	s_cbranch_execnz .LBB114_363
; %bb.364:
	s_or_b64 exec, exec, s[6:7]
.LBB114_365:
	s_or_b64 exec, exec, s[12:13]
	v_mov_b32_e32 v121, 0
	ds_read_b64 v[122:123], v121 offset:104
	s_waitcnt lgkmcnt(0)
	v_mul_f64 v[104:105], v[104:105], v[122:123]
	buffer_store_dword v105, off, s[0:3], 0 offset:108
	buffer_store_dword v104, off, s[0:3], 0 offset:104
.LBB114_366:
	s_or_b64 exec, exec, s[10:11]
	buffer_load_dword v104, off, s[0:3], 0 offset:96
	buffer_load_dword v105, off, s[0:3], 0 offset:100
	v_cmp_lt_u32_e64 s[6:7], 12, v0
	s_waitcnt vmcnt(0)
	ds_write_b64 v106, v[104:105]
	s_waitcnt lgkmcnt(0)
	; wave barrier
	s_waitcnt lgkmcnt(0)
	s_and_saveexec_b64 s[10:11], s[6:7]
	s_cbranch_execz .LBB114_376
; %bb.367:
	s_andn2_b64 vcc, exec, s[8:9]
	s_cbranch_vccnz .LBB114_369
; %bb.368:
	buffer_load_dword v104, v107, s[0:3], 0 offen
	buffer_load_dword v105, v107, s[0:3], 0 offen offset:4
	ds_read_b64 v[122:123], v106
	s_waitcnt vmcnt(0) lgkmcnt(0)
	v_mul_f64 v[104:105], v[104:105], v[122:123]
	s_cbranch_execz .LBB114_370
	s_branch .LBB114_371
.LBB114_369:
                                        ; implicit-def: $vgpr104_vgpr105
.LBB114_370:
	ds_read_b64 v[104:105], v106
.LBB114_371:
	s_and_saveexec_b64 s[12:13], s[4:5]
	s_cbranch_execz .LBB114_375
; %bb.372:
	v_add_u32_e32 v121, -13, v0
	s_movk_i32 s14, 0x208
	s_mov_b64 s[4:5], 0
.LBB114_373:                            ; =>This Inner Loop Header: Depth=1
	buffer_load_dword v122, v120, s[0:3], 0 offen
	buffer_load_dword v123, v120, s[0:3], 0 offen offset:4
	v_mov_b32_e32 v124, s14
	ds_read_b64 v[124:125], v124
	v_add_u32_e32 v121, -1, v121
	s_add_i32 s14, s14, 8
	v_cmp_eq_u32_e32 vcc, 0, v121
	v_add_u32_e32 v120, 8, v120
	s_or_b64 s[4:5], vcc, s[4:5]
	s_waitcnt vmcnt(0) lgkmcnt(0)
	v_fmac_f64_e32 v[104:105], v[122:123], v[124:125]
	s_andn2_b64 exec, exec, s[4:5]
	s_cbranch_execnz .LBB114_373
; %bb.374:
	s_or_b64 exec, exec, s[4:5]
.LBB114_375:
	s_or_b64 exec, exec, s[12:13]
	v_mov_b32_e32 v120, 0
	ds_read_b64 v[120:121], v120 offset:96
	s_waitcnt lgkmcnt(0)
	v_mul_f64 v[104:105], v[104:105], v[120:121]
	buffer_store_dword v105, off, s[0:3], 0 offset:100
	buffer_store_dword v104, off, s[0:3], 0 offset:96
.LBB114_376:
	s_or_b64 exec, exec, s[10:11]
	buffer_load_dword v104, off, s[0:3], 0 offset:88
	buffer_load_dword v105, off, s[0:3], 0 offset:92
	v_cmp_lt_u32_e64 s[4:5], 11, v0
	s_waitcnt vmcnt(0)
	ds_write_b64 v106, v[104:105]
	s_waitcnt lgkmcnt(0)
	; wave barrier
	s_waitcnt lgkmcnt(0)
	s_and_saveexec_b64 s[10:11], s[4:5]
	s_cbranch_execz .LBB114_386
; %bb.377:
	s_andn2_b64 vcc, exec, s[8:9]
	s_cbranch_vccnz .LBB114_379
; %bb.378:
	buffer_load_dword v104, v107, s[0:3], 0 offen
	buffer_load_dword v105, v107, s[0:3], 0 offen offset:4
	ds_read_b64 v[120:121], v106
	s_waitcnt vmcnt(0) lgkmcnt(0)
	v_mul_f64 v[104:105], v[104:105], v[120:121]
	s_cbranch_execz .LBB114_380
	s_branch .LBB114_381
.LBB114_379:
                                        ; implicit-def: $vgpr104_vgpr105
.LBB114_380:
	ds_read_b64 v[104:105], v106
.LBB114_381:
	s_and_saveexec_b64 s[12:13], s[6:7]
	s_cbranch_execz .LBB114_385
; %bb.382:
	v_add_u32_e32 v120, -12, v0
	s_movk_i32 s14, 0x200
	s_mov_b64 s[6:7], 0
.LBB114_383:                            ; =>This Inner Loop Header: Depth=1
	buffer_load_dword v122, v119, s[0:3], 0 offen
	buffer_load_dword v123, v119, s[0:3], 0 offen offset:4
	v_mov_b32_e32 v121, s14
	ds_read_b64 v[124:125], v121
	v_add_u32_e32 v120, -1, v120
	s_add_i32 s14, s14, 8
	v_cmp_eq_u32_e32 vcc, 0, v120
	v_add_u32_e32 v119, 8, v119
	s_or_b64 s[6:7], vcc, s[6:7]
	s_waitcnt vmcnt(0) lgkmcnt(0)
	v_fmac_f64_e32 v[104:105], v[122:123], v[124:125]
	s_andn2_b64 exec, exec, s[6:7]
	s_cbranch_execnz .LBB114_383
; %bb.384:
	s_or_b64 exec, exec, s[6:7]
.LBB114_385:
	s_or_b64 exec, exec, s[12:13]
	v_mov_b32_e32 v119, 0
	ds_read_b64 v[120:121], v119 offset:88
	s_waitcnt lgkmcnt(0)
	v_mul_f64 v[104:105], v[104:105], v[120:121]
	buffer_store_dword v105, off, s[0:3], 0 offset:92
	buffer_store_dword v104, off, s[0:3], 0 offset:88
.LBB114_386:
	s_or_b64 exec, exec, s[10:11]
	buffer_load_dword v104, off, s[0:3], 0 offset:80
	buffer_load_dword v105, off, s[0:3], 0 offset:84
	v_cmp_lt_u32_e64 s[6:7], 10, v0
	s_waitcnt vmcnt(0)
	ds_write_b64 v106, v[104:105]
	s_waitcnt lgkmcnt(0)
	; wave barrier
	s_waitcnt lgkmcnt(0)
	s_and_saveexec_b64 s[10:11], s[6:7]
	s_cbranch_execz .LBB114_396
; %bb.387:
	s_andn2_b64 vcc, exec, s[8:9]
	s_cbranch_vccnz .LBB114_389
; %bb.388:
	buffer_load_dword v104, v107, s[0:3], 0 offen
	buffer_load_dword v105, v107, s[0:3], 0 offen offset:4
	ds_read_b64 v[120:121], v106
	s_waitcnt vmcnt(0) lgkmcnt(0)
	v_mul_f64 v[104:105], v[104:105], v[120:121]
	s_cbranch_execz .LBB114_390
	s_branch .LBB114_391
.LBB114_389:
                                        ; implicit-def: $vgpr104_vgpr105
.LBB114_390:
	ds_read_b64 v[104:105], v106
.LBB114_391:
	s_and_saveexec_b64 s[12:13], s[4:5]
	s_cbranch_execz .LBB114_395
; %bb.392:
	v_add_u32_e32 v119, -11, v0
	s_movk_i32 s14, 0x1f8
	s_mov_b64 s[4:5], 0
.LBB114_393:                            ; =>This Inner Loop Header: Depth=1
	buffer_load_dword v120, v118, s[0:3], 0 offen
	buffer_load_dword v121, v118, s[0:3], 0 offen offset:4
	v_mov_b32_e32 v122, s14
	ds_read_b64 v[122:123], v122
	v_add_u32_e32 v119, -1, v119
	s_add_i32 s14, s14, 8
	v_cmp_eq_u32_e32 vcc, 0, v119
	v_add_u32_e32 v118, 8, v118
	s_or_b64 s[4:5], vcc, s[4:5]
	s_waitcnt vmcnt(0) lgkmcnt(0)
	v_fmac_f64_e32 v[104:105], v[120:121], v[122:123]
	s_andn2_b64 exec, exec, s[4:5]
	s_cbranch_execnz .LBB114_393
; %bb.394:
	s_or_b64 exec, exec, s[4:5]
.LBB114_395:
	s_or_b64 exec, exec, s[12:13]
	v_mov_b32_e32 v118, 0
	ds_read_b64 v[118:119], v118 offset:80
	s_waitcnt lgkmcnt(0)
	v_mul_f64 v[104:105], v[104:105], v[118:119]
	buffer_store_dword v105, off, s[0:3], 0 offset:84
	buffer_store_dword v104, off, s[0:3], 0 offset:80
.LBB114_396:
	s_or_b64 exec, exec, s[10:11]
	buffer_load_dword v104, off, s[0:3], 0 offset:72
	buffer_load_dword v105, off, s[0:3], 0 offset:76
	v_cmp_lt_u32_e64 s[4:5], 9, v0
	s_waitcnt vmcnt(0)
	ds_write_b64 v106, v[104:105]
	s_waitcnt lgkmcnt(0)
	; wave barrier
	s_waitcnt lgkmcnt(0)
	s_and_saveexec_b64 s[10:11], s[4:5]
	s_cbranch_execz .LBB114_406
; %bb.397:
	s_andn2_b64 vcc, exec, s[8:9]
	s_cbranch_vccnz .LBB114_399
; %bb.398:
	buffer_load_dword v104, v107, s[0:3], 0 offen
	buffer_load_dword v105, v107, s[0:3], 0 offen offset:4
	ds_read_b64 v[118:119], v106
	s_waitcnt vmcnt(0) lgkmcnt(0)
	v_mul_f64 v[104:105], v[104:105], v[118:119]
	s_cbranch_execz .LBB114_400
	s_branch .LBB114_401
.LBB114_399:
                                        ; implicit-def: $vgpr104_vgpr105
.LBB114_400:
	ds_read_b64 v[104:105], v106
.LBB114_401:
	s_and_saveexec_b64 s[12:13], s[6:7]
	s_cbranch_execz .LBB114_405
; %bb.402:
	v_add_u32_e32 v118, -10, v0
	s_movk_i32 s14, 0x1f0
	s_mov_b64 s[6:7], 0
.LBB114_403:                            ; =>This Inner Loop Header: Depth=1
	buffer_load_dword v120, v117, s[0:3], 0 offen
	buffer_load_dword v121, v117, s[0:3], 0 offen offset:4
	v_mov_b32_e32 v119, s14
	ds_read_b64 v[122:123], v119
	v_add_u32_e32 v118, -1, v118
	s_add_i32 s14, s14, 8
	v_cmp_eq_u32_e32 vcc, 0, v118
	v_add_u32_e32 v117, 8, v117
	s_or_b64 s[6:7], vcc, s[6:7]
	s_waitcnt vmcnt(0) lgkmcnt(0)
	v_fmac_f64_e32 v[104:105], v[120:121], v[122:123]
	s_andn2_b64 exec, exec, s[6:7]
	s_cbranch_execnz .LBB114_403
; %bb.404:
	s_or_b64 exec, exec, s[6:7]
.LBB114_405:
	s_or_b64 exec, exec, s[12:13]
	v_mov_b32_e32 v117, 0
	ds_read_b64 v[118:119], v117 offset:72
	s_waitcnt lgkmcnt(0)
	v_mul_f64 v[104:105], v[104:105], v[118:119]
	buffer_store_dword v105, off, s[0:3], 0 offset:76
	buffer_store_dword v104, off, s[0:3], 0 offset:72
.LBB114_406:
	s_or_b64 exec, exec, s[10:11]
	buffer_load_dword v104, off, s[0:3], 0 offset:64
	buffer_load_dword v105, off, s[0:3], 0 offset:68
	v_cmp_lt_u32_e64 s[6:7], 8, v0
	s_waitcnt vmcnt(0)
	ds_write_b64 v106, v[104:105]
	s_waitcnt lgkmcnt(0)
	; wave barrier
	s_waitcnt lgkmcnt(0)
	s_and_saveexec_b64 s[10:11], s[6:7]
	s_cbranch_execz .LBB114_416
; %bb.407:
	s_andn2_b64 vcc, exec, s[8:9]
	s_cbranch_vccnz .LBB114_409
; %bb.408:
	buffer_load_dword v104, v107, s[0:3], 0 offen
	buffer_load_dword v105, v107, s[0:3], 0 offen offset:4
	ds_read_b64 v[118:119], v106
	s_waitcnt vmcnt(0) lgkmcnt(0)
	v_mul_f64 v[104:105], v[104:105], v[118:119]
	s_cbranch_execz .LBB114_410
	s_branch .LBB114_411
.LBB114_409:
                                        ; implicit-def: $vgpr104_vgpr105
.LBB114_410:
	ds_read_b64 v[104:105], v106
.LBB114_411:
	s_and_saveexec_b64 s[12:13], s[4:5]
	s_cbranch_execz .LBB114_415
; %bb.412:
	v_add_u32_e32 v117, -9, v0
	s_movk_i32 s14, 0x1e8
	s_mov_b64 s[4:5], 0
.LBB114_413:                            ; =>This Inner Loop Header: Depth=1
	buffer_load_dword v118, v116, s[0:3], 0 offen
	buffer_load_dword v119, v116, s[0:3], 0 offen offset:4
	v_mov_b32_e32 v120, s14
	ds_read_b64 v[120:121], v120
	v_add_u32_e32 v117, -1, v117
	s_add_i32 s14, s14, 8
	v_cmp_eq_u32_e32 vcc, 0, v117
	v_add_u32_e32 v116, 8, v116
	s_or_b64 s[4:5], vcc, s[4:5]
	s_waitcnt vmcnt(0) lgkmcnt(0)
	v_fmac_f64_e32 v[104:105], v[118:119], v[120:121]
	s_andn2_b64 exec, exec, s[4:5]
	s_cbranch_execnz .LBB114_413
; %bb.414:
	s_or_b64 exec, exec, s[4:5]
.LBB114_415:
	s_or_b64 exec, exec, s[12:13]
	v_mov_b32_e32 v116, 0
	ds_read_b64 v[116:117], v116 offset:64
	s_waitcnt lgkmcnt(0)
	v_mul_f64 v[104:105], v[104:105], v[116:117]
	buffer_store_dword v105, off, s[0:3], 0 offset:68
	buffer_store_dword v104, off, s[0:3], 0 offset:64
.LBB114_416:
	s_or_b64 exec, exec, s[10:11]
	buffer_load_dword v104, off, s[0:3], 0 offset:56
	buffer_load_dword v105, off, s[0:3], 0 offset:60
	v_cmp_lt_u32_e64 s[4:5], 7, v0
	s_waitcnt vmcnt(0)
	ds_write_b64 v106, v[104:105]
	s_waitcnt lgkmcnt(0)
	; wave barrier
	s_waitcnt lgkmcnt(0)
	s_and_saveexec_b64 s[10:11], s[4:5]
	s_cbranch_execz .LBB114_426
; %bb.417:
	s_andn2_b64 vcc, exec, s[8:9]
	s_cbranch_vccnz .LBB114_419
; %bb.418:
	buffer_load_dword v104, v107, s[0:3], 0 offen
	buffer_load_dword v105, v107, s[0:3], 0 offen offset:4
	ds_read_b64 v[116:117], v106
	s_waitcnt vmcnt(0) lgkmcnt(0)
	v_mul_f64 v[104:105], v[104:105], v[116:117]
	s_cbranch_execz .LBB114_420
	s_branch .LBB114_421
.LBB114_419:
                                        ; implicit-def: $vgpr104_vgpr105
.LBB114_420:
	ds_read_b64 v[104:105], v106
.LBB114_421:
	s_and_saveexec_b64 s[12:13], s[6:7]
	s_cbranch_execz .LBB114_425
; %bb.422:
	v_add_u32_e32 v116, -8, v0
	s_movk_i32 s14, 0x1e0
	s_mov_b64 s[6:7], 0
.LBB114_423:                            ; =>This Inner Loop Header: Depth=1
	buffer_load_dword v118, v115, s[0:3], 0 offen
	buffer_load_dword v119, v115, s[0:3], 0 offen offset:4
	v_mov_b32_e32 v117, s14
	ds_read_b64 v[120:121], v117
	v_add_u32_e32 v116, -1, v116
	s_add_i32 s14, s14, 8
	v_cmp_eq_u32_e32 vcc, 0, v116
	v_add_u32_e32 v115, 8, v115
	s_or_b64 s[6:7], vcc, s[6:7]
	s_waitcnt vmcnt(0) lgkmcnt(0)
	v_fmac_f64_e32 v[104:105], v[118:119], v[120:121]
	s_andn2_b64 exec, exec, s[6:7]
	s_cbranch_execnz .LBB114_423
; %bb.424:
	s_or_b64 exec, exec, s[6:7]
.LBB114_425:
	s_or_b64 exec, exec, s[12:13]
	v_mov_b32_e32 v115, 0
	ds_read_b64 v[116:117], v115 offset:56
	s_waitcnt lgkmcnt(0)
	v_mul_f64 v[104:105], v[104:105], v[116:117]
	buffer_store_dword v105, off, s[0:3], 0 offset:60
	buffer_store_dword v104, off, s[0:3], 0 offset:56
.LBB114_426:
	s_or_b64 exec, exec, s[10:11]
	buffer_load_dword v104, off, s[0:3], 0 offset:48
	buffer_load_dword v105, off, s[0:3], 0 offset:52
	v_cmp_lt_u32_e64 s[6:7], 6, v0
	s_waitcnt vmcnt(0)
	ds_write_b64 v106, v[104:105]
	s_waitcnt lgkmcnt(0)
	; wave barrier
	s_waitcnt lgkmcnt(0)
	s_and_saveexec_b64 s[10:11], s[6:7]
	s_cbranch_execz .LBB114_436
; %bb.427:
	s_andn2_b64 vcc, exec, s[8:9]
	s_cbranch_vccnz .LBB114_429
; %bb.428:
	buffer_load_dword v104, v107, s[0:3], 0 offen
	buffer_load_dword v105, v107, s[0:3], 0 offen offset:4
	ds_read_b64 v[116:117], v106
	s_waitcnt vmcnt(0) lgkmcnt(0)
	v_mul_f64 v[104:105], v[104:105], v[116:117]
	s_cbranch_execz .LBB114_430
	s_branch .LBB114_431
.LBB114_429:
                                        ; implicit-def: $vgpr104_vgpr105
.LBB114_430:
	ds_read_b64 v[104:105], v106
.LBB114_431:
	s_and_saveexec_b64 s[12:13], s[4:5]
	s_cbranch_execz .LBB114_435
; %bb.432:
	v_add_u32_e32 v115, -7, v0
	s_movk_i32 s14, 0x1d8
	s_mov_b64 s[4:5], 0
.LBB114_433:                            ; =>This Inner Loop Header: Depth=1
	buffer_load_dword v116, v114, s[0:3], 0 offen
	buffer_load_dword v117, v114, s[0:3], 0 offen offset:4
	v_mov_b32_e32 v118, s14
	ds_read_b64 v[118:119], v118
	v_add_u32_e32 v115, -1, v115
	s_add_i32 s14, s14, 8
	v_cmp_eq_u32_e32 vcc, 0, v115
	v_add_u32_e32 v114, 8, v114
	s_or_b64 s[4:5], vcc, s[4:5]
	s_waitcnt vmcnt(0) lgkmcnt(0)
	v_fmac_f64_e32 v[104:105], v[116:117], v[118:119]
	s_andn2_b64 exec, exec, s[4:5]
	s_cbranch_execnz .LBB114_433
; %bb.434:
	s_or_b64 exec, exec, s[4:5]
.LBB114_435:
	s_or_b64 exec, exec, s[12:13]
	v_mov_b32_e32 v114, 0
	ds_read_b64 v[114:115], v114 offset:48
	s_waitcnt lgkmcnt(0)
	v_mul_f64 v[104:105], v[104:105], v[114:115]
	buffer_store_dword v105, off, s[0:3], 0 offset:52
	buffer_store_dword v104, off, s[0:3], 0 offset:48
.LBB114_436:
	s_or_b64 exec, exec, s[10:11]
	buffer_load_dword v104, off, s[0:3], 0 offset:40
	buffer_load_dword v105, off, s[0:3], 0 offset:44
	v_cmp_lt_u32_e64 s[4:5], 5, v0
	s_waitcnt vmcnt(0)
	ds_write_b64 v106, v[104:105]
	s_waitcnt lgkmcnt(0)
	; wave barrier
	s_waitcnt lgkmcnt(0)
	s_and_saveexec_b64 s[10:11], s[4:5]
	s_cbranch_execz .LBB114_446
; %bb.437:
	s_andn2_b64 vcc, exec, s[8:9]
	s_cbranch_vccnz .LBB114_439
; %bb.438:
	buffer_load_dword v104, v107, s[0:3], 0 offen
	buffer_load_dword v105, v107, s[0:3], 0 offen offset:4
	ds_read_b64 v[114:115], v106
	s_waitcnt vmcnt(0) lgkmcnt(0)
	v_mul_f64 v[104:105], v[104:105], v[114:115]
	s_cbranch_execz .LBB114_440
	s_branch .LBB114_441
.LBB114_439:
                                        ; implicit-def: $vgpr104_vgpr105
.LBB114_440:
	ds_read_b64 v[104:105], v106
.LBB114_441:
	s_and_saveexec_b64 s[12:13], s[6:7]
	s_cbranch_execz .LBB114_445
; %bb.442:
	v_add_u32_e32 v114, -6, v0
	s_movk_i32 s14, 0x1d0
	s_mov_b64 s[6:7], 0
.LBB114_443:                            ; =>This Inner Loop Header: Depth=1
	buffer_load_dword v116, v113, s[0:3], 0 offen
	buffer_load_dword v117, v113, s[0:3], 0 offen offset:4
	v_mov_b32_e32 v115, s14
	ds_read_b64 v[118:119], v115
	v_add_u32_e32 v114, -1, v114
	s_add_i32 s14, s14, 8
	v_cmp_eq_u32_e32 vcc, 0, v114
	v_add_u32_e32 v113, 8, v113
	s_or_b64 s[6:7], vcc, s[6:7]
	s_waitcnt vmcnt(0) lgkmcnt(0)
	v_fmac_f64_e32 v[104:105], v[116:117], v[118:119]
	s_andn2_b64 exec, exec, s[6:7]
	s_cbranch_execnz .LBB114_443
; %bb.444:
	s_or_b64 exec, exec, s[6:7]
.LBB114_445:
	s_or_b64 exec, exec, s[12:13]
	v_mov_b32_e32 v113, 0
	ds_read_b64 v[114:115], v113 offset:40
	s_waitcnt lgkmcnt(0)
	v_mul_f64 v[104:105], v[104:105], v[114:115]
	buffer_store_dword v105, off, s[0:3], 0 offset:44
	buffer_store_dword v104, off, s[0:3], 0 offset:40
.LBB114_446:
	s_or_b64 exec, exec, s[10:11]
	buffer_load_dword v104, off, s[0:3], 0 offset:32
	buffer_load_dword v105, off, s[0:3], 0 offset:36
	v_cmp_lt_u32_e64 s[6:7], 4, v0
	s_waitcnt vmcnt(0)
	ds_write_b64 v106, v[104:105]
	s_waitcnt lgkmcnt(0)
	; wave barrier
	s_waitcnt lgkmcnt(0)
	s_and_saveexec_b64 s[10:11], s[6:7]
	s_cbranch_execz .LBB114_456
; %bb.447:
	s_andn2_b64 vcc, exec, s[8:9]
	s_cbranch_vccnz .LBB114_449
; %bb.448:
	buffer_load_dword v104, v107, s[0:3], 0 offen
	buffer_load_dword v105, v107, s[0:3], 0 offen offset:4
	ds_read_b64 v[114:115], v106
	s_waitcnt vmcnt(0) lgkmcnt(0)
	v_mul_f64 v[104:105], v[104:105], v[114:115]
	s_cbranch_execz .LBB114_450
	s_branch .LBB114_451
.LBB114_449:
                                        ; implicit-def: $vgpr104_vgpr105
.LBB114_450:
	ds_read_b64 v[104:105], v106
.LBB114_451:
	s_and_saveexec_b64 s[12:13], s[4:5]
	s_cbranch_execz .LBB114_455
; %bb.452:
	v_add_u32_e32 v113, -5, v0
	s_movk_i32 s14, 0x1c8
	s_mov_b64 s[4:5], 0
.LBB114_453:                            ; =>This Inner Loop Header: Depth=1
	buffer_load_dword v114, v112, s[0:3], 0 offen
	buffer_load_dword v115, v112, s[0:3], 0 offen offset:4
	v_mov_b32_e32 v116, s14
	ds_read_b64 v[116:117], v116
	v_add_u32_e32 v113, -1, v113
	s_add_i32 s14, s14, 8
	v_cmp_eq_u32_e32 vcc, 0, v113
	v_add_u32_e32 v112, 8, v112
	s_or_b64 s[4:5], vcc, s[4:5]
	s_waitcnt vmcnt(0) lgkmcnt(0)
	v_fmac_f64_e32 v[104:105], v[114:115], v[116:117]
	s_andn2_b64 exec, exec, s[4:5]
	s_cbranch_execnz .LBB114_453
; %bb.454:
	s_or_b64 exec, exec, s[4:5]
.LBB114_455:
	s_or_b64 exec, exec, s[12:13]
	v_mov_b32_e32 v112, 0
	ds_read_b64 v[112:113], v112 offset:32
	s_waitcnt lgkmcnt(0)
	v_mul_f64 v[104:105], v[104:105], v[112:113]
	buffer_store_dword v105, off, s[0:3], 0 offset:36
	buffer_store_dword v104, off, s[0:3], 0 offset:32
.LBB114_456:
	s_or_b64 exec, exec, s[10:11]
	buffer_load_dword v104, off, s[0:3], 0 offset:24
	buffer_load_dword v105, off, s[0:3], 0 offset:28
	v_cmp_lt_u32_e64 s[4:5], 3, v0
	s_waitcnt vmcnt(0)
	ds_write_b64 v106, v[104:105]
	s_waitcnt lgkmcnt(0)
	; wave barrier
	s_waitcnt lgkmcnt(0)
	s_and_saveexec_b64 s[10:11], s[4:5]
	s_cbranch_execz .LBB114_466
; %bb.457:
	s_andn2_b64 vcc, exec, s[8:9]
	s_cbranch_vccnz .LBB114_459
; %bb.458:
	buffer_load_dword v104, v107, s[0:3], 0 offen
	buffer_load_dword v105, v107, s[0:3], 0 offen offset:4
	ds_read_b64 v[112:113], v106
	s_waitcnt vmcnt(0) lgkmcnt(0)
	v_mul_f64 v[104:105], v[104:105], v[112:113]
	s_cbranch_execz .LBB114_460
	s_branch .LBB114_461
.LBB114_459:
                                        ; implicit-def: $vgpr104_vgpr105
.LBB114_460:
	ds_read_b64 v[104:105], v106
.LBB114_461:
	s_and_saveexec_b64 s[12:13], s[6:7]
	s_cbranch_execz .LBB114_465
; %bb.462:
	v_add_u32_e32 v112, -4, v0
	s_movk_i32 s14, 0x1c0
	s_mov_b64 s[6:7], 0
.LBB114_463:                            ; =>This Inner Loop Header: Depth=1
	buffer_load_dword v114, v111, s[0:3], 0 offen
	buffer_load_dword v115, v111, s[0:3], 0 offen offset:4
	v_mov_b32_e32 v113, s14
	ds_read_b64 v[116:117], v113
	v_add_u32_e32 v112, -1, v112
	s_add_i32 s14, s14, 8
	v_cmp_eq_u32_e32 vcc, 0, v112
	v_add_u32_e32 v111, 8, v111
	s_or_b64 s[6:7], vcc, s[6:7]
	s_waitcnt vmcnt(0) lgkmcnt(0)
	v_fmac_f64_e32 v[104:105], v[114:115], v[116:117]
	s_andn2_b64 exec, exec, s[6:7]
	s_cbranch_execnz .LBB114_463
; %bb.464:
	s_or_b64 exec, exec, s[6:7]
.LBB114_465:
	s_or_b64 exec, exec, s[12:13]
	v_mov_b32_e32 v111, 0
	ds_read_b64 v[112:113], v111 offset:24
	s_waitcnt lgkmcnt(0)
	v_mul_f64 v[104:105], v[104:105], v[112:113]
	buffer_store_dword v105, off, s[0:3], 0 offset:28
	buffer_store_dword v104, off, s[0:3], 0 offset:24
.LBB114_466:
	s_or_b64 exec, exec, s[10:11]
	buffer_load_dword v104, off, s[0:3], 0 offset:16
	buffer_load_dword v105, off, s[0:3], 0 offset:20
	v_cmp_lt_u32_e64 s[6:7], 2, v0
	s_waitcnt vmcnt(0)
	ds_write_b64 v106, v[104:105]
	s_waitcnt lgkmcnt(0)
	; wave barrier
	s_waitcnt lgkmcnt(0)
	s_and_saveexec_b64 s[10:11], s[6:7]
	s_cbranch_execz .LBB114_476
; %bb.467:
	s_andn2_b64 vcc, exec, s[8:9]
	s_cbranch_vccnz .LBB114_469
; %bb.468:
	buffer_load_dword v104, v107, s[0:3], 0 offen
	buffer_load_dword v105, v107, s[0:3], 0 offen offset:4
	ds_read_b64 v[112:113], v106
	s_waitcnt vmcnt(0) lgkmcnt(0)
	v_mul_f64 v[104:105], v[104:105], v[112:113]
	s_cbranch_execz .LBB114_470
	s_branch .LBB114_471
.LBB114_469:
                                        ; implicit-def: $vgpr104_vgpr105
.LBB114_470:
	ds_read_b64 v[104:105], v106
.LBB114_471:
	s_and_saveexec_b64 s[12:13], s[4:5]
	s_cbranch_execz .LBB114_475
; %bb.472:
	v_add_u32_e32 v111, -3, v0
	s_movk_i32 s14, 0x1b8
	s_mov_b64 s[4:5], 0
.LBB114_473:                            ; =>This Inner Loop Header: Depth=1
	buffer_load_dword v112, v110, s[0:3], 0 offen
	buffer_load_dword v113, v110, s[0:3], 0 offen offset:4
	v_mov_b32_e32 v114, s14
	ds_read_b64 v[114:115], v114
	v_add_u32_e32 v111, -1, v111
	s_add_i32 s14, s14, 8
	v_cmp_eq_u32_e32 vcc, 0, v111
	v_add_u32_e32 v110, 8, v110
	s_or_b64 s[4:5], vcc, s[4:5]
	s_waitcnt vmcnt(0) lgkmcnt(0)
	v_fmac_f64_e32 v[104:105], v[112:113], v[114:115]
	s_andn2_b64 exec, exec, s[4:5]
	s_cbranch_execnz .LBB114_473
; %bb.474:
	s_or_b64 exec, exec, s[4:5]
.LBB114_475:
	s_or_b64 exec, exec, s[12:13]
	v_mov_b32_e32 v110, 0
	ds_read_b64 v[110:111], v110 offset:16
	s_waitcnt lgkmcnt(0)
	v_mul_f64 v[104:105], v[104:105], v[110:111]
	buffer_store_dword v105, off, s[0:3], 0 offset:20
	buffer_store_dword v104, off, s[0:3], 0 offset:16
.LBB114_476:
	s_or_b64 exec, exec, s[10:11]
	buffer_load_dword v104, off, s[0:3], 0 offset:8
	buffer_load_dword v105, off, s[0:3], 0 offset:12
	v_cmp_lt_u32_e64 s[4:5], 1, v0
	s_waitcnt vmcnt(0)
	ds_write_b64 v106, v[104:105]
	s_waitcnt lgkmcnt(0)
	; wave barrier
	s_waitcnt lgkmcnt(0)
	s_and_saveexec_b64 s[10:11], s[4:5]
	s_cbranch_execz .LBB114_486
; %bb.477:
	s_andn2_b64 vcc, exec, s[8:9]
	s_cbranch_vccnz .LBB114_479
; %bb.478:
	buffer_load_dword v104, v107, s[0:3], 0 offen
	buffer_load_dword v105, v107, s[0:3], 0 offen offset:4
	ds_read_b64 v[110:111], v106
	s_waitcnt vmcnt(0) lgkmcnt(0)
	v_mul_f64 v[104:105], v[104:105], v[110:111]
	s_cbranch_execz .LBB114_480
	s_branch .LBB114_481
.LBB114_479:
                                        ; implicit-def: $vgpr104_vgpr105
.LBB114_480:
	ds_read_b64 v[104:105], v106
.LBB114_481:
	s_and_saveexec_b64 s[12:13], s[6:7]
	s_cbranch_execz .LBB114_485
; %bb.482:
	v_add_u32_e32 v110, -2, v0
	s_movk_i32 s14, 0x1b0
	s_mov_b64 s[6:7], 0
.LBB114_483:                            ; =>This Inner Loop Header: Depth=1
	buffer_load_dword v112, v109, s[0:3], 0 offen
	buffer_load_dword v113, v109, s[0:3], 0 offen offset:4
	v_mov_b32_e32 v111, s14
	ds_read_b64 v[114:115], v111
	v_add_u32_e32 v110, -1, v110
	s_add_i32 s14, s14, 8
	v_cmp_eq_u32_e32 vcc, 0, v110
	v_add_u32_e32 v109, 8, v109
	s_or_b64 s[6:7], vcc, s[6:7]
	s_waitcnt vmcnt(0) lgkmcnt(0)
	v_fmac_f64_e32 v[104:105], v[112:113], v[114:115]
	s_andn2_b64 exec, exec, s[6:7]
	s_cbranch_execnz .LBB114_483
; %bb.484:
	s_or_b64 exec, exec, s[6:7]
.LBB114_485:
	s_or_b64 exec, exec, s[12:13]
	v_mov_b32_e32 v109, 0
	ds_read_b64 v[110:111], v109 offset:8
	s_waitcnt lgkmcnt(0)
	v_mul_f64 v[104:105], v[104:105], v[110:111]
	buffer_store_dword v105, off, s[0:3], 0 offset:12
	buffer_store_dword v104, off, s[0:3], 0 offset:8
.LBB114_486:
	s_or_b64 exec, exec, s[10:11]
	buffer_load_dword v104, off, s[0:3], 0
	buffer_load_dword v105, off, s[0:3], 0 offset:4
	v_cmp_ne_u32_e32 vcc, 0, v0
	s_waitcnt vmcnt(0)
	ds_write_b64 v106, v[104:105]
	s_waitcnt lgkmcnt(0)
	; wave barrier
	s_waitcnt lgkmcnt(0)
	s_and_saveexec_b64 s[6:7], vcc
	s_cbranch_execz .LBB114_496
; %bb.487:
	s_andn2_b64 vcc, exec, s[8:9]
	s_cbranch_vccnz .LBB114_489
; %bb.488:
	buffer_load_dword v104, v107, s[0:3], 0 offen
	buffer_load_dword v105, v107, s[0:3], 0 offen offset:4
	ds_read_b64 v[110:111], v106
	s_waitcnt vmcnt(0) lgkmcnt(0)
	v_mul_f64 v[104:105], v[104:105], v[110:111]
	s_cbranch_execz .LBB114_490
	s_branch .LBB114_491
.LBB114_489:
                                        ; implicit-def: $vgpr104_vgpr105
.LBB114_490:
	ds_read_b64 v[104:105], v106
.LBB114_491:
	s_and_saveexec_b64 s[10:11], s[4:5]
	s_cbranch_execz .LBB114_495
; %bb.492:
	v_add_u32_e32 v109, -1, v0
	s_movk_i32 s12, 0x1a8
	s_mov_b64 s[4:5], 0
.LBB114_493:                            ; =>This Inner Loop Header: Depth=1
	buffer_load_dword v110, v108, s[0:3], 0 offen
	buffer_load_dword v111, v108, s[0:3], 0 offen offset:4
	v_mov_b32_e32 v112, s12
	ds_read_b64 v[112:113], v112
	v_add_u32_e32 v109, -1, v109
	s_add_i32 s12, s12, 8
	v_cmp_eq_u32_e32 vcc, 0, v109
	v_add_u32_e32 v108, 8, v108
	s_or_b64 s[4:5], vcc, s[4:5]
	s_waitcnt vmcnt(0) lgkmcnt(0)
	v_fmac_f64_e32 v[104:105], v[110:111], v[112:113]
	s_andn2_b64 exec, exec, s[4:5]
	s_cbranch_execnz .LBB114_493
; %bb.494:
	s_or_b64 exec, exec, s[4:5]
.LBB114_495:
	s_or_b64 exec, exec, s[10:11]
	v_mov_b32_e32 v108, 0
	ds_read_b64 v[108:109], v108
	s_waitcnt lgkmcnt(0)
	v_mul_f64 v[104:105], v[104:105], v[108:109]
	buffer_store_dword v105, off, s[0:3], 0 offset:4
	buffer_store_dword v104, off, s[0:3], 0
.LBB114_496:
	s_or_b64 exec, exec, s[6:7]
	s_mov_b64 s[4:5], 0
.LBB114_497:
	s_and_b64 vcc, exec, s[4:5]
	s_cbranch_vccz .LBB114_991
; %bb.498:
	buffer_load_dword v104, off, s[0:3], 0 offset:8
	buffer_load_dword v105, off, s[0:3], 0 offset:12
	v_cmp_eq_u32_e64 s[6:7], 0, v0
	s_waitcnt vmcnt(0)
	ds_write_b64 v106, v[104:105]
	s_waitcnt lgkmcnt(0)
	; wave barrier
	s_waitcnt lgkmcnt(0)
	s_and_saveexec_b64 s[4:5], s[6:7]
	s_cbranch_execz .LBB114_504
; %bb.499:
	s_and_b64 vcc, exec, s[8:9]
	s_cbranch_vccz .LBB114_501
; %bb.500:
	buffer_load_dword v104, v107, s[0:3], 0 offen
	buffer_load_dword v105, v107, s[0:3], 0 offen offset:4
	ds_read_b64 v[108:109], v106
	s_waitcnt vmcnt(0) lgkmcnt(0)
	v_mul_f64 v[104:105], v[104:105], v[108:109]
	s_cbranch_execz .LBB114_502
	s_branch .LBB114_503
.LBB114_501:
                                        ; implicit-def: $vgpr104_vgpr105
.LBB114_502:
	ds_read_b64 v[104:105], v106
.LBB114_503:
	v_mov_b32_e32 v108, 0
	ds_read_b64 v[108:109], v108 offset:8
	s_waitcnt lgkmcnt(0)
	v_mul_f64 v[104:105], v[104:105], v[108:109]
	buffer_store_dword v105, off, s[0:3], 0 offset:12
	buffer_store_dword v104, off, s[0:3], 0 offset:8
.LBB114_504:
	s_or_b64 exec, exec, s[4:5]
	buffer_load_dword v104, off, s[0:3], 0 offset:16
	buffer_load_dword v105, off, s[0:3], 0 offset:20
	v_cndmask_b32_e64 v108, 0, 1, s[8:9]
	v_cmp_gt_u32_e32 vcc, 2, v0
	v_cmp_ne_u32_e64 s[4:5], 1, v108
	s_waitcnt vmcnt(0)
	ds_write_b64 v106, v[104:105]
	s_waitcnt lgkmcnt(0)
	; wave barrier
	s_waitcnt lgkmcnt(0)
	s_and_saveexec_b64 s[8:9], vcc
	s_cbranch_execz .LBB114_512
; %bb.505:
	s_and_b64 vcc, exec, s[4:5]
	s_cbranch_vccnz .LBB114_507
; %bb.506:
	buffer_load_dword v104, v107, s[0:3], 0 offen
	buffer_load_dword v105, v107, s[0:3], 0 offen offset:4
	ds_read_b64 v[108:109], v106
	s_waitcnt vmcnt(0) lgkmcnt(0)
	v_mul_f64 v[104:105], v[104:105], v[108:109]
	s_cbranch_execz .LBB114_508
	s_branch .LBB114_509
.LBB114_507:
                                        ; implicit-def: $vgpr104_vgpr105
.LBB114_508:
	ds_read_b64 v[104:105], v106
.LBB114_509:
	s_and_saveexec_b64 s[10:11], s[6:7]
	s_cbranch_execz .LBB114_511
; %bb.510:
	buffer_load_dword v108, v107, s[0:3], 0 offen offset:8
	buffer_load_dword v109, v107, s[0:3], 0 offen offset:12
	ds_read_b64 v[110:111], v106 offset:8
	s_waitcnt vmcnt(0) lgkmcnt(0)
	v_fmac_f64_e32 v[104:105], v[108:109], v[110:111]
.LBB114_511:
	s_or_b64 exec, exec, s[10:11]
	v_mov_b32_e32 v108, 0
	ds_read_b64 v[108:109], v108 offset:16
	s_waitcnt lgkmcnt(0)
	v_mul_f64 v[104:105], v[104:105], v[108:109]
	buffer_store_dword v105, off, s[0:3], 0 offset:20
	buffer_store_dword v104, off, s[0:3], 0 offset:16
.LBB114_512:
	s_or_b64 exec, exec, s[8:9]
	buffer_load_dword v104, off, s[0:3], 0 offset:24
	buffer_load_dword v105, off, s[0:3], 0 offset:28
	v_cmp_gt_u32_e32 vcc, 3, v0
	s_waitcnt vmcnt(0)
	ds_write_b64 v106, v[104:105]
	s_waitcnt lgkmcnt(0)
	; wave barrier
	s_waitcnt lgkmcnt(0)
	s_and_saveexec_b64 s[8:9], vcc
	s_cbranch_execz .LBB114_520
; %bb.513:
	s_and_b64 vcc, exec, s[4:5]
	s_cbranch_vccnz .LBB114_515
; %bb.514:
	buffer_load_dword v104, v107, s[0:3], 0 offen
	buffer_load_dword v105, v107, s[0:3], 0 offen offset:4
	ds_read_b64 v[108:109], v106
	s_waitcnt vmcnt(0) lgkmcnt(0)
	v_mul_f64 v[104:105], v[104:105], v[108:109]
	s_cbranch_execz .LBB114_516
	s_branch .LBB114_517
.LBB114_515:
                                        ; implicit-def: $vgpr104_vgpr105
.LBB114_516:
	ds_read_b64 v[104:105], v106
.LBB114_517:
	v_cmp_ne_u32_e32 vcc, 2, v0
	s_and_saveexec_b64 s[10:11], vcc
	s_cbranch_execz .LBB114_519
; %bb.518:
	buffer_load_dword v109, v107, s[0:3], 0 offen offset:12
	buffer_load_dword v110, off, s[0:3], 0 offset:16
	buffer_load_dword v108, v107, s[0:3], 0 offen offset:8
	buffer_load_dword v111, off, s[0:3], 0 offset:20
	v_mov_b32_e32 v114, 0
	ds_read_b64 v[112:113], v106 offset:8
	ds_read_b64 v[114:115], v114 offset:432
	s_waitcnt vmcnt(1) lgkmcnt(1)
	v_fmac_f64_e32 v[104:105], v[108:109], v[112:113]
	s_waitcnt vmcnt(0) lgkmcnt(0)
	v_fma_f64 v[108:109], v[110:111], v[114:115], v[104:105]
	v_cndmask_b32_e64 v105, v105, v109, s[6:7]
	v_cndmask_b32_e64 v104, v104, v108, s[6:7]
.LBB114_519:
	s_or_b64 exec, exec, s[10:11]
	v_mov_b32_e32 v108, 0
	ds_read_b64 v[108:109], v108 offset:24
	s_waitcnt lgkmcnt(0)
	v_mul_f64 v[104:105], v[104:105], v[108:109]
	buffer_store_dword v105, off, s[0:3], 0 offset:28
	buffer_store_dword v104, off, s[0:3], 0 offset:24
.LBB114_520:
	s_or_b64 exec, exec, s[8:9]
	buffer_load_dword v104, off, s[0:3], 0 offset:32
	buffer_load_dword v105, off, s[0:3], 0 offset:36
	v_cmp_gt_u32_e32 vcc, 4, v0
	s_waitcnt vmcnt(0)
	ds_write_b64 v106, v[104:105]
	s_waitcnt lgkmcnt(0)
	; wave barrier
	s_waitcnt lgkmcnt(0)
	s_and_saveexec_b64 s[6:7], vcc
	s_cbranch_execz .LBB114_530
; %bb.521:
	s_and_b64 vcc, exec, s[4:5]
	s_cbranch_vccnz .LBB114_523
; %bb.522:
	buffer_load_dword v104, v107, s[0:3], 0 offen
	buffer_load_dword v105, v107, s[0:3], 0 offen offset:4
	ds_read_b64 v[108:109], v106
	s_waitcnt vmcnt(0) lgkmcnt(0)
	v_mul_f64 v[104:105], v[104:105], v[108:109]
	s_cbranch_execz .LBB114_524
	s_branch .LBB114_525
.LBB114_523:
                                        ; implicit-def: $vgpr104_vgpr105
.LBB114_524:
	ds_read_b64 v[104:105], v106
.LBB114_525:
	v_cmp_ne_u32_e32 vcc, 3, v0
	s_and_saveexec_b64 s[8:9], vcc
	s_cbranch_execz .LBB114_529
; %bb.526:
	v_mov_b32_e32 v109, 0
	v_add_u32_e32 v108, 0x1a8, v1
	v_add3_u32 v109, v1, v109, 8
	s_mov_b64 s[10:11], 0
	v_mov_b32_e32 v110, v0
.LBB114_527:                            ; =>This Inner Loop Header: Depth=1
	buffer_load_dword v112, v109, s[0:3], 0 offen
	buffer_load_dword v113, v109, s[0:3], 0 offen offset:4
	ds_read_b64 v[114:115], v108
	v_add_u32_e32 v110, 1, v110
	v_cmp_lt_u32_e32 vcc, 2, v110
	v_add_u32_e32 v108, 8, v108
	v_add_u32_e32 v109, 8, v109
	s_or_b64 s[10:11], vcc, s[10:11]
	s_waitcnt vmcnt(0) lgkmcnt(0)
	v_fmac_f64_e32 v[104:105], v[112:113], v[114:115]
	s_andn2_b64 exec, exec, s[10:11]
	s_cbranch_execnz .LBB114_527
; %bb.528:
	s_or_b64 exec, exec, s[10:11]
.LBB114_529:
	s_or_b64 exec, exec, s[8:9]
	v_mov_b32_e32 v108, 0
	ds_read_b64 v[108:109], v108 offset:32
	s_waitcnt lgkmcnt(0)
	v_mul_f64 v[104:105], v[104:105], v[108:109]
	buffer_store_dword v105, off, s[0:3], 0 offset:36
	buffer_store_dword v104, off, s[0:3], 0 offset:32
.LBB114_530:
	s_or_b64 exec, exec, s[6:7]
	buffer_load_dword v104, off, s[0:3], 0 offset:40
	buffer_load_dword v105, off, s[0:3], 0 offset:44
	v_cmp_gt_u32_e32 vcc, 5, v0
	s_waitcnt vmcnt(0)
	ds_write_b64 v106, v[104:105]
	s_waitcnt lgkmcnt(0)
	; wave barrier
	s_waitcnt lgkmcnt(0)
	s_and_saveexec_b64 s[6:7], vcc
	s_cbranch_execz .LBB114_540
; %bb.531:
	s_and_b64 vcc, exec, s[4:5]
	s_cbranch_vccnz .LBB114_533
; %bb.532:
	buffer_load_dword v104, v107, s[0:3], 0 offen
	buffer_load_dword v105, v107, s[0:3], 0 offen offset:4
	ds_read_b64 v[108:109], v106
	s_waitcnt vmcnt(0) lgkmcnt(0)
	v_mul_f64 v[104:105], v[104:105], v[108:109]
	s_cbranch_execz .LBB114_534
	s_branch .LBB114_535
.LBB114_533:
                                        ; implicit-def: $vgpr104_vgpr105
.LBB114_534:
	ds_read_b64 v[104:105], v106
.LBB114_535:
	v_cmp_ne_u32_e32 vcc, 4, v0
	s_and_saveexec_b64 s[8:9], vcc
	s_cbranch_execz .LBB114_539
; %bb.536:
	v_mov_b32_e32 v109, 0
	v_add_u32_e32 v108, 0x1a8, v1
	v_add3_u32 v109, v1, v109, 8
	s_mov_b64 s[10:11], 0
	v_mov_b32_e32 v110, v0
.LBB114_537:                            ; =>This Inner Loop Header: Depth=1
	buffer_load_dword v112, v109, s[0:3], 0 offen
	buffer_load_dword v113, v109, s[0:3], 0 offen offset:4
	ds_read_b64 v[114:115], v108
	v_add_u32_e32 v110, 1, v110
	v_cmp_lt_u32_e32 vcc, 3, v110
	v_add_u32_e32 v108, 8, v108
	v_add_u32_e32 v109, 8, v109
	s_or_b64 s[10:11], vcc, s[10:11]
	s_waitcnt vmcnt(0) lgkmcnt(0)
	v_fmac_f64_e32 v[104:105], v[112:113], v[114:115]
	s_andn2_b64 exec, exec, s[10:11]
	s_cbranch_execnz .LBB114_537
; %bb.538:
	s_or_b64 exec, exec, s[10:11]
.LBB114_539:
	s_or_b64 exec, exec, s[8:9]
	v_mov_b32_e32 v108, 0
	ds_read_b64 v[108:109], v108 offset:40
	s_waitcnt lgkmcnt(0)
	v_mul_f64 v[104:105], v[104:105], v[108:109]
	buffer_store_dword v105, off, s[0:3], 0 offset:44
	buffer_store_dword v104, off, s[0:3], 0 offset:40
.LBB114_540:
	s_or_b64 exec, exec, s[6:7]
	buffer_load_dword v104, off, s[0:3], 0 offset:48
	buffer_load_dword v105, off, s[0:3], 0 offset:52
	v_cmp_gt_u32_e32 vcc, 6, v0
	s_waitcnt vmcnt(0)
	ds_write_b64 v106, v[104:105]
	s_waitcnt lgkmcnt(0)
	; wave barrier
	s_waitcnt lgkmcnt(0)
	s_and_saveexec_b64 s[6:7], vcc
	s_cbranch_execz .LBB114_550
; %bb.541:
	s_and_b64 vcc, exec, s[4:5]
	s_cbranch_vccnz .LBB114_543
; %bb.542:
	buffer_load_dword v104, v107, s[0:3], 0 offen
	buffer_load_dword v105, v107, s[0:3], 0 offen offset:4
	ds_read_b64 v[108:109], v106
	s_waitcnt vmcnt(0) lgkmcnt(0)
	v_mul_f64 v[104:105], v[104:105], v[108:109]
	s_cbranch_execz .LBB114_544
	s_branch .LBB114_545
.LBB114_543:
                                        ; implicit-def: $vgpr104_vgpr105
.LBB114_544:
	ds_read_b64 v[104:105], v106
.LBB114_545:
	v_cmp_ne_u32_e32 vcc, 5, v0
	s_and_saveexec_b64 s[8:9], vcc
	s_cbranch_execz .LBB114_549
; %bb.546:
	v_mov_b32_e32 v109, 0
	v_add_u32_e32 v108, 0x1a8, v1
	v_add3_u32 v109, v1, v109, 8
	s_mov_b64 s[10:11], 0
	v_mov_b32_e32 v110, v0
.LBB114_547:                            ; =>This Inner Loop Header: Depth=1
	buffer_load_dword v112, v109, s[0:3], 0 offen
	buffer_load_dword v113, v109, s[0:3], 0 offen offset:4
	ds_read_b64 v[114:115], v108
	v_add_u32_e32 v110, 1, v110
	v_cmp_lt_u32_e32 vcc, 4, v110
	v_add_u32_e32 v108, 8, v108
	v_add_u32_e32 v109, 8, v109
	s_or_b64 s[10:11], vcc, s[10:11]
	s_waitcnt vmcnt(0) lgkmcnt(0)
	v_fmac_f64_e32 v[104:105], v[112:113], v[114:115]
	s_andn2_b64 exec, exec, s[10:11]
	s_cbranch_execnz .LBB114_547
; %bb.548:
	s_or_b64 exec, exec, s[10:11]
.LBB114_549:
	s_or_b64 exec, exec, s[8:9]
	v_mov_b32_e32 v108, 0
	ds_read_b64 v[108:109], v108 offset:48
	s_waitcnt lgkmcnt(0)
	v_mul_f64 v[104:105], v[104:105], v[108:109]
	buffer_store_dword v105, off, s[0:3], 0 offset:52
	buffer_store_dword v104, off, s[0:3], 0 offset:48
.LBB114_550:
	s_or_b64 exec, exec, s[6:7]
	buffer_load_dword v104, off, s[0:3], 0 offset:56
	buffer_load_dword v105, off, s[0:3], 0 offset:60
	v_cmp_gt_u32_e32 vcc, 7, v0
	s_waitcnt vmcnt(0)
	ds_write_b64 v106, v[104:105]
	s_waitcnt lgkmcnt(0)
	; wave barrier
	s_waitcnt lgkmcnt(0)
	s_and_saveexec_b64 s[6:7], vcc
	s_cbranch_execz .LBB114_560
; %bb.551:
	s_and_b64 vcc, exec, s[4:5]
	s_cbranch_vccnz .LBB114_553
; %bb.552:
	buffer_load_dword v104, v107, s[0:3], 0 offen
	buffer_load_dword v105, v107, s[0:3], 0 offen offset:4
	ds_read_b64 v[108:109], v106
	s_waitcnt vmcnt(0) lgkmcnt(0)
	v_mul_f64 v[104:105], v[104:105], v[108:109]
	s_cbranch_execz .LBB114_554
	s_branch .LBB114_555
.LBB114_553:
                                        ; implicit-def: $vgpr104_vgpr105
.LBB114_554:
	ds_read_b64 v[104:105], v106
.LBB114_555:
	v_cmp_ne_u32_e32 vcc, 6, v0
	s_and_saveexec_b64 s[8:9], vcc
	s_cbranch_execz .LBB114_559
; %bb.556:
	v_mov_b32_e32 v109, 0
	v_add_u32_e32 v108, 0x1a8, v1
	v_add3_u32 v109, v1, v109, 8
	s_mov_b64 s[10:11], 0
	v_mov_b32_e32 v110, v0
.LBB114_557:                            ; =>This Inner Loop Header: Depth=1
	buffer_load_dword v112, v109, s[0:3], 0 offen
	buffer_load_dword v113, v109, s[0:3], 0 offen offset:4
	ds_read_b64 v[114:115], v108
	v_add_u32_e32 v110, 1, v110
	v_cmp_lt_u32_e32 vcc, 5, v110
	v_add_u32_e32 v108, 8, v108
	v_add_u32_e32 v109, 8, v109
	s_or_b64 s[10:11], vcc, s[10:11]
	s_waitcnt vmcnt(0) lgkmcnt(0)
	v_fmac_f64_e32 v[104:105], v[112:113], v[114:115]
	s_andn2_b64 exec, exec, s[10:11]
	s_cbranch_execnz .LBB114_557
; %bb.558:
	s_or_b64 exec, exec, s[10:11]
.LBB114_559:
	s_or_b64 exec, exec, s[8:9]
	v_mov_b32_e32 v108, 0
	ds_read_b64 v[108:109], v108 offset:56
	s_waitcnt lgkmcnt(0)
	v_mul_f64 v[104:105], v[104:105], v[108:109]
	buffer_store_dword v105, off, s[0:3], 0 offset:60
	buffer_store_dword v104, off, s[0:3], 0 offset:56
.LBB114_560:
	s_or_b64 exec, exec, s[6:7]
	buffer_load_dword v104, off, s[0:3], 0 offset:64
	buffer_load_dword v105, off, s[0:3], 0 offset:68
	v_cmp_gt_u32_e32 vcc, 8, v0
	s_waitcnt vmcnt(0)
	ds_write_b64 v106, v[104:105]
	s_waitcnt lgkmcnt(0)
	; wave barrier
	s_waitcnt lgkmcnt(0)
	s_and_saveexec_b64 s[6:7], vcc
	s_cbranch_execz .LBB114_570
; %bb.561:
	s_and_b64 vcc, exec, s[4:5]
	s_cbranch_vccnz .LBB114_563
; %bb.562:
	buffer_load_dword v104, v107, s[0:3], 0 offen
	buffer_load_dword v105, v107, s[0:3], 0 offen offset:4
	ds_read_b64 v[108:109], v106
	s_waitcnt vmcnt(0) lgkmcnt(0)
	v_mul_f64 v[104:105], v[104:105], v[108:109]
	s_cbranch_execz .LBB114_564
	s_branch .LBB114_565
.LBB114_563:
                                        ; implicit-def: $vgpr104_vgpr105
.LBB114_564:
	ds_read_b64 v[104:105], v106
.LBB114_565:
	v_cmp_ne_u32_e32 vcc, 7, v0
	s_and_saveexec_b64 s[8:9], vcc
	s_cbranch_execz .LBB114_569
; %bb.566:
	v_mov_b32_e32 v109, 0
	v_add_u32_e32 v108, 0x1a8, v1
	v_add3_u32 v109, v1, v109, 8
	s_mov_b64 s[10:11], 0
	v_mov_b32_e32 v110, v0
.LBB114_567:                            ; =>This Inner Loop Header: Depth=1
	buffer_load_dword v112, v109, s[0:3], 0 offen
	buffer_load_dword v113, v109, s[0:3], 0 offen offset:4
	ds_read_b64 v[114:115], v108
	v_add_u32_e32 v110, 1, v110
	v_cmp_lt_u32_e32 vcc, 6, v110
	v_add_u32_e32 v108, 8, v108
	v_add_u32_e32 v109, 8, v109
	s_or_b64 s[10:11], vcc, s[10:11]
	s_waitcnt vmcnt(0) lgkmcnt(0)
	v_fmac_f64_e32 v[104:105], v[112:113], v[114:115]
	s_andn2_b64 exec, exec, s[10:11]
	s_cbranch_execnz .LBB114_567
; %bb.568:
	s_or_b64 exec, exec, s[10:11]
.LBB114_569:
	s_or_b64 exec, exec, s[8:9]
	v_mov_b32_e32 v108, 0
	ds_read_b64 v[108:109], v108 offset:64
	s_waitcnt lgkmcnt(0)
	v_mul_f64 v[104:105], v[104:105], v[108:109]
	buffer_store_dword v105, off, s[0:3], 0 offset:68
	buffer_store_dword v104, off, s[0:3], 0 offset:64
.LBB114_570:
	s_or_b64 exec, exec, s[6:7]
	buffer_load_dword v104, off, s[0:3], 0 offset:72
	buffer_load_dword v105, off, s[0:3], 0 offset:76
	v_cmp_gt_u32_e32 vcc, 9, v0
	s_waitcnt vmcnt(0)
	ds_write_b64 v106, v[104:105]
	s_waitcnt lgkmcnt(0)
	; wave barrier
	s_waitcnt lgkmcnt(0)
	s_and_saveexec_b64 s[6:7], vcc
	s_cbranch_execz .LBB114_580
; %bb.571:
	s_and_b64 vcc, exec, s[4:5]
	s_cbranch_vccnz .LBB114_573
; %bb.572:
	buffer_load_dword v104, v107, s[0:3], 0 offen
	buffer_load_dword v105, v107, s[0:3], 0 offen offset:4
	ds_read_b64 v[108:109], v106
	s_waitcnt vmcnt(0) lgkmcnt(0)
	v_mul_f64 v[104:105], v[104:105], v[108:109]
	s_cbranch_execz .LBB114_574
	s_branch .LBB114_575
.LBB114_573:
                                        ; implicit-def: $vgpr104_vgpr105
.LBB114_574:
	ds_read_b64 v[104:105], v106
.LBB114_575:
	v_cmp_ne_u32_e32 vcc, 8, v0
	s_and_saveexec_b64 s[8:9], vcc
	s_cbranch_execz .LBB114_579
; %bb.576:
	v_mov_b32_e32 v109, 0
	v_add_u32_e32 v108, 0x1a8, v1
	v_add3_u32 v109, v1, v109, 8
	s_mov_b64 s[10:11], 0
	v_mov_b32_e32 v110, v0
.LBB114_577:                            ; =>This Inner Loop Header: Depth=1
	buffer_load_dword v112, v109, s[0:3], 0 offen
	buffer_load_dword v113, v109, s[0:3], 0 offen offset:4
	ds_read_b64 v[114:115], v108
	v_add_u32_e32 v110, 1, v110
	v_cmp_lt_u32_e32 vcc, 7, v110
	v_add_u32_e32 v108, 8, v108
	v_add_u32_e32 v109, 8, v109
	s_or_b64 s[10:11], vcc, s[10:11]
	s_waitcnt vmcnt(0) lgkmcnt(0)
	v_fmac_f64_e32 v[104:105], v[112:113], v[114:115]
	s_andn2_b64 exec, exec, s[10:11]
	s_cbranch_execnz .LBB114_577
; %bb.578:
	s_or_b64 exec, exec, s[10:11]
.LBB114_579:
	s_or_b64 exec, exec, s[8:9]
	v_mov_b32_e32 v108, 0
	ds_read_b64 v[108:109], v108 offset:72
	s_waitcnt lgkmcnt(0)
	v_mul_f64 v[104:105], v[104:105], v[108:109]
	buffer_store_dword v105, off, s[0:3], 0 offset:76
	buffer_store_dword v104, off, s[0:3], 0 offset:72
.LBB114_580:
	s_or_b64 exec, exec, s[6:7]
	buffer_load_dword v104, off, s[0:3], 0 offset:80
	buffer_load_dword v105, off, s[0:3], 0 offset:84
	v_cmp_gt_u32_e32 vcc, 10, v0
	s_waitcnt vmcnt(0)
	ds_write_b64 v106, v[104:105]
	s_waitcnt lgkmcnt(0)
	; wave barrier
	s_waitcnt lgkmcnt(0)
	s_and_saveexec_b64 s[6:7], vcc
	s_cbranch_execz .LBB114_590
; %bb.581:
	s_and_b64 vcc, exec, s[4:5]
	s_cbranch_vccnz .LBB114_583
; %bb.582:
	buffer_load_dword v104, v107, s[0:3], 0 offen
	buffer_load_dword v105, v107, s[0:3], 0 offen offset:4
	ds_read_b64 v[108:109], v106
	s_waitcnt vmcnt(0) lgkmcnt(0)
	v_mul_f64 v[104:105], v[104:105], v[108:109]
	s_cbranch_execz .LBB114_584
	s_branch .LBB114_585
.LBB114_583:
                                        ; implicit-def: $vgpr104_vgpr105
.LBB114_584:
	ds_read_b64 v[104:105], v106
.LBB114_585:
	v_cmp_ne_u32_e32 vcc, 9, v0
	s_and_saveexec_b64 s[8:9], vcc
	s_cbranch_execz .LBB114_589
; %bb.586:
	v_mov_b32_e32 v109, 0
	v_add_u32_e32 v108, 0x1a8, v1
	v_add3_u32 v109, v1, v109, 8
	s_mov_b64 s[10:11], 0
	v_mov_b32_e32 v110, v0
.LBB114_587:                            ; =>This Inner Loop Header: Depth=1
	buffer_load_dword v112, v109, s[0:3], 0 offen
	buffer_load_dword v113, v109, s[0:3], 0 offen offset:4
	ds_read_b64 v[114:115], v108
	v_add_u32_e32 v110, 1, v110
	v_cmp_lt_u32_e32 vcc, 8, v110
	v_add_u32_e32 v108, 8, v108
	v_add_u32_e32 v109, 8, v109
	s_or_b64 s[10:11], vcc, s[10:11]
	s_waitcnt vmcnt(0) lgkmcnt(0)
	v_fmac_f64_e32 v[104:105], v[112:113], v[114:115]
	s_andn2_b64 exec, exec, s[10:11]
	s_cbranch_execnz .LBB114_587
; %bb.588:
	s_or_b64 exec, exec, s[10:11]
.LBB114_589:
	s_or_b64 exec, exec, s[8:9]
	v_mov_b32_e32 v108, 0
	ds_read_b64 v[108:109], v108 offset:80
	s_waitcnt lgkmcnt(0)
	v_mul_f64 v[104:105], v[104:105], v[108:109]
	buffer_store_dword v105, off, s[0:3], 0 offset:84
	buffer_store_dword v104, off, s[0:3], 0 offset:80
.LBB114_590:
	s_or_b64 exec, exec, s[6:7]
	buffer_load_dword v104, off, s[0:3], 0 offset:88
	buffer_load_dword v105, off, s[0:3], 0 offset:92
	v_cmp_gt_u32_e32 vcc, 11, v0
	s_waitcnt vmcnt(0)
	ds_write_b64 v106, v[104:105]
	s_waitcnt lgkmcnt(0)
	; wave barrier
	s_waitcnt lgkmcnt(0)
	s_and_saveexec_b64 s[6:7], vcc
	s_cbranch_execz .LBB114_600
; %bb.591:
	s_and_b64 vcc, exec, s[4:5]
	s_cbranch_vccnz .LBB114_593
; %bb.592:
	buffer_load_dword v104, v107, s[0:3], 0 offen
	buffer_load_dword v105, v107, s[0:3], 0 offen offset:4
	ds_read_b64 v[108:109], v106
	s_waitcnt vmcnt(0) lgkmcnt(0)
	v_mul_f64 v[104:105], v[104:105], v[108:109]
	s_cbranch_execz .LBB114_594
	s_branch .LBB114_595
.LBB114_593:
                                        ; implicit-def: $vgpr104_vgpr105
.LBB114_594:
	ds_read_b64 v[104:105], v106
.LBB114_595:
	v_cmp_ne_u32_e32 vcc, 10, v0
	s_and_saveexec_b64 s[8:9], vcc
	s_cbranch_execz .LBB114_599
; %bb.596:
	v_mov_b32_e32 v109, 0
	v_add_u32_e32 v108, 0x1a8, v1
	v_add3_u32 v109, v1, v109, 8
	s_mov_b64 s[10:11], 0
	v_mov_b32_e32 v110, v0
.LBB114_597:                            ; =>This Inner Loop Header: Depth=1
	buffer_load_dword v112, v109, s[0:3], 0 offen
	buffer_load_dword v113, v109, s[0:3], 0 offen offset:4
	ds_read_b64 v[114:115], v108
	v_add_u32_e32 v110, 1, v110
	v_cmp_lt_u32_e32 vcc, 9, v110
	v_add_u32_e32 v108, 8, v108
	v_add_u32_e32 v109, 8, v109
	s_or_b64 s[10:11], vcc, s[10:11]
	s_waitcnt vmcnt(0) lgkmcnt(0)
	v_fmac_f64_e32 v[104:105], v[112:113], v[114:115]
	s_andn2_b64 exec, exec, s[10:11]
	s_cbranch_execnz .LBB114_597
; %bb.598:
	s_or_b64 exec, exec, s[10:11]
.LBB114_599:
	s_or_b64 exec, exec, s[8:9]
	v_mov_b32_e32 v108, 0
	ds_read_b64 v[108:109], v108 offset:88
	s_waitcnt lgkmcnt(0)
	v_mul_f64 v[104:105], v[104:105], v[108:109]
	buffer_store_dword v105, off, s[0:3], 0 offset:92
	buffer_store_dword v104, off, s[0:3], 0 offset:88
.LBB114_600:
	s_or_b64 exec, exec, s[6:7]
	buffer_load_dword v104, off, s[0:3], 0 offset:96
	buffer_load_dword v105, off, s[0:3], 0 offset:100
	v_cmp_gt_u32_e32 vcc, 12, v0
	s_waitcnt vmcnt(0)
	ds_write_b64 v106, v[104:105]
	s_waitcnt lgkmcnt(0)
	; wave barrier
	s_waitcnt lgkmcnt(0)
	s_and_saveexec_b64 s[6:7], vcc
	s_cbranch_execz .LBB114_610
; %bb.601:
	s_and_b64 vcc, exec, s[4:5]
	s_cbranch_vccnz .LBB114_603
; %bb.602:
	buffer_load_dword v104, v107, s[0:3], 0 offen
	buffer_load_dword v105, v107, s[0:3], 0 offen offset:4
	ds_read_b64 v[108:109], v106
	s_waitcnt vmcnt(0) lgkmcnt(0)
	v_mul_f64 v[104:105], v[104:105], v[108:109]
	s_cbranch_execz .LBB114_604
	s_branch .LBB114_605
.LBB114_603:
                                        ; implicit-def: $vgpr104_vgpr105
.LBB114_604:
	ds_read_b64 v[104:105], v106
.LBB114_605:
	v_cmp_ne_u32_e32 vcc, 11, v0
	s_and_saveexec_b64 s[8:9], vcc
	s_cbranch_execz .LBB114_609
; %bb.606:
	v_mov_b32_e32 v109, 0
	v_add_u32_e32 v108, 0x1a8, v1
	v_add3_u32 v109, v1, v109, 8
	s_mov_b64 s[10:11], 0
	v_mov_b32_e32 v110, v0
.LBB114_607:                            ; =>This Inner Loop Header: Depth=1
	buffer_load_dword v112, v109, s[0:3], 0 offen
	buffer_load_dword v113, v109, s[0:3], 0 offen offset:4
	ds_read_b64 v[114:115], v108
	v_add_u32_e32 v110, 1, v110
	v_cmp_lt_u32_e32 vcc, 10, v110
	v_add_u32_e32 v108, 8, v108
	v_add_u32_e32 v109, 8, v109
	s_or_b64 s[10:11], vcc, s[10:11]
	s_waitcnt vmcnt(0) lgkmcnt(0)
	v_fmac_f64_e32 v[104:105], v[112:113], v[114:115]
	s_andn2_b64 exec, exec, s[10:11]
	s_cbranch_execnz .LBB114_607
; %bb.608:
	s_or_b64 exec, exec, s[10:11]
.LBB114_609:
	s_or_b64 exec, exec, s[8:9]
	v_mov_b32_e32 v108, 0
	ds_read_b64 v[108:109], v108 offset:96
	s_waitcnt lgkmcnt(0)
	v_mul_f64 v[104:105], v[104:105], v[108:109]
	buffer_store_dword v105, off, s[0:3], 0 offset:100
	buffer_store_dword v104, off, s[0:3], 0 offset:96
.LBB114_610:
	s_or_b64 exec, exec, s[6:7]
	buffer_load_dword v104, off, s[0:3], 0 offset:104
	buffer_load_dword v105, off, s[0:3], 0 offset:108
	v_cmp_gt_u32_e32 vcc, 13, v0
	s_waitcnt vmcnt(0)
	ds_write_b64 v106, v[104:105]
	s_waitcnt lgkmcnt(0)
	; wave barrier
	s_waitcnt lgkmcnt(0)
	s_and_saveexec_b64 s[6:7], vcc
	s_cbranch_execz .LBB114_620
; %bb.611:
	s_and_b64 vcc, exec, s[4:5]
	s_cbranch_vccnz .LBB114_613
; %bb.612:
	buffer_load_dword v104, v107, s[0:3], 0 offen
	buffer_load_dword v105, v107, s[0:3], 0 offen offset:4
	ds_read_b64 v[108:109], v106
	s_waitcnt vmcnt(0) lgkmcnt(0)
	v_mul_f64 v[104:105], v[104:105], v[108:109]
	s_cbranch_execz .LBB114_614
	s_branch .LBB114_615
.LBB114_613:
                                        ; implicit-def: $vgpr104_vgpr105
.LBB114_614:
	ds_read_b64 v[104:105], v106
.LBB114_615:
	v_cmp_ne_u32_e32 vcc, 12, v0
	s_and_saveexec_b64 s[8:9], vcc
	s_cbranch_execz .LBB114_619
; %bb.616:
	v_mov_b32_e32 v109, 0
	v_add_u32_e32 v108, 0x1a8, v1
	v_add3_u32 v109, v1, v109, 8
	s_mov_b64 s[10:11], 0
	v_mov_b32_e32 v110, v0
.LBB114_617:                            ; =>This Inner Loop Header: Depth=1
	buffer_load_dword v112, v109, s[0:3], 0 offen
	buffer_load_dword v113, v109, s[0:3], 0 offen offset:4
	ds_read_b64 v[114:115], v108
	v_add_u32_e32 v110, 1, v110
	v_cmp_lt_u32_e32 vcc, 11, v110
	v_add_u32_e32 v108, 8, v108
	v_add_u32_e32 v109, 8, v109
	s_or_b64 s[10:11], vcc, s[10:11]
	s_waitcnt vmcnt(0) lgkmcnt(0)
	v_fmac_f64_e32 v[104:105], v[112:113], v[114:115]
	s_andn2_b64 exec, exec, s[10:11]
	s_cbranch_execnz .LBB114_617
; %bb.618:
	s_or_b64 exec, exec, s[10:11]
.LBB114_619:
	s_or_b64 exec, exec, s[8:9]
	v_mov_b32_e32 v108, 0
	ds_read_b64 v[108:109], v108 offset:104
	s_waitcnt lgkmcnt(0)
	v_mul_f64 v[104:105], v[104:105], v[108:109]
	buffer_store_dword v105, off, s[0:3], 0 offset:108
	buffer_store_dword v104, off, s[0:3], 0 offset:104
.LBB114_620:
	s_or_b64 exec, exec, s[6:7]
	buffer_load_dword v104, off, s[0:3], 0 offset:112
	buffer_load_dword v105, off, s[0:3], 0 offset:116
	v_cmp_gt_u32_e32 vcc, 14, v0
	s_waitcnt vmcnt(0)
	ds_write_b64 v106, v[104:105]
	s_waitcnt lgkmcnt(0)
	; wave barrier
	s_waitcnt lgkmcnt(0)
	s_and_saveexec_b64 s[6:7], vcc
	s_cbranch_execz .LBB114_630
; %bb.621:
	s_and_b64 vcc, exec, s[4:5]
	s_cbranch_vccnz .LBB114_623
; %bb.622:
	buffer_load_dword v104, v107, s[0:3], 0 offen
	buffer_load_dword v105, v107, s[0:3], 0 offen offset:4
	ds_read_b64 v[108:109], v106
	s_waitcnt vmcnt(0) lgkmcnt(0)
	v_mul_f64 v[104:105], v[104:105], v[108:109]
	s_cbranch_execz .LBB114_624
	s_branch .LBB114_625
.LBB114_623:
                                        ; implicit-def: $vgpr104_vgpr105
.LBB114_624:
	ds_read_b64 v[104:105], v106
.LBB114_625:
	v_cmp_ne_u32_e32 vcc, 13, v0
	s_and_saveexec_b64 s[8:9], vcc
	s_cbranch_execz .LBB114_629
; %bb.626:
	v_mov_b32_e32 v109, 0
	v_add_u32_e32 v108, 0x1a8, v1
	v_add3_u32 v109, v1, v109, 8
	s_mov_b64 s[10:11], 0
	v_mov_b32_e32 v110, v0
.LBB114_627:                            ; =>This Inner Loop Header: Depth=1
	buffer_load_dword v112, v109, s[0:3], 0 offen
	buffer_load_dword v113, v109, s[0:3], 0 offen offset:4
	ds_read_b64 v[114:115], v108
	v_add_u32_e32 v110, 1, v110
	v_cmp_lt_u32_e32 vcc, 12, v110
	v_add_u32_e32 v108, 8, v108
	v_add_u32_e32 v109, 8, v109
	s_or_b64 s[10:11], vcc, s[10:11]
	s_waitcnt vmcnt(0) lgkmcnt(0)
	v_fmac_f64_e32 v[104:105], v[112:113], v[114:115]
	s_andn2_b64 exec, exec, s[10:11]
	s_cbranch_execnz .LBB114_627
; %bb.628:
	s_or_b64 exec, exec, s[10:11]
.LBB114_629:
	s_or_b64 exec, exec, s[8:9]
	v_mov_b32_e32 v108, 0
	ds_read_b64 v[108:109], v108 offset:112
	s_waitcnt lgkmcnt(0)
	v_mul_f64 v[104:105], v[104:105], v[108:109]
	buffer_store_dword v105, off, s[0:3], 0 offset:116
	buffer_store_dword v104, off, s[0:3], 0 offset:112
.LBB114_630:
	s_or_b64 exec, exec, s[6:7]
	buffer_load_dword v104, off, s[0:3], 0 offset:120
	buffer_load_dword v105, off, s[0:3], 0 offset:124
	v_cmp_gt_u32_e32 vcc, 15, v0
	s_waitcnt vmcnt(0)
	ds_write_b64 v106, v[104:105]
	s_waitcnt lgkmcnt(0)
	; wave barrier
	s_waitcnt lgkmcnt(0)
	s_and_saveexec_b64 s[6:7], vcc
	s_cbranch_execz .LBB114_640
; %bb.631:
	s_and_b64 vcc, exec, s[4:5]
	s_cbranch_vccnz .LBB114_633
; %bb.632:
	buffer_load_dword v104, v107, s[0:3], 0 offen
	buffer_load_dword v105, v107, s[0:3], 0 offen offset:4
	ds_read_b64 v[108:109], v106
	s_waitcnt vmcnt(0) lgkmcnt(0)
	v_mul_f64 v[104:105], v[104:105], v[108:109]
	s_cbranch_execz .LBB114_634
	s_branch .LBB114_635
.LBB114_633:
                                        ; implicit-def: $vgpr104_vgpr105
.LBB114_634:
	ds_read_b64 v[104:105], v106
.LBB114_635:
	v_cmp_ne_u32_e32 vcc, 14, v0
	s_and_saveexec_b64 s[8:9], vcc
	s_cbranch_execz .LBB114_639
; %bb.636:
	v_mov_b32_e32 v109, 0
	v_add_u32_e32 v108, 0x1a8, v1
	v_add3_u32 v109, v1, v109, 8
	s_mov_b64 s[10:11], 0
	v_mov_b32_e32 v110, v0
.LBB114_637:                            ; =>This Inner Loop Header: Depth=1
	buffer_load_dword v112, v109, s[0:3], 0 offen
	buffer_load_dword v113, v109, s[0:3], 0 offen offset:4
	ds_read_b64 v[114:115], v108
	v_add_u32_e32 v110, 1, v110
	v_cmp_lt_u32_e32 vcc, 13, v110
	v_add_u32_e32 v108, 8, v108
	v_add_u32_e32 v109, 8, v109
	s_or_b64 s[10:11], vcc, s[10:11]
	s_waitcnt vmcnt(0) lgkmcnt(0)
	v_fmac_f64_e32 v[104:105], v[112:113], v[114:115]
	s_andn2_b64 exec, exec, s[10:11]
	s_cbranch_execnz .LBB114_637
; %bb.638:
	s_or_b64 exec, exec, s[10:11]
.LBB114_639:
	s_or_b64 exec, exec, s[8:9]
	v_mov_b32_e32 v108, 0
	ds_read_b64 v[108:109], v108 offset:120
	s_waitcnt lgkmcnt(0)
	v_mul_f64 v[104:105], v[104:105], v[108:109]
	buffer_store_dword v105, off, s[0:3], 0 offset:124
	buffer_store_dword v104, off, s[0:3], 0 offset:120
.LBB114_640:
	s_or_b64 exec, exec, s[6:7]
	buffer_load_dword v104, off, s[0:3], 0 offset:128
	buffer_load_dword v105, off, s[0:3], 0 offset:132
	v_cmp_gt_u32_e32 vcc, 16, v0
	s_waitcnt vmcnt(0)
	ds_write_b64 v106, v[104:105]
	s_waitcnt lgkmcnt(0)
	; wave barrier
	s_waitcnt lgkmcnt(0)
	s_and_saveexec_b64 s[6:7], vcc
	s_cbranch_execz .LBB114_650
; %bb.641:
	s_and_b64 vcc, exec, s[4:5]
	s_cbranch_vccnz .LBB114_643
; %bb.642:
	buffer_load_dword v104, v107, s[0:3], 0 offen
	buffer_load_dword v105, v107, s[0:3], 0 offen offset:4
	ds_read_b64 v[108:109], v106
	s_waitcnt vmcnt(0) lgkmcnt(0)
	v_mul_f64 v[104:105], v[104:105], v[108:109]
	s_cbranch_execz .LBB114_644
	s_branch .LBB114_645
.LBB114_643:
                                        ; implicit-def: $vgpr104_vgpr105
.LBB114_644:
	ds_read_b64 v[104:105], v106
.LBB114_645:
	v_cmp_ne_u32_e32 vcc, 15, v0
	s_and_saveexec_b64 s[8:9], vcc
	s_cbranch_execz .LBB114_649
; %bb.646:
	v_mov_b32_e32 v109, 0
	v_add_u32_e32 v108, 0x1a8, v1
	v_add3_u32 v109, v1, v109, 8
	s_mov_b64 s[10:11], 0
	v_mov_b32_e32 v110, v0
.LBB114_647:                            ; =>This Inner Loop Header: Depth=1
	buffer_load_dword v112, v109, s[0:3], 0 offen
	buffer_load_dword v113, v109, s[0:3], 0 offen offset:4
	ds_read_b64 v[114:115], v108
	v_add_u32_e32 v110, 1, v110
	v_cmp_lt_u32_e32 vcc, 14, v110
	v_add_u32_e32 v108, 8, v108
	v_add_u32_e32 v109, 8, v109
	s_or_b64 s[10:11], vcc, s[10:11]
	s_waitcnt vmcnt(0) lgkmcnt(0)
	v_fmac_f64_e32 v[104:105], v[112:113], v[114:115]
	s_andn2_b64 exec, exec, s[10:11]
	s_cbranch_execnz .LBB114_647
; %bb.648:
	s_or_b64 exec, exec, s[10:11]
.LBB114_649:
	s_or_b64 exec, exec, s[8:9]
	v_mov_b32_e32 v108, 0
	ds_read_b64 v[108:109], v108 offset:128
	s_waitcnt lgkmcnt(0)
	v_mul_f64 v[104:105], v[104:105], v[108:109]
	buffer_store_dword v105, off, s[0:3], 0 offset:132
	buffer_store_dword v104, off, s[0:3], 0 offset:128
.LBB114_650:
	s_or_b64 exec, exec, s[6:7]
	buffer_load_dword v104, off, s[0:3], 0 offset:136
	buffer_load_dword v105, off, s[0:3], 0 offset:140
	v_cmp_gt_u32_e32 vcc, 17, v0
	s_waitcnt vmcnt(0)
	ds_write_b64 v106, v[104:105]
	s_waitcnt lgkmcnt(0)
	; wave barrier
	s_waitcnt lgkmcnt(0)
	s_and_saveexec_b64 s[6:7], vcc
	s_cbranch_execz .LBB114_660
; %bb.651:
	s_and_b64 vcc, exec, s[4:5]
	s_cbranch_vccnz .LBB114_653
; %bb.652:
	buffer_load_dword v104, v107, s[0:3], 0 offen
	buffer_load_dword v105, v107, s[0:3], 0 offen offset:4
	ds_read_b64 v[108:109], v106
	s_waitcnt vmcnt(0) lgkmcnt(0)
	v_mul_f64 v[104:105], v[104:105], v[108:109]
	s_cbranch_execz .LBB114_654
	s_branch .LBB114_655
.LBB114_653:
                                        ; implicit-def: $vgpr104_vgpr105
.LBB114_654:
	ds_read_b64 v[104:105], v106
.LBB114_655:
	v_cmp_ne_u32_e32 vcc, 16, v0
	s_and_saveexec_b64 s[8:9], vcc
	s_cbranch_execz .LBB114_659
; %bb.656:
	v_mov_b32_e32 v109, 0
	v_add_u32_e32 v108, 0x1a8, v1
	v_add3_u32 v109, v1, v109, 8
	s_mov_b64 s[10:11], 0
	v_mov_b32_e32 v110, v0
.LBB114_657:                            ; =>This Inner Loop Header: Depth=1
	buffer_load_dword v112, v109, s[0:3], 0 offen
	buffer_load_dword v113, v109, s[0:3], 0 offen offset:4
	ds_read_b64 v[114:115], v108
	v_add_u32_e32 v110, 1, v110
	v_cmp_lt_u32_e32 vcc, 15, v110
	v_add_u32_e32 v108, 8, v108
	v_add_u32_e32 v109, 8, v109
	s_or_b64 s[10:11], vcc, s[10:11]
	s_waitcnt vmcnt(0) lgkmcnt(0)
	v_fmac_f64_e32 v[104:105], v[112:113], v[114:115]
	s_andn2_b64 exec, exec, s[10:11]
	s_cbranch_execnz .LBB114_657
; %bb.658:
	s_or_b64 exec, exec, s[10:11]
.LBB114_659:
	s_or_b64 exec, exec, s[8:9]
	v_mov_b32_e32 v108, 0
	ds_read_b64 v[108:109], v108 offset:136
	s_waitcnt lgkmcnt(0)
	v_mul_f64 v[104:105], v[104:105], v[108:109]
	buffer_store_dword v105, off, s[0:3], 0 offset:140
	buffer_store_dword v104, off, s[0:3], 0 offset:136
.LBB114_660:
	s_or_b64 exec, exec, s[6:7]
	buffer_load_dword v104, off, s[0:3], 0 offset:144
	buffer_load_dword v105, off, s[0:3], 0 offset:148
	v_cmp_gt_u32_e32 vcc, 18, v0
	s_waitcnt vmcnt(0)
	ds_write_b64 v106, v[104:105]
	s_waitcnt lgkmcnt(0)
	; wave barrier
	s_waitcnt lgkmcnt(0)
	s_and_saveexec_b64 s[6:7], vcc
	s_cbranch_execz .LBB114_670
; %bb.661:
	s_and_b64 vcc, exec, s[4:5]
	s_cbranch_vccnz .LBB114_663
; %bb.662:
	buffer_load_dword v104, v107, s[0:3], 0 offen
	buffer_load_dword v105, v107, s[0:3], 0 offen offset:4
	ds_read_b64 v[108:109], v106
	s_waitcnt vmcnt(0) lgkmcnt(0)
	v_mul_f64 v[104:105], v[104:105], v[108:109]
	s_cbranch_execz .LBB114_664
	s_branch .LBB114_665
.LBB114_663:
                                        ; implicit-def: $vgpr104_vgpr105
.LBB114_664:
	ds_read_b64 v[104:105], v106
.LBB114_665:
	v_cmp_ne_u32_e32 vcc, 17, v0
	s_and_saveexec_b64 s[8:9], vcc
	s_cbranch_execz .LBB114_669
; %bb.666:
	v_mov_b32_e32 v109, 0
	v_add_u32_e32 v108, 0x1a8, v1
	v_add3_u32 v109, v1, v109, 8
	s_mov_b64 s[10:11], 0
	v_mov_b32_e32 v110, v0
.LBB114_667:                            ; =>This Inner Loop Header: Depth=1
	buffer_load_dword v112, v109, s[0:3], 0 offen
	buffer_load_dword v113, v109, s[0:3], 0 offen offset:4
	ds_read_b64 v[114:115], v108
	v_add_u32_e32 v110, 1, v110
	v_cmp_lt_u32_e32 vcc, 16, v110
	v_add_u32_e32 v108, 8, v108
	v_add_u32_e32 v109, 8, v109
	s_or_b64 s[10:11], vcc, s[10:11]
	s_waitcnt vmcnt(0) lgkmcnt(0)
	v_fmac_f64_e32 v[104:105], v[112:113], v[114:115]
	s_andn2_b64 exec, exec, s[10:11]
	s_cbranch_execnz .LBB114_667
; %bb.668:
	s_or_b64 exec, exec, s[10:11]
.LBB114_669:
	s_or_b64 exec, exec, s[8:9]
	v_mov_b32_e32 v108, 0
	ds_read_b64 v[108:109], v108 offset:144
	s_waitcnt lgkmcnt(0)
	v_mul_f64 v[104:105], v[104:105], v[108:109]
	buffer_store_dword v105, off, s[0:3], 0 offset:148
	buffer_store_dword v104, off, s[0:3], 0 offset:144
.LBB114_670:
	s_or_b64 exec, exec, s[6:7]
	buffer_load_dword v104, off, s[0:3], 0 offset:152
	buffer_load_dword v105, off, s[0:3], 0 offset:156
	v_cmp_gt_u32_e32 vcc, 19, v0
	s_waitcnt vmcnt(0)
	ds_write_b64 v106, v[104:105]
	s_waitcnt lgkmcnt(0)
	; wave barrier
	s_waitcnt lgkmcnt(0)
	s_and_saveexec_b64 s[6:7], vcc
	s_cbranch_execz .LBB114_680
; %bb.671:
	s_and_b64 vcc, exec, s[4:5]
	s_cbranch_vccnz .LBB114_673
; %bb.672:
	buffer_load_dword v104, v107, s[0:3], 0 offen
	buffer_load_dword v105, v107, s[0:3], 0 offen offset:4
	ds_read_b64 v[108:109], v106
	s_waitcnt vmcnt(0) lgkmcnt(0)
	v_mul_f64 v[104:105], v[104:105], v[108:109]
	s_cbranch_execz .LBB114_674
	s_branch .LBB114_675
.LBB114_673:
                                        ; implicit-def: $vgpr104_vgpr105
.LBB114_674:
	ds_read_b64 v[104:105], v106
.LBB114_675:
	v_cmp_ne_u32_e32 vcc, 18, v0
	s_and_saveexec_b64 s[8:9], vcc
	s_cbranch_execz .LBB114_679
; %bb.676:
	v_mov_b32_e32 v109, 0
	v_add_u32_e32 v108, 0x1a8, v1
	v_add3_u32 v109, v1, v109, 8
	s_mov_b64 s[10:11], 0
	v_mov_b32_e32 v110, v0
.LBB114_677:                            ; =>This Inner Loop Header: Depth=1
	buffer_load_dword v112, v109, s[0:3], 0 offen
	buffer_load_dword v113, v109, s[0:3], 0 offen offset:4
	ds_read_b64 v[114:115], v108
	v_add_u32_e32 v110, 1, v110
	v_cmp_lt_u32_e32 vcc, 17, v110
	v_add_u32_e32 v108, 8, v108
	v_add_u32_e32 v109, 8, v109
	s_or_b64 s[10:11], vcc, s[10:11]
	s_waitcnt vmcnt(0) lgkmcnt(0)
	v_fmac_f64_e32 v[104:105], v[112:113], v[114:115]
	s_andn2_b64 exec, exec, s[10:11]
	s_cbranch_execnz .LBB114_677
; %bb.678:
	s_or_b64 exec, exec, s[10:11]
.LBB114_679:
	s_or_b64 exec, exec, s[8:9]
	v_mov_b32_e32 v108, 0
	ds_read_b64 v[108:109], v108 offset:152
	s_waitcnt lgkmcnt(0)
	v_mul_f64 v[104:105], v[104:105], v[108:109]
	buffer_store_dword v105, off, s[0:3], 0 offset:156
	buffer_store_dword v104, off, s[0:3], 0 offset:152
.LBB114_680:
	s_or_b64 exec, exec, s[6:7]
	buffer_load_dword v104, off, s[0:3], 0 offset:160
	buffer_load_dword v105, off, s[0:3], 0 offset:164
	v_cmp_gt_u32_e32 vcc, 20, v0
	s_waitcnt vmcnt(0)
	ds_write_b64 v106, v[104:105]
	s_waitcnt lgkmcnt(0)
	; wave barrier
	s_waitcnt lgkmcnt(0)
	s_and_saveexec_b64 s[6:7], vcc
	s_cbranch_execz .LBB114_690
; %bb.681:
	s_and_b64 vcc, exec, s[4:5]
	s_cbranch_vccnz .LBB114_683
; %bb.682:
	buffer_load_dword v104, v107, s[0:3], 0 offen
	buffer_load_dword v105, v107, s[0:3], 0 offen offset:4
	ds_read_b64 v[108:109], v106
	s_waitcnt vmcnt(0) lgkmcnt(0)
	v_mul_f64 v[104:105], v[104:105], v[108:109]
	s_cbranch_execz .LBB114_684
	s_branch .LBB114_685
.LBB114_683:
                                        ; implicit-def: $vgpr104_vgpr105
.LBB114_684:
	ds_read_b64 v[104:105], v106
.LBB114_685:
	v_cmp_ne_u32_e32 vcc, 19, v0
	s_and_saveexec_b64 s[8:9], vcc
	s_cbranch_execz .LBB114_689
; %bb.686:
	v_mov_b32_e32 v109, 0
	v_add_u32_e32 v108, 0x1a8, v1
	v_add3_u32 v109, v1, v109, 8
	s_mov_b64 s[10:11], 0
	v_mov_b32_e32 v110, v0
.LBB114_687:                            ; =>This Inner Loop Header: Depth=1
	buffer_load_dword v112, v109, s[0:3], 0 offen
	buffer_load_dword v113, v109, s[0:3], 0 offen offset:4
	ds_read_b64 v[114:115], v108
	v_add_u32_e32 v110, 1, v110
	v_cmp_lt_u32_e32 vcc, 18, v110
	v_add_u32_e32 v108, 8, v108
	v_add_u32_e32 v109, 8, v109
	s_or_b64 s[10:11], vcc, s[10:11]
	s_waitcnt vmcnt(0) lgkmcnt(0)
	v_fmac_f64_e32 v[104:105], v[112:113], v[114:115]
	s_andn2_b64 exec, exec, s[10:11]
	s_cbranch_execnz .LBB114_687
; %bb.688:
	s_or_b64 exec, exec, s[10:11]
.LBB114_689:
	s_or_b64 exec, exec, s[8:9]
	v_mov_b32_e32 v108, 0
	ds_read_b64 v[108:109], v108 offset:160
	s_waitcnt lgkmcnt(0)
	v_mul_f64 v[104:105], v[104:105], v[108:109]
	buffer_store_dword v105, off, s[0:3], 0 offset:164
	buffer_store_dword v104, off, s[0:3], 0 offset:160
.LBB114_690:
	s_or_b64 exec, exec, s[6:7]
	buffer_load_dword v104, off, s[0:3], 0 offset:168
	buffer_load_dword v105, off, s[0:3], 0 offset:172
	v_cmp_gt_u32_e32 vcc, 21, v0
	s_waitcnt vmcnt(0)
	ds_write_b64 v106, v[104:105]
	s_waitcnt lgkmcnt(0)
	; wave barrier
	s_waitcnt lgkmcnt(0)
	s_and_saveexec_b64 s[6:7], vcc
	s_cbranch_execz .LBB114_700
; %bb.691:
	s_and_b64 vcc, exec, s[4:5]
	s_cbranch_vccnz .LBB114_693
; %bb.692:
	buffer_load_dword v104, v107, s[0:3], 0 offen
	buffer_load_dword v105, v107, s[0:3], 0 offen offset:4
	ds_read_b64 v[108:109], v106
	s_waitcnt vmcnt(0) lgkmcnt(0)
	v_mul_f64 v[104:105], v[104:105], v[108:109]
	s_cbranch_execz .LBB114_694
	s_branch .LBB114_695
.LBB114_693:
                                        ; implicit-def: $vgpr104_vgpr105
.LBB114_694:
	ds_read_b64 v[104:105], v106
.LBB114_695:
	v_cmp_ne_u32_e32 vcc, 20, v0
	s_and_saveexec_b64 s[8:9], vcc
	s_cbranch_execz .LBB114_699
; %bb.696:
	v_mov_b32_e32 v109, 0
	v_add_u32_e32 v108, 0x1a8, v1
	v_add3_u32 v109, v1, v109, 8
	s_mov_b64 s[10:11], 0
	v_mov_b32_e32 v110, v0
.LBB114_697:                            ; =>This Inner Loop Header: Depth=1
	buffer_load_dword v112, v109, s[0:3], 0 offen
	buffer_load_dword v113, v109, s[0:3], 0 offen offset:4
	ds_read_b64 v[114:115], v108
	v_add_u32_e32 v110, 1, v110
	v_cmp_lt_u32_e32 vcc, 19, v110
	v_add_u32_e32 v108, 8, v108
	v_add_u32_e32 v109, 8, v109
	s_or_b64 s[10:11], vcc, s[10:11]
	s_waitcnt vmcnt(0) lgkmcnt(0)
	v_fmac_f64_e32 v[104:105], v[112:113], v[114:115]
	s_andn2_b64 exec, exec, s[10:11]
	s_cbranch_execnz .LBB114_697
; %bb.698:
	s_or_b64 exec, exec, s[10:11]
.LBB114_699:
	s_or_b64 exec, exec, s[8:9]
	v_mov_b32_e32 v108, 0
	ds_read_b64 v[108:109], v108 offset:168
	s_waitcnt lgkmcnt(0)
	v_mul_f64 v[104:105], v[104:105], v[108:109]
	buffer_store_dword v105, off, s[0:3], 0 offset:172
	buffer_store_dword v104, off, s[0:3], 0 offset:168
.LBB114_700:
	s_or_b64 exec, exec, s[6:7]
	buffer_load_dword v104, off, s[0:3], 0 offset:176
	buffer_load_dword v105, off, s[0:3], 0 offset:180
	v_cmp_gt_u32_e32 vcc, 22, v0
	s_waitcnt vmcnt(0)
	ds_write_b64 v106, v[104:105]
	s_waitcnt lgkmcnt(0)
	; wave barrier
	s_waitcnt lgkmcnt(0)
	s_and_saveexec_b64 s[6:7], vcc
	s_cbranch_execz .LBB114_710
; %bb.701:
	s_and_b64 vcc, exec, s[4:5]
	s_cbranch_vccnz .LBB114_703
; %bb.702:
	buffer_load_dword v104, v107, s[0:3], 0 offen
	buffer_load_dword v105, v107, s[0:3], 0 offen offset:4
	ds_read_b64 v[108:109], v106
	s_waitcnt vmcnt(0) lgkmcnt(0)
	v_mul_f64 v[104:105], v[104:105], v[108:109]
	s_cbranch_execz .LBB114_704
	s_branch .LBB114_705
.LBB114_703:
                                        ; implicit-def: $vgpr104_vgpr105
.LBB114_704:
	ds_read_b64 v[104:105], v106
.LBB114_705:
	v_cmp_ne_u32_e32 vcc, 21, v0
	s_and_saveexec_b64 s[8:9], vcc
	s_cbranch_execz .LBB114_709
; %bb.706:
	v_mov_b32_e32 v109, 0
	v_add_u32_e32 v108, 0x1a8, v1
	v_add3_u32 v109, v1, v109, 8
	s_mov_b64 s[10:11], 0
	v_mov_b32_e32 v110, v0
.LBB114_707:                            ; =>This Inner Loop Header: Depth=1
	buffer_load_dword v112, v109, s[0:3], 0 offen
	buffer_load_dword v113, v109, s[0:3], 0 offen offset:4
	ds_read_b64 v[114:115], v108
	v_add_u32_e32 v110, 1, v110
	v_cmp_lt_u32_e32 vcc, 20, v110
	v_add_u32_e32 v108, 8, v108
	v_add_u32_e32 v109, 8, v109
	s_or_b64 s[10:11], vcc, s[10:11]
	s_waitcnt vmcnt(0) lgkmcnt(0)
	v_fmac_f64_e32 v[104:105], v[112:113], v[114:115]
	s_andn2_b64 exec, exec, s[10:11]
	s_cbranch_execnz .LBB114_707
; %bb.708:
	s_or_b64 exec, exec, s[10:11]
.LBB114_709:
	s_or_b64 exec, exec, s[8:9]
	v_mov_b32_e32 v108, 0
	ds_read_b64 v[108:109], v108 offset:176
	s_waitcnt lgkmcnt(0)
	v_mul_f64 v[104:105], v[104:105], v[108:109]
	buffer_store_dword v105, off, s[0:3], 0 offset:180
	buffer_store_dword v104, off, s[0:3], 0 offset:176
.LBB114_710:
	s_or_b64 exec, exec, s[6:7]
	buffer_load_dword v104, off, s[0:3], 0 offset:184
	buffer_load_dword v105, off, s[0:3], 0 offset:188
	v_cmp_gt_u32_e32 vcc, 23, v0
	s_waitcnt vmcnt(0)
	ds_write_b64 v106, v[104:105]
	s_waitcnt lgkmcnt(0)
	; wave barrier
	s_waitcnt lgkmcnt(0)
	s_and_saveexec_b64 s[6:7], vcc
	s_cbranch_execz .LBB114_720
; %bb.711:
	s_and_b64 vcc, exec, s[4:5]
	s_cbranch_vccnz .LBB114_713
; %bb.712:
	buffer_load_dword v104, v107, s[0:3], 0 offen
	buffer_load_dword v105, v107, s[0:3], 0 offen offset:4
	ds_read_b64 v[108:109], v106
	s_waitcnt vmcnt(0) lgkmcnt(0)
	v_mul_f64 v[104:105], v[104:105], v[108:109]
	s_cbranch_execz .LBB114_714
	s_branch .LBB114_715
.LBB114_713:
                                        ; implicit-def: $vgpr104_vgpr105
.LBB114_714:
	ds_read_b64 v[104:105], v106
.LBB114_715:
	v_cmp_ne_u32_e32 vcc, 22, v0
	s_and_saveexec_b64 s[8:9], vcc
	s_cbranch_execz .LBB114_719
; %bb.716:
	v_mov_b32_e32 v109, 0
	v_add_u32_e32 v108, 0x1a8, v1
	v_add3_u32 v109, v1, v109, 8
	s_mov_b64 s[10:11], 0
	v_mov_b32_e32 v110, v0
.LBB114_717:                            ; =>This Inner Loop Header: Depth=1
	buffer_load_dword v112, v109, s[0:3], 0 offen
	buffer_load_dword v113, v109, s[0:3], 0 offen offset:4
	ds_read_b64 v[114:115], v108
	v_add_u32_e32 v110, 1, v110
	v_cmp_lt_u32_e32 vcc, 21, v110
	v_add_u32_e32 v108, 8, v108
	v_add_u32_e32 v109, 8, v109
	s_or_b64 s[10:11], vcc, s[10:11]
	s_waitcnt vmcnt(0) lgkmcnt(0)
	v_fmac_f64_e32 v[104:105], v[112:113], v[114:115]
	s_andn2_b64 exec, exec, s[10:11]
	s_cbranch_execnz .LBB114_717
; %bb.718:
	s_or_b64 exec, exec, s[10:11]
.LBB114_719:
	s_or_b64 exec, exec, s[8:9]
	v_mov_b32_e32 v108, 0
	ds_read_b64 v[108:109], v108 offset:184
	s_waitcnt lgkmcnt(0)
	v_mul_f64 v[104:105], v[104:105], v[108:109]
	buffer_store_dword v105, off, s[0:3], 0 offset:188
	buffer_store_dword v104, off, s[0:3], 0 offset:184
.LBB114_720:
	s_or_b64 exec, exec, s[6:7]
	buffer_load_dword v104, off, s[0:3], 0 offset:192
	buffer_load_dword v105, off, s[0:3], 0 offset:196
	v_cmp_gt_u32_e32 vcc, 24, v0
	s_waitcnt vmcnt(0)
	ds_write_b64 v106, v[104:105]
	s_waitcnt lgkmcnt(0)
	; wave barrier
	s_waitcnt lgkmcnt(0)
	s_and_saveexec_b64 s[6:7], vcc
	s_cbranch_execz .LBB114_730
; %bb.721:
	s_and_b64 vcc, exec, s[4:5]
	s_cbranch_vccnz .LBB114_723
; %bb.722:
	buffer_load_dword v104, v107, s[0:3], 0 offen
	buffer_load_dword v105, v107, s[0:3], 0 offen offset:4
	ds_read_b64 v[108:109], v106
	s_waitcnt vmcnt(0) lgkmcnt(0)
	v_mul_f64 v[104:105], v[104:105], v[108:109]
	s_cbranch_execz .LBB114_724
	s_branch .LBB114_725
.LBB114_723:
                                        ; implicit-def: $vgpr104_vgpr105
.LBB114_724:
	ds_read_b64 v[104:105], v106
.LBB114_725:
	v_cmp_ne_u32_e32 vcc, 23, v0
	s_and_saveexec_b64 s[8:9], vcc
	s_cbranch_execz .LBB114_729
; %bb.726:
	v_mov_b32_e32 v109, 0
	v_add_u32_e32 v108, 0x1a8, v1
	v_add3_u32 v109, v1, v109, 8
	s_mov_b64 s[10:11], 0
	v_mov_b32_e32 v110, v0
.LBB114_727:                            ; =>This Inner Loop Header: Depth=1
	buffer_load_dword v112, v109, s[0:3], 0 offen
	buffer_load_dword v113, v109, s[0:3], 0 offen offset:4
	ds_read_b64 v[114:115], v108
	v_add_u32_e32 v110, 1, v110
	v_cmp_lt_u32_e32 vcc, 22, v110
	v_add_u32_e32 v108, 8, v108
	v_add_u32_e32 v109, 8, v109
	s_or_b64 s[10:11], vcc, s[10:11]
	s_waitcnt vmcnt(0) lgkmcnt(0)
	v_fmac_f64_e32 v[104:105], v[112:113], v[114:115]
	s_andn2_b64 exec, exec, s[10:11]
	s_cbranch_execnz .LBB114_727
; %bb.728:
	s_or_b64 exec, exec, s[10:11]
.LBB114_729:
	s_or_b64 exec, exec, s[8:9]
	v_mov_b32_e32 v108, 0
	ds_read_b64 v[108:109], v108 offset:192
	s_waitcnt lgkmcnt(0)
	v_mul_f64 v[104:105], v[104:105], v[108:109]
	buffer_store_dword v105, off, s[0:3], 0 offset:196
	buffer_store_dword v104, off, s[0:3], 0 offset:192
.LBB114_730:
	s_or_b64 exec, exec, s[6:7]
	buffer_load_dword v104, off, s[0:3], 0 offset:200
	buffer_load_dword v105, off, s[0:3], 0 offset:204
	v_cmp_gt_u32_e32 vcc, 25, v0
	s_waitcnt vmcnt(0)
	ds_write_b64 v106, v[104:105]
	s_waitcnt lgkmcnt(0)
	; wave barrier
	s_waitcnt lgkmcnt(0)
	s_and_saveexec_b64 s[6:7], vcc
	s_cbranch_execz .LBB114_740
; %bb.731:
	s_and_b64 vcc, exec, s[4:5]
	s_cbranch_vccnz .LBB114_733
; %bb.732:
	buffer_load_dword v104, v107, s[0:3], 0 offen
	buffer_load_dword v105, v107, s[0:3], 0 offen offset:4
	ds_read_b64 v[108:109], v106
	s_waitcnt vmcnt(0) lgkmcnt(0)
	v_mul_f64 v[104:105], v[104:105], v[108:109]
	s_cbranch_execz .LBB114_734
	s_branch .LBB114_735
.LBB114_733:
                                        ; implicit-def: $vgpr104_vgpr105
.LBB114_734:
	ds_read_b64 v[104:105], v106
.LBB114_735:
	v_cmp_ne_u32_e32 vcc, 24, v0
	s_and_saveexec_b64 s[8:9], vcc
	s_cbranch_execz .LBB114_739
; %bb.736:
	v_mov_b32_e32 v109, 0
	v_add_u32_e32 v108, 0x1a8, v1
	v_add3_u32 v109, v1, v109, 8
	s_mov_b64 s[10:11], 0
	v_mov_b32_e32 v110, v0
.LBB114_737:                            ; =>This Inner Loop Header: Depth=1
	buffer_load_dword v112, v109, s[0:3], 0 offen
	buffer_load_dword v113, v109, s[0:3], 0 offen offset:4
	ds_read_b64 v[114:115], v108
	v_add_u32_e32 v110, 1, v110
	v_cmp_lt_u32_e32 vcc, 23, v110
	v_add_u32_e32 v108, 8, v108
	v_add_u32_e32 v109, 8, v109
	s_or_b64 s[10:11], vcc, s[10:11]
	s_waitcnt vmcnt(0) lgkmcnt(0)
	v_fmac_f64_e32 v[104:105], v[112:113], v[114:115]
	s_andn2_b64 exec, exec, s[10:11]
	s_cbranch_execnz .LBB114_737
; %bb.738:
	s_or_b64 exec, exec, s[10:11]
.LBB114_739:
	s_or_b64 exec, exec, s[8:9]
	v_mov_b32_e32 v108, 0
	ds_read_b64 v[108:109], v108 offset:200
	s_waitcnt lgkmcnt(0)
	v_mul_f64 v[104:105], v[104:105], v[108:109]
	buffer_store_dword v105, off, s[0:3], 0 offset:204
	buffer_store_dword v104, off, s[0:3], 0 offset:200
.LBB114_740:
	s_or_b64 exec, exec, s[6:7]
	buffer_load_dword v104, off, s[0:3], 0 offset:208
	buffer_load_dword v105, off, s[0:3], 0 offset:212
	v_cmp_gt_u32_e32 vcc, 26, v0
	s_waitcnt vmcnt(0)
	ds_write_b64 v106, v[104:105]
	s_waitcnt lgkmcnt(0)
	; wave barrier
	s_waitcnt lgkmcnt(0)
	s_and_saveexec_b64 s[6:7], vcc
	s_cbranch_execz .LBB114_750
; %bb.741:
	s_and_b64 vcc, exec, s[4:5]
	s_cbranch_vccnz .LBB114_743
; %bb.742:
	buffer_load_dword v104, v107, s[0:3], 0 offen
	buffer_load_dword v105, v107, s[0:3], 0 offen offset:4
	ds_read_b64 v[108:109], v106
	s_waitcnt vmcnt(0) lgkmcnt(0)
	v_mul_f64 v[104:105], v[104:105], v[108:109]
	s_cbranch_execz .LBB114_744
	s_branch .LBB114_745
.LBB114_743:
                                        ; implicit-def: $vgpr104_vgpr105
.LBB114_744:
	ds_read_b64 v[104:105], v106
.LBB114_745:
	v_cmp_ne_u32_e32 vcc, 25, v0
	s_and_saveexec_b64 s[8:9], vcc
	s_cbranch_execz .LBB114_749
; %bb.746:
	v_mov_b32_e32 v109, 0
	v_add_u32_e32 v108, 0x1a8, v1
	v_add3_u32 v109, v1, v109, 8
	s_mov_b64 s[10:11], 0
	v_mov_b32_e32 v110, v0
.LBB114_747:                            ; =>This Inner Loop Header: Depth=1
	buffer_load_dword v112, v109, s[0:3], 0 offen
	buffer_load_dword v113, v109, s[0:3], 0 offen offset:4
	ds_read_b64 v[114:115], v108
	v_add_u32_e32 v110, 1, v110
	v_cmp_lt_u32_e32 vcc, 24, v110
	v_add_u32_e32 v108, 8, v108
	v_add_u32_e32 v109, 8, v109
	s_or_b64 s[10:11], vcc, s[10:11]
	s_waitcnt vmcnt(0) lgkmcnt(0)
	v_fmac_f64_e32 v[104:105], v[112:113], v[114:115]
	s_andn2_b64 exec, exec, s[10:11]
	s_cbranch_execnz .LBB114_747
; %bb.748:
	s_or_b64 exec, exec, s[10:11]
.LBB114_749:
	s_or_b64 exec, exec, s[8:9]
	v_mov_b32_e32 v108, 0
	ds_read_b64 v[108:109], v108 offset:208
	s_waitcnt lgkmcnt(0)
	v_mul_f64 v[104:105], v[104:105], v[108:109]
	buffer_store_dword v105, off, s[0:3], 0 offset:212
	buffer_store_dword v104, off, s[0:3], 0 offset:208
.LBB114_750:
	s_or_b64 exec, exec, s[6:7]
	buffer_load_dword v104, off, s[0:3], 0 offset:216
	buffer_load_dword v105, off, s[0:3], 0 offset:220
	v_cmp_gt_u32_e32 vcc, 27, v0
	s_waitcnt vmcnt(0)
	ds_write_b64 v106, v[104:105]
	s_waitcnt lgkmcnt(0)
	; wave barrier
	s_waitcnt lgkmcnt(0)
	s_and_saveexec_b64 s[6:7], vcc
	s_cbranch_execz .LBB114_760
; %bb.751:
	s_and_b64 vcc, exec, s[4:5]
	s_cbranch_vccnz .LBB114_753
; %bb.752:
	buffer_load_dword v104, v107, s[0:3], 0 offen
	buffer_load_dword v105, v107, s[0:3], 0 offen offset:4
	ds_read_b64 v[108:109], v106
	s_waitcnt vmcnt(0) lgkmcnt(0)
	v_mul_f64 v[104:105], v[104:105], v[108:109]
	s_cbranch_execz .LBB114_754
	s_branch .LBB114_755
.LBB114_753:
                                        ; implicit-def: $vgpr104_vgpr105
.LBB114_754:
	ds_read_b64 v[104:105], v106
.LBB114_755:
	v_cmp_ne_u32_e32 vcc, 26, v0
	s_and_saveexec_b64 s[8:9], vcc
	s_cbranch_execz .LBB114_759
; %bb.756:
	v_mov_b32_e32 v109, 0
	v_add_u32_e32 v108, 0x1a8, v1
	v_add3_u32 v109, v1, v109, 8
	s_mov_b64 s[10:11], 0
	v_mov_b32_e32 v110, v0
.LBB114_757:                            ; =>This Inner Loop Header: Depth=1
	buffer_load_dword v112, v109, s[0:3], 0 offen
	buffer_load_dword v113, v109, s[0:3], 0 offen offset:4
	ds_read_b64 v[114:115], v108
	v_add_u32_e32 v110, 1, v110
	v_cmp_lt_u32_e32 vcc, 25, v110
	v_add_u32_e32 v108, 8, v108
	v_add_u32_e32 v109, 8, v109
	s_or_b64 s[10:11], vcc, s[10:11]
	s_waitcnt vmcnt(0) lgkmcnt(0)
	v_fmac_f64_e32 v[104:105], v[112:113], v[114:115]
	s_andn2_b64 exec, exec, s[10:11]
	s_cbranch_execnz .LBB114_757
; %bb.758:
	s_or_b64 exec, exec, s[10:11]
.LBB114_759:
	s_or_b64 exec, exec, s[8:9]
	v_mov_b32_e32 v108, 0
	ds_read_b64 v[108:109], v108 offset:216
	s_waitcnt lgkmcnt(0)
	v_mul_f64 v[104:105], v[104:105], v[108:109]
	buffer_store_dword v105, off, s[0:3], 0 offset:220
	buffer_store_dword v104, off, s[0:3], 0 offset:216
.LBB114_760:
	s_or_b64 exec, exec, s[6:7]
	buffer_load_dword v104, off, s[0:3], 0 offset:224
	buffer_load_dword v105, off, s[0:3], 0 offset:228
	v_cmp_gt_u32_e32 vcc, 28, v0
	s_waitcnt vmcnt(0)
	ds_write_b64 v106, v[104:105]
	s_waitcnt lgkmcnt(0)
	; wave barrier
	s_waitcnt lgkmcnt(0)
	s_and_saveexec_b64 s[6:7], vcc
	s_cbranch_execz .LBB114_770
; %bb.761:
	s_and_b64 vcc, exec, s[4:5]
	s_cbranch_vccnz .LBB114_763
; %bb.762:
	buffer_load_dword v104, v107, s[0:3], 0 offen
	buffer_load_dword v105, v107, s[0:3], 0 offen offset:4
	ds_read_b64 v[108:109], v106
	s_waitcnt vmcnt(0) lgkmcnt(0)
	v_mul_f64 v[104:105], v[104:105], v[108:109]
	s_cbranch_execz .LBB114_764
	s_branch .LBB114_765
.LBB114_763:
                                        ; implicit-def: $vgpr104_vgpr105
.LBB114_764:
	ds_read_b64 v[104:105], v106
.LBB114_765:
	v_cmp_ne_u32_e32 vcc, 27, v0
	s_and_saveexec_b64 s[8:9], vcc
	s_cbranch_execz .LBB114_769
; %bb.766:
	v_mov_b32_e32 v109, 0
	v_add_u32_e32 v108, 0x1a8, v1
	v_add3_u32 v109, v1, v109, 8
	s_mov_b64 s[10:11], 0
	v_mov_b32_e32 v110, v0
.LBB114_767:                            ; =>This Inner Loop Header: Depth=1
	buffer_load_dword v112, v109, s[0:3], 0 offen
	buffer_load_dword v113, v109, s[0:3], 0 offen offset:4
	ds_read_b64 v[114:115], v108
	v_add_u32_e32 v110, 1, v110
	v_cmp_lt_u32_e32 vcc, 26, v110
	v_add_u32_e32 v108, 8, v108
	v_add_u32_e32 v109, 8, v109
	s_or_b64 s[10:11], vcc, s[10:11]
	s_waitcnt vmcnt(0) lgkmcnt(0)
	v_fmac_f64_e32 v[104:105], v[112:113], v[114:115]
	s_andn2_b64 exec, exec, s[10:11]
	s_cbranch_execnz .LBB114_767
; %bb.768:
	s_or_b64 exec, exec, s[10:11]
.LBB114_769:
	s_or_b64 exec, exec, s[8:9]
	v_mov_b32_e32 v108, 0
	ds_read_b64 v[108:109], v108 offset:224
	s_waitcnt lgkmcnt(0)
	v_mul_f64 v[104:105], v[104:105], v[108:109]
	buffer_store_dword v105, off, s[0:3], 0 offset:228
	buffer_store_dword v104, off, s[0:3], 0 offset:224
.LBB114_770:
	s_or_b64 exec, exec, s[6:7]
	buffer_load_dword v104, off, s[0:3], 0 offset:232
	buffer_load_dword v105, off, s[0:3], 0 offset:236
	v_cmp_gt_u32_e32 vcc, 29, v0
	s_waitcnt vmcnt(0)
	ds_write_b64 v106, v[104:105]
	s_waitcnt lgkmcnt(0)
	; wave barrier
	s_waitcnt lgkmcnt(0)
	s_and_saveexec_b64 s[6:7], vcc
	s_cbranch_execz .LBB114_780
; %bb.771:
	s_and_b64 vcc, exec, s[4:5]
	s_cbranch_vccnz .LBB114_773
; %bb.772:
	buffer_load_dword v104, v107, s[0:3], 0 offen
	buffer_load_dword v105, v107, s[0:3], 0 offen offset:4
	ds_read_b64 v[108:109], v106
	s_waitcnt vmcnt(0) lgkmcnt(0)
	v_mul_f64 v[104:105], v[104:105], v[108:109]
	s_cbranch_execz .LBB114_774
	s_branch .LBB114_775
.LBB114_773:
                                        ; implicit-def: $vgpr104_vgpr105
.LBB114_774:
	ds_read_b64 v[104:105], v106
.LBB114_775:
	v_cmp_ne_u32_e32 vcc, 28, v0
	s_and_saveexec_b64 s[8:9], vcc
	s_cbranch_execz .LBB114_779
; %bb.776:
	v_mov_b32_e32 v109, 0
	v_add_u32_e32 v108, 0x1a8, v1
	v_add3_u32 v109, v1, v109, 8
	s_mov_b64 s[10:11], 0
	v_mov_b32_e32 v110, v0
.LBB114_777:                            ; =>This Inner Loop Header: Depth=1
	buffer_load_dword v112, v109, s[0:3], 0 offen
	buffer_load_dword v113, v109, s[0:3], 0 offen offset:4
	ds_read_b64 v[114:115], v108
	v_add_u32_e32 v110, 1, v110
	v_cmp_lt_u32_e32 vcc, 27, v110
	v_add_u32_e32 v108, 8, v108
	v_add_u32_e32 v109, 8, v109
	s_or_b64 s[10:11], vcc, s[10:11]
	s_waitcnt vmcnt(0) lgkmcnt(0)
	v_fmac_f64_e32 v[104:105], v[112:113], v[114:115]
	s_andn2_b64 exec, exec, s[10:11]
	s_cbranch_execnz .LBB114_777
; %bb.778:
	s_or_b64 exec, exec, s[10:11]
.LBB114_779:
	s_or_b64 exec, exec, s[8:9]
	v_mov_b32_e32 v108, 0
	ds_read_b64 v[108:109], v108 offset:232
	s_waitcnt lgkmcnt(0)
	v_mul_f64 v[104:105], v[104:105], v[108:109]
	buffer_store_dword v105, off, s[0:3], 0 offset:236
	buffer_store_dword v104, off, s[0:3], 0 offset:232
.LBB114_780:
	s_or_b64 exec, exec, s[6:7]
	buffer_load_dword v104, off, s[0:3], 0 offset:240
	buffer_load_dword v105, off, s[0:3], 0 offset:244
	v_cmp_gt_u32_e32 vcc, 30, v0
	s_waitcnt vmcnt(0)
	ds_write_b64 v106, v[104:105]
	s_waitcnt lgkmcnt(0)
	; wave barrier
	s_waitcnt lgkmcnt(0)
	s_and_saveexec_b64 s[6:7], vcc
	s_cbranch_execz .LBB114_790
; %bb.781:
	s_and_b64 vcc, exec, s[4:5]
	s_cbranch_vccnz .LBB114_783
; %bb.782:
	buffer_load_dword v104, v107, s[0:3], 0 offen
	buffer_load_dword v105, v107, s[0:3], 0 offen offset:4
	ds_read_b64 v[108:109], v106
	s_waitcnt vmcnt(0) lgkmcnt(0)
	v_mul_f64 v[104:105], v[104:105], v[108:109]
	s_cbranch_execz .LBB114_784
	s_branch .LBB114_785
.LBB114_783:
                                        ; implicit-def: $vgpr104_vgpr105
.LBB114_784:
	ds_read_b64 v[104:105], v106
.LBB114_785:
	v_cmp_ne_u32_e32 vcc, 29, v0
	s_and_saveexec_b64 s[8:9], vcc
	s_cbranch_execz .LBB114_789
; %bb.786:
	v_mov_b32_e32 v109, 0
	v_add_u32_e32 v108, 0x1a8, v1
	v_add3_u32 v109, v1, v109, 8
	s_mov_b64 s[10:11], 0
	v_mov_b32_e32 v110, v0
.LBB114_787:                            ; =>This Inner Loop Header: Depth=1
	buffer_load_dword v112, v109, s[0:3], 0 offen
	buffer_load_dword v113, v109, s[0:3], 0 offen offset:4
	ds_read_b64 v[114:115], v108
	v_add_u32_e32 v110, 1, v110
	v_cmp_lt_u32_e32 vcc, 28, v110
	v_add_u32_e32 v108, 8, v108
	v_add_u32_e32 v109, 8, v109
	s_or_b64 s[10:11], vcc, s[10:11]
	s_waitcnt vmcnt(0) lgkmcnt(0)
	v_fmac_f64_e32 v[104:105], v[112:113], v[114:115]
	s_andn2_b64 exec, exec, s[10:11]
	s_cbranch_execnz .LBB114_787
; %bb.788:
	s_or_b64 exec, exec, s[10:11]
.LBB114_789:
	s_or_b64 exec, exec, s[8:9]
	v_mov_b32_e32 v108, 0
	ds_read_b64 v[108:109], v108 offset:240
	s_waitcnt lgkmcnt(0)
	v_mul_f64 v[104:105], v[104:105], v[108:109]
	buffer_store_dword v105, off, s[0:3], 0 offset:244
	buffer_store_dword v104, off, s[0:3], 0 offset:240
.LBB114_790:
	s_or_b64 exec, exec, s[6:7]
	buffer_load_dword v104, off, s[0:3], 0 offset:248
	buffer_load_dword v105, off, s[0:3], 0 offset:252
	v_cmp_gt_u32_e32 vcc, 31, v0
	s_waitcnt vmcnt(0)
	ds_write_b64 v106, v[104:105]
	s_waitcnt lgkmcnt(0)
	; wave barrier
	s_waitcnt lgkmcnt(0)
	s_and_saveexec_b64 s[6:7], vcc
	s_cbranch_execz .LBB114_800
; %bb.791:
	s_and_b64 vcc, exec, s[4:5]
	s_cbranch_vccnz .LBB114_793
; %bb.792:
	buffer_load_dword v104, v107, s[0:3], 0 offen
	buffer_load_dword v105, v107, s[0:3], 0 offen offset:4
	ds_read_b64 v[108:109], v106
	s_waitcnt vmcnt(0) lgkmcnt(0)
	v_mul_f64 v[104:105], v[104:105], v[108:109]
	s_cbranch_execz .LBB114_794
	s_branch .LBB114_795
.LBB114_793:
                                        ; implicit-def: $vgpr104_vgpr105
.LBB114_794:
	ds_read_b64 v[104:105], v106
.LBB114_795:
	v_cmp_ne_u32_e32 vcc, 30, v0
	s_and_saveexec_b64 s[8:9], vcc
	s_cbranch_execz .LBB114_799
; %bb.796:
	v_mov_b32_e32 v109, 0
	v_add_u32_e32 v108, 0x1a8, v1
	v_add3_u32 v109, v1, v109, 8
	s_mov_b64 s[10:11], 0
	v_mov_b32_e32 v110, v0
.LBB114_797:                            ; =>This Inner Loop Header: Depth=1
	buffer_load_dword v112, v109, s[0:3], 0 offen
	buffer_load_dword v113, v109, s[0:3], 0 offen offset:4
	ds_read_b64 v[114:115], v108
	v_add_u32_e32 v110, 1, v110
	v_cmp_lt_u32_e32 vcc, 29, v110
	v_add_u32_e32 v108, 8, v108
	v_add_u32_e32 v109, 8, v109
	s_or_b64 s[10:11], vcc, s[10:11]
	s_waitcnt vmcnt(0) lgkmcnt(0)
	v_fmac_f64_e32 v[104:105], v[112:113], v[114:115]
	s_andn2_b64 exec, exec, s[10:11]
	s_cbranch_execnz .LBB114_797
; %bb.798:
	s_or_b64 exec, exec, s[10:11]
.LBB114_799:
	s_or_b64 exec, exec, s[8:9]
	v_mov_b32_e32 v108, 0
	ds_read_b64 v[108:109], v108 offset:248
	s_waitcnt lgkmcnt(0)
	v_mul_f64 v[104:105], v[104:105], v[108:109]
	buffer_store_dword v105, off, s[0:3], 0 offset:252
	buffer_store_dword v104, off, s[0:3], 0 offset:248
.LBB114_800:
	s_or_b64 exec, exec, s[6:7]
	buffer_load_dword v104, off, s[0:3], 0 offset:256
	buffer_load_dword v105, off, s[0:3], 0 offset:260
	v_cmp_gt_u32_e32 vcc, 32, v0
	s_waitcnt vmcnt(0)
	ds_write_b64 v106, v[104:105]
	s_waitcnt lgkmcnt(0)
	; wave barrier
	s_waitcnt lgkmcnt(0)
	s_and_saveexec_b64 s[6:7], vcc
	s_cbranch_execz .LBB114_810
; %bb.801:
	s_and_b64 vcc, exec, s[4:5]
	s_cbranch_vccnz .LBB114_803
; %bb.802:
	buffer_load_dword v104, v107, s[0:3], 0 offen
	buffer_load_dword v105, v107, s[0:3], 0 offen offset:4
	ds_read_b64 v[108:109], v106
	s_waitcnt vmcnt(0) lgkmcnt(0)
	v_mul_f64 v[104:105], v[104:105], v[108:109]
	s_cbranch_execz .LBB114_804
	s_branch .LBB114_805
.LBB114_803:
                                        ; implicit-def: $vgpr104_vgpr105
.LBB114_804:
	ds_read_b64 v[104:105], v106
.LBB114_805:
	v_cmp_ne_u32_e32 vcc, 31, v0
	s_and_saveexec_b64 s[8:9], vcc
	s_cbranch_execz .LBB114_809
; %bb.806:
	v_mov_b32_e32 v109, 0
	v_add_u32_e32 v108, 0x1a8, v1
	v_add3_u32 v109, v1, v109, 8
	s_mov_b64 s[10:11], 0
	v_mov_b32_e32 v110, v0
.LBB114_807:                            ; =>This Inner Loop Header: Depth=1
	buffer_load_dword v112, v109, s[0:3], 0 offen
	buffer_load_dword v113, v109, s[0:3], 0 offen offset:4
	ds_read_b64 v[114:115], v108
	v_add_u32_e32 v110, 1, v110
	v_cmp_lt_u32_e32 vcc, 30, v110
	v_add_u32_e32 v108, 8, v108
	v_add_u32_e32 v109, 8, v109
	s_or_b64 s[10:11], vcc, s[10:11]
	s_waitcnt vmcnt(0) lgkmcnt(0)
	v_fmac_f64_e32 v[104:105], v[112:113], v[114:115]
	s_andn2_b64 exec, exec, s[10:11]
	s_cbranch_execnz .LBB114_807
; %bb.808:
	s_or_b64 exec, exec, s[10:11]
.LBB114_809:
	s_or_b64 exec, exec, s[8:9]
	v_mov_b32_e32 v108, 0
	ds_read_b64 v[108:109], v108 offset:256
	s_waitcnt lgkmcnt(0)
	v_mul_f64 v[104:105], v[104:105], v[108:109]
	buffer_store_dword v105, off, s[0:3], 0 offset:260
	buffer_store_dword v104, off, s[0:3], 0 offset:256
.LBB114_810:
	s_or_b64 exec, exec, s[6:7]
	buffer_load_dword v104, off, s[0:3], 0 offset:264
	buffer_load_dword v105, off, s[0:3], 0 offset:268
	v_cmp_gt_u32_e32 vcc, 33, v0
	s_waitcnt vmcnt(0)
	ds_write_b64 v106, v[104:105]
	s_waitcnt lgkmcnt(0)
	; wave barrier
	s_waitcnt lgkmcnt(0)
	s_and_saveexec_b64 s[6:7], vcc
	s_cbranch_execz .LBB114_820
; %bb.811:
	s_and_b64 vcc, exec, s[4:5]
	s_cbranch_vccnz .LBB114_813
; %bb.812:
	buffer_load_dword v104, v107, s[0:3], 0 offen
	buffer_load_dword v105, v107, s[0:3], 0 offen offset:4
	ds_read_b64 v[108:109], v106
	s_waitcnt vmcnt(0) lgkmcnt(0)
	v_mul_f64 v[104:105], v[104:105], v[108:109]
	s_cbranch_execz .LBB114_814
	s_branch .LBB114_815
.LBB114_813:
                                        ; implicit-def: $vgpr104_vgpr105
.LBB114_814:
	ds_read_b64 v[104:105], v106
.LBB114_815:
	v_cmp_ne_u32_e32 vcc, 32, v0
	s_and_saveexec_b64 s[8:9], vcc
	s_cbranch_execz .LBB114_819
; %bb.816:
	v_mov_b32_e32 v109, 0
	v_add_u32_e32 v108, 0x1a8, v1
	v_add3_u32 v109, v1, v109, 8
	s_mov_b64 s[10:11], 0
	v_mov_b32_e32 v110, v0
.LBB114_817:                            ; =>This Inner Loop Header: Depth=1
	buffer_load_dword v112, v109, s[0:3], 0 offen
	buffer_load_dword v113, v109, s[0:3], 0 offen offset:4
	ds_read_b64 v[114:115], v108
	v_add_u32_e32 v110, 1, v110
	v_cmp_lt_u32_e32 vcc, 31, v110
	v_add_u32_e32 v108, 8, v108
	v_add_u32_e32 v109, 8, v109
	s_or_b64 s[10:11], vcc, s[10:11]
	s_waitcnt vmcnt(0) lgkmcnt(0)
	v_fmac_f64_e32 v[104:105], v[112:113], v[114:115]
	s_andn2_b64 exec, exec, s[10:11]
	s_cbranch_execnz .LBB114_817
; %bb.818:
	s_or_b64 exec, exec, s[10:11]
.LBB114_819:
	s_or_b64 exec, exec, s[8:9]
	v_mov_b32_e32 v108, 0
	ds_read_b64 v[108:109], v108 offset:264
	s_waitcnt lgkmcnt(0)
	v_mul_f64 v[104:105], v[104:105], v[108:109]
	buffer_store_dword v105, off, s[0:3], 0 offset:268
	buffer_store_dword v104, off, s[0:3], 0 offset:264
.LBB114_820:
	s_or_b64 exec, exec, s[6:7]
	buffer_load_dword v104, off, s[0:3], 0 offset:272
	buffer_load_dword v105, off, s[0:3], 0 offset:276
	v_cmp_gt_u32_e32 vcc, 34, v0
	s_waitcnt vmcnt(0)
	ds_write_b64 v106, v[104:105]
	s_waitcnt lgkmcnt(0)
	; wave barrier
	s_waitcnt lgkmcnt(0)
	s_and_saveexec_b64 s[6:7], vcc
	s_cbranch_execz .LBB114_830
; %bb.821:
	s_and_b64 vcc, exec, s[4:5]
	s_cbranch_vccnz .LBB114_823
; %bb.822:
	buffer_load_dword v104, v107, s[0:3], 0 offen
	buffer_load_dword v105, v107, s[0:3], 0 offen offset:4
	ds_read_b64 v[108:109], v106
	s_waitcnt vmcnt(0) lgkmcnt(0)
	v_mul_f64 v[104:105], v[104:105], v[108:109]
	s_cbranch_execz .LBB114_824
	s_branch .LBB114_825
.LBB114_823:
                                        ; implicit-def: $vgpr104_vgpr105
.LBB114_824:
	ds_read_b64 v[104:105], v106
.LBB114_825:
	v_cmp_ne_u32_e32 vcc, 33, v0
	s_and_saveexec_b64 s[8:9], vcc
	s_cbranch_execz .LBB114_829
; %bb.826:
	v_mov_b32_e32 v109, 0
	v_add_u32_e32 v108, 0x1a8, v1
	v_add3_u32 v109, v1, v109, 8
	s_mov_b64 s[10:11], 0
	v_mov_b32_e32 v110, v0
.LBB114_827:                            ; =>This Inner Loop Header: Depth=1
	buffer_load_dword v112, v109, s[0:3], 0 offen
	buffer_load_dword v113, v109, s[0:3], 0 offen offset:4
	ds_read_b64 v[114:115], v108
	v_add_u32_e32 v110, 1, v110
	v_cmp_lt_u32_e32 vcc, 32, v110
	v_add_u32_e32 v108, 8, v108
	v_add_u32_e32 v109, 8, v109
	s_or_b64 s[10:11], vcc, s[10:11]
	s_waitcnt vmcnt(0) lgkmcnt(0)
	v_fmac_f64_e32 v[104:105], v[112:113], v[114:115]
	s_andn2_b64 exec, exec, s[10:11]
	s_cbranch_execnz .LBB114_827
; %bb.828:
	s_or_b64 exec, exec, s[10:11]
.LBB114_829:
	s_or_b64 exec, exec, s[8:9]
	v_mov_b32_e32 v108, 0
	ds_read_b64 v[108:109], v108 offset:272
	s_waitcnt lgkmcnt(0)
	v_mul_f64 v[104:105], v[104:105], v[108:109]
	buffer_store_dword v105, off, s[0:3], 0 offset:276
	buffer_store_dword v104, off, s[0:3], 0 offset:272
.LBB114_830:
	s_or_b64 exec, exec, s[6:7]
	buffer_load_dword v104, off, s[0:3], 0 offset:280
	buffer_load_dword v105, off, s[0:3], 0 offset:284
	v_cmp_gt_u32_e32 vcc, 35, v0
	s_waitcnt vmcnt(0)
	ds_write_b64 v106, v[104:105]
	s_waitcnt lgkmcnt(0)
	; wave barrier
	s_waitcnt lgkmcnt(0)
	s_and_saveexec_b64 s[6:7], vcc
	s_cbranch_execz .LBB114_840
; %bb.831:
	s_and_b64 vcc, exec, s[4:5]
	s_cbranch_vccnz .LBB114_833
; %bb.832:
	buffer_load_dword v104, v107, s[0:3], 0 offen
	buffer_load_dword v105, v107, s[0:3], 0 offen offset:4
	ds_read_b64 v[108:109], v106
	s_waitcnt vmcnt(0) lgkmcnt(0)
	v_mul_f64 v[104:105], v[104:105], v[108:109]
	s_cbranch_execz .LBB114_834
	s_branch .LBB114_835
.LBB114_833:
                                        ; implicit-def: $vgpr104_vgpr105
.LBB114_834:
	ds_read_b64 v[104:105], v106
.LBB114_835:
	v_cmp_ne_u32_e32 vcc, 34, v0
	s_and_saveexec_b64 s[8:9], vcc
	s_cbranch_execz .LBB114_839
; %bb.836:
	v_mov_b32_e32 v109, 0
	v_add_u32_e32 v108, 0x1a8, v1
	v_add3_u32 v109, v1, v109, 8
	s_mov_b64 s[10:11], 0
	v_mov_b32_e32 v110, v0
.LBB114_837:                            ; =>This Inner Loop Header: Depth=1
	buffer_load_dword v112, v109, s[0:3], 0 offen
	buffer_load_dword v113, v109, s[0:3], 0 offen offset:4
	ds_read_b64 v[114:115], v108
	v_add_u32_e32 v110, 1, v110
	v_cmp_lt_u32_e32 vcc, 33, v110
	v_add_u32_e32 v108, 8, v108
	v_add_u32_e32 v109, 8, v109
	s_or_b64 s[10:11], vcc, s[10:11]
	s_waitcnt vmcnt(0) lgkmcnt(0)
	v_fmac_f64_e32 v[104:105], v[112:113], v[114:115]
	s_andn2_b64 exec, exec, s[10:11]
	s_cbranch_execnz .LBB114_837
; %bb.838:
	s_or_b64 exec, exec, s[10:11]
.LBB114_839:
	s_or_b64 exec, exec, s[8:9]
	v_mov_b32_e32 v108, 0
	ds_read_b64 v[108:109], v108 offset:280
	s_waitcnt lgkmcnt(0)
	v_mul_f64 v[104:105], v[104:105], v[108:109]
	buffer_store_dword v105, off, s[0:3], 0 offset:284
	buffer_store_dword v104, off, s[0:3], 0 offset:280
.LBB114_840:
	s_or_b64 exec, exec, s[6:7]
	buffer_load_dword v104, off, s[0:3], 0 offset:288
	buffer_load_dword v105, off, s[0:3], 0 offset:292
	v_cmp_gt_u32_e32 vcc, 36, v0
	s_waitcnt vmcnt(0)
	ds_write_b64 v106, v[104:105]
	s_waitcnt lgkmcnt(0)
	; wave barrier
	s_waitcnt lgkmcnt(0)
	s_and_saveexec_b64 s[6:7], vcc
	s_cbranch_execz .LBB114_850
; %bb.841:
	s_and_b64 vcc, exec, s[4:5]
	s_cbranch_vccnz .LBB114_843
; %bb.842:
	buffer_load_dword v104, v107, s[0:3], 0 offen
	buffer_load_dword v105, v107, s[0:3], 0 offen offset:4
	ds_read_b64 v[108:109], v106
	s_waitcnt vmcnt(0) lgkmcnt(0)
	v_mul_f64 v[104:105], v[104:105], v[108:109]
	s_cbranch_execz .LBB114_844
	s_branch .LBB114_845
.LBB114_843:
                                        ; implicit-def: $vgpr104_vgpr105
.LBB114_844:
	ds_read_b64 v[104:105], v106
.LBB114_845:
	v_cmp_ne_u32_e32 vcc, 35, v0
	s_and_saveexec_b64 s[8:9], vcc
	s_cbranch_execz .LBB114_849
; %bb.846:
	v_mov_b32_e32 v109, 0
	v_add_u32_e32 v108, 0x1a8, v1
	v_add3_u32 v109, v1, v109, 8
	s_mov_b64 s[10:11], 0
	v_mov_b32_e32 v110, v0
.LBB114_847:                            ; =>This Inner Loop Header: Depth=1
	buffer_load_dword v112, v109, s[0:3], 0 offen
	buffer_load_dword v113, v109, s[0:3], 0 offen offset:4
	ds_read_b64 v[114:115], v108
	v_add_u32_e32 v110, 1, v110
	v_cmp_lt_u32_e32 vcc, 34, v110
	v_add_u32_e32 v108, 8, v108
	v_add_u32_e32 v109, 8, v109
	s_or_b64 s[10:11], vcc, s[10:11]
	s_waitcnt vmcnt(0) lgkmcnt(0)
	v_fmac_f64_e32 v[104:105], v[112:113], v[114:115]
	s_andn2_b64 exec, exec, s[10:11]
	s_cbranch_execnz .LBB114_847
; %bb.848:
	s_or_b64 exec, exec, s[10:11]
.LBB114_849:
	s_or_b64 exec, exec, s[8:9]
	v_mov_b32_e32 v108, 0
	ds_read_b64 v[108:109], v108 offset:288
	s_waitcnt lgkmcnt(0)
	v_mul_f64 v[104:105], v[104:105], v[108:109]
	buffer_store_dword v105, off, s[0:3], 0 offset:292
	buffer_store_dword v104, off, s[0:3], 0 offset:288
.LBB114_850:
	s_or_b64 exec, exec, s[6:7]
	buffer_load_dword v104, off, s[0:3], 0 offset:296
	buffer_load_dword v105, off, s[0:3], 0 offset:300
	v_cmp_gt_u32_e32 vcc, 37, v0
	s_waitcnt vmcnt(0)
	ds_write_b64 v106, v[104:105]
	s_waitcnt lgkmcnt(0)
	; wave barrier
	s_waitcnt lgkmcnt(0)
	s_and_saveexec_b64 s[6:7], vcc
	s_cbranch_execz .LBB114_860
; %bb.851:
	s_and_b64 vcc, exec, s[4:5]
	s_cbranch_vccnz .LBB114_853
; %bb.852:
	buffer_load_dword v104, v107, s[0:3], 0 offen
	buffer_load_dword v105, v107, s[0:3], 0 offen offset:4
	ds_read_b64 v[108:109], v106
	s_waitcnt vmcnt(0) lgkmcnt(0)
	v_mul_f64 v[104:105], v[104:105], v[108:109]
	s_cbranch_execz .LBB114_854
	s_branch .LBB114_855
.LBB114_853:
                                        ; implicit-def: $vgpr104_vgpr105
.LBB114_854:
	ds_read_b64 v[104:105], v106
.LBB114_855:
	v_cmp_ne_u32_e32 vcc, 36, v0
	s_and_saveexec_b64 s[8:9], vcc
	s_cbranch_execz .LBB114_859
; %bb.856:
	v_mov_b32_e32 v109, 0
	v_add_u32_e32 v108, 0x1a8, v1
	v_add3_u32 v109, v1, v109, 8
	s_mov_b64 s[10:11], 0
	v_mov_b32_e32 v110, v0
.LBB114_857:                            ; =>This Inner Loop Header: Depth=1
	buffer_load_dword v112, v109, s[0:3], 0 offen
	buffer_load_dword v113, v109, s[0:3], 0 offen offset:4
	ds_read_b64 v[114:115], v108
	v_add_u32_e32 v110, 1, v110
	v_cmp_lt_u32_e32 vcc, 35, v110
	v_add_u32_e32 v108, 8, v108
	v_add_u32_e32 v109, 8, v109
	s_or_b64 s[10:11], vcc, s[10:11]
	s_waitcnt vmcnt(0) lgkmcnt(0)
	v_fmac_f64_e32 v[104:105], v[112:113], v[114:115]
	s_andn2_b64 exec, exec, s[10:11]
	s_cbranch_execnz .LBB114_857
; %bb.858:
	s_or_b64 exec, exec, s[10:11]
.LBB114_859:
	s_or_b64 exec, exec, s[8:9]
	v_mov_b32_e32 v108, 0
	ds_read_b64 v[108:109], v108 offset:296
	s_waitcnt lgkmcnt(0)
	v_mul_f64 v[104:105], v[104:105], v[108:109]
	buffer_store_dword v105, off, s[0:3], 0 offset:300
	buffer_store_dword v104, off, s[0:3], 0 offset:296
.LBB114_860:
	s_or_b64 exec, exec, s[6:7]
	buffer_load_dword v104, off, s[0:3], 0 offset:304
	buffer_load_dword v105, off, s[0:3], 0 offset:308
	v_cmp_gt_u32_e32 vcc, 38, v0
	s_waitcnt vmcnt(0)
	ds_write_b64 v106, v[104:105]
	s_waitcnt lgkmcnt(0)
	; wave barrier
	s_waitcnt lgkmcnt(0)
	s_and_saveexec_b64 s[6:7], vcc
	s_cbranch_execz .LBB114_870
; %bb.861:
	s_and_b64 vcc, exec, s[4:5]
	s_cbranch_vccnz .LBB114_863
; %bb.862:
	buffer_load_dword v104, v107, s[0:3], 0 offen
	buffer_load_dword v105, v107, s[0:3], 0 offen offset:4
	ds_read_b64 v[108:109], v106
	s_waitcnt vmcnt(0) lgkmcnt(0)
	v_mul_f64 v[104:105], v[104:105], v[108:109]
	s_cbranch_execz .LBB114_864
	s_branch .LBB114_865
.LBB114_863:
                                        ; implicit-def: $vgpr104_vgpr105
.LBB114_864:
	ds_read_b64 v[104:105], v106
.LBB114_865:
	v_cmp_ne_u32_e32 vcc, 37, v0
	s_and_saveexec_b64 s[8:9], vcc
	s_cbranch_execz .LBB114_869
; %bb.866:
	v_mov_b32_e32 v109, 0
	v_add_u32_e32 v108, 0x1a8, v1
	v_add3_u32 v109, v1, v109, 8
	s_mov_b64 s[10:11], 0
	v_mov_b32_e32 v110, v0
.LBB114_867:                            ; =>This Inner Loop Header: Depth=1
	buffer_load_dword v112, v109, s[0:3], 0 offen
	buffer_load_dword v113, v109, s[0:3], 0 offen offset:4
	ds_read_b64 v[114:115], v108
	v_add_u32_e32 v110, 1, v110
	v_cmp_lt_u32_e32 vcc, 36, v110
	v_add_u32_e32 v108, 8, v108
	v_add_u32_e32 v109, 8, v109
	s_or_b64 s[10:11], vcc, s[10:11]
	s_waitcnt vmcnt(0) lgkmcnt(0)
	v_fmac_f64_e32 v[104:105], v[112:113], v[114:115]
	s_andn2_b64 exec, exec, s[10:11]
	s_cbranch_execnz .LBB114_867
; %bb.868:
	s_or_b64 exec, exec, s[10:11]
.LBB114_869:
	s_or_b64 exec, exec, s[8:9]
	v_mov_b32_e32 v108, 0
	ds_read_b64 v[108:109], v108 offset:304
	s_waitcnt lgkmcnt(0)
	v_mul_f64 v[104:105], v[104:105], v[108:109]
	buffer_store_dword v105, off, s[0:3], 0 offset:308
	buffer_store_dword v104, off, s[0:3], 0 offset:304
.LBB114_870:
	s_or_b64 exec, exec, s[6:7]
	buffer_load_dword v104, off, s[0:3], 0 offset:312
	buffer_load_dword v105, off, s[0:3], 0 offset:316
	v_cmp_gt_u32_e32 vcc, 39, v0
	s_waitcnt vmcnt(0)
	ds_write_b64 v106, v[104:105]
	s_waitcnt lgkmcnt(0)
	; wave barrier
	s_waitcnt lgkmcnt(0)
	s_and_saveexec_b64 s[6:7], vcc
	s_cbranch_execz .LBB114_880
; %bb.871:
	s_and_b64 vcc, exec, s[4:5]
	s_cbranch_vccnz .LBB114_873
; %bb.872:
	buffer_load_dword v104, v107, s[0:3], 0 offen
	buffer_load_dword v105, v107, s[0:3], 0 offen offset:4
	ds_read_b64 v[108:109], v106
	s_waitcnt vmcnt(0) lgkmcnt(0)
	v_mul_f64 v[104:105], v[104:105], v[108:109]
	s_cbranch_execz .LBB114_874
	s_branch .LBB114_875
.LBB114_873:
                                        ; implicit-def: $vgpr104_vgpr105
.LBB114_874:
	ds_read_b64 v[104:105], v106
.LBB114_875:
	v_cmp_ne_u32_e32 vcc, 38, v0
	s_and_saveexec_b64 s[8:9], vcc
	s_cbranch_execz .LBB114_879
; %bb.876:
	v_mov_b32_e32 v109, 0
	v_add_u32_e32 v108, 0x1a8, v1
	v_add3_u32 v109, v1, v109, 8
	s_mov_b64 s[10:11], 0
	v_mov_b32_e32 v110, v0
.LBB114_877:                            ; =>This Inner Loop Header: Depth=1
	buffer_load_dword v112, v109, s[0:3], 0 offen
	buffer_load_dword v113, v109, s[0:3], 0 offen offset:4
	ds_read_b64 v[114:115], v108
	v_add_u32_e32 v110, 1, v110
	v_cmp_lt_u32_e32 vcc, 37, v110
	v_add_u32_e32 v108, 8, v108
	v_add_u32_e32 v109, 8, v109
	s_or_b64 s[10:11], vcc, s[10:11]
	s_waitcnt vmcnt(0) lgkmcnt(0)
	v_fmac_f64_e32 v[104:105], v[112:113], v[114:115]
	s_andn2_b64 exec, exec, s[10:11]
	s_cbranch_execnz .LBB114_877
; %bb.878:
	s_or_b64 exec, exec, s[10:11]
.LBB114_879:
	s_or_b64 exec, exec, s[8:9]
	v_mov_b32_e32 v108, 0
	ds_read_b64 v[108:109], v108 offset:312
	s_waitcnt lgkmcnt(0)
	v_mul_f64 v[104:105], v[104:105], v[108:109]
	buffer_store_dword v105, off, s[0:3], 0 offset:316
	buffer_store_dword v104, off, s[0:3], 0 offset:312
.LBB114_880:
	s_or_b64 exec, exec, s[6:7]
	buffer_load_dword v104, off, s[0:3], 0 offset:320
	buffer_load_dword v105, off, s[0:3], 0 offset:324
	v_cmp_gt_u32_e32 vcc, 40, v0
	s_waitcnt vmcnt(0)
	ds_write_b64 v106, v[104:105]
	s_waitcnt lgkmcnt(0)
	; wave barrier
	s_waitcnt lgkmcnt(0)
	s_and_saveexec_b64 s[6:7], vcc
	s_cbranch_execz .LBB114_890
; %bb.881:
	s_and_b64 vcc, exec, s[4:5]
	s_cbranch_vccnz .LBB114_883
; %bb.882:
	buffer_load_dword v104, v107, s[0:3], 0 offen
	buffer_load_dword v105, v107, s[0:3], 0 offen offset:4
	ds_read_b64 v[108:109], v106
	s_waitcnt vmcnt(0) lgkmcnt(0)
	v_mul_f64 v[104:105], v[104:105], v[108:109]
	s_cbranch_execz .LBB114_884
	s_branch .LBB114_885
.LBB114_883:
                                        ; implicit-def: $vgpr104_vgpr105
.LBB114_884:
	ds_read_b64 v[104:105], v106
.LBB114_885:
	v_cmp_ne_u32_e32 vcc, 39, v0
	s_and_saveexec_b64 s[8:9], vcc
	s_cbranch_execz .LBB114_889
; %bb.886:
	v_mov_b32_e32 v109, 0
	v_add_u32_e32 v108, 0x1a8, v1
	v_add3_u32 v109, v1, v109, 8
	s_mov_b64 s[10:11], 0
	v_mov_b32_e32 v110, v0
.LBB114_887:                            ; =>This Inner Loop Header: Depth=1
	buffer_load_dword v112, v109, s[0:3], 0 offen
	buffer_load_dword v113, v109, s[0:3], 0 offen offset:4
	ds_read_b64 v[114:115], v108
	v_add_u32_e32 v110, 1, v110
	v_cmp_lt_u32_e32 vcc, 38, v110
	v_add_u32_e32 v108, 8, v108
	v_add_u32_e32 v109, 8, v109
	s_or_b64 s[10:11], vcc, s[10:11]
	s_waitcnt vmcnt(0) lgkmcnt(0)
	v_fmac_f64_e32 v[104:105], v[112:113], v[114:115]
	s_andn2_b64 exec, exec, s[10:11]
	s_cbranch_execnz .LBB114_887
; %bb.888:
	s_or_b64 exec, exec, s[10:11]
.LBB114_889:
	s_or_b64 exec, exec, s[8:9]
	v_mov_b32_e32 v108, 0
	ds_read_b64 v[108:109], v108 offset:320
	s_waitcnt lgkmcnt(0)
	v_mul_f64 v[104:105], v[104:105], v[108:109]
	buffer_store_dword v105, off, s[0:3], 0 offset:324
	buffer_store_dword v104, off, s[0:3], 0 offset:320
.LBB114_890:
	s_or_b64 exec, exec, s[6:7]
	buffer_load_dword v104, off, s[0:3], 0 offset:328
	buffer_load_dword v105, off, s[0:3], 0 offset:332
	v_cmp_gt_u32_e32 vcc, 41, v0
	s_waitcnt vmcnt(0)
	ds_write_b64 v106, v[104:105]
	s_waitcnt lgkmcnt(0)
	; wave barrier
	s_waitcnt lgkmcnt(0)
	s_and_saveexec_b64 s[6:7], vcc
	s_cbranch_execz .LBB114_900
; %bb.891:
	s_and_b64 vcc, exec, s[4:5]
	s_cbranch_vccnz .LBB114_893
; %bb.892:
	buffer_load_dword v104, v107, s[0:3], 0 offen
	buffer_load_dword v105, v107, s[0:3], 0 offen offset:4
	ds_read_b64 v[108:109], v106
	s_waitcnt vmcnt(0) lgkmcnt(0)
	v_mul_f64 v[104:105], v[104:105], v[108:109]
	s_cbranch_execz .LBB114_894
	s_branch .LBB114_895
.LBB114_893:
                                        ; implicit-def: $vgpr104_vgpr105
.LBB114_894:
	ds_read_b64 v[104:105], v106
.LBB114_895:
	v_cmp_ne_u32_e32 vcc, 40, v0
	s_and_saveexec_b64 s[8:9], vcc
	s_cbranch_execz .LBB114_899
; %bb.896:
	v_mov_b32_e32 v109, 0
	v_add_u32_e32 v108, 0x1a8, v1
	v_add3_u32 v109, v1, v109, 8
	s_mov_b64 s[10:11], 0
	v_mov_b32_e32 v110, v0
.LBB114_897:                            ; =>This Inner Loop Header: Depth=1
	buffer_load_dword v112, v109, s[0:3], 0 offen
	buffer_load_dword v113, v109, s[0:3], 0 offen offset:4
	ds_read_b64 v[114:115], v108
	v_add_u32_e32 v110, 1, v110
	v_cmp_lt_u32_e32 vcc, 39, v110
	v_add_u32_e32 v108, 8, v108
	v_add_u32_e32 v109, 8, v109
	s_or_b64 s[10:11], vcc, s[10:11]
	s_waitcnt vmcnt(0) lgkmcnt(0)
	v_fmac_f64_e32 v[104:105], v[112:113], v[114:115]
	s_andn2_b64 exec, exec, s[10:11]
	s_cbranch_execnz .LBB114_897
; %bb.898:
	s_or_b64 exec, exec, s[10:11]
.LBB114_899:
	s_or_b64 exec, exec, s[8:9]
	v_mov_b32_e32 v108, 0
	ds_read_b64 v[108:109], v108 offset:328
	s_waitcnt lgkmcnt(0)
	v_mul_f64 v[104:105], v[104:105], v[108:109]
	buffer_store_dword v105, off, s[0:3], 0 offset:332
	buffer_store_dword v104, off, s[0:3], 0 offset:328
.LBB114_900:
	s_or_b64 exec, exec, s[6:7]
	buffer_load_dword v104, off, s[0:3], 0 offset:336
	buffer_load_dword v105, off, s[0:3], 0 offset:340
	v_cmp_gt_u32_e32 vcc, 42, v0
	s_waitcnt vmcnt(0)
	ds_write_b64 v106, v[104:105]
	s_waitcnt lgkmcnt(0)
	; wave barrier
	s_waitcnt lgkmcnt(0)
	s_and_saveexec_b64 s[6:7], vcc
	s_cbranch_execz .LBB114_910
; %bb.901:
	s_and_b64 vcc, exec, s[4:5]
	s_cbranch_vccnz .LBB114_903
; %bb.902:
	buffer_load_dword v104, v107, s[0:3], 0 offen
	buffer_load_dword v105, v107, s[0:3], 0 offen offset:4
	ds_read_b64 v[108:109], v106
	s_waitcnt vmcnt(0) lgkmcnt(0)
	v_mul_f64 v[104:105], v[104:105], v[108:109]
	s_cbranch_execz .LBB114_904
	s_branch .LBB114_905
.LBB114_903:
                                        ; implicit-def: $vgpr104_vgpr105
.LBB114_904:
	ds_read_b64 v[104:105], v106
.LBB114_905:
	v_cmp_ne_u32_e32 vcc, 41, v0
	s_and_saveexec_b64 s[8:9], vcc
	s_cbranch_execz .LBB114_909
; %bb.906:
	v_mov_b32_e32 v109, 0
	v_add_u32_e32 v108, 0x1a8, v1
	v_add3_u32 v109, v1, v109, 8
	s_mov_b64 s[10:11], 0
	v_mov_b32_e32 v110, v0
.LBB114_907:                            ; =>This Inner Loop Header: Depth=1
	buffer_load_dword v112, v109, s[0:3], 0 offen
	buffer_load_dword v113, v109, s[0:3], 0 offen offset:4
	ds_read_b64 v[114:115], v108
	v_add_u32_e32 v110, 1, v110
	v_cmp_lt_u32_e32 vcc, 40, v110
	v_add_u32_e32 v108, 8, v108
	v_add_u32_e32 v109, 8, v109
	s_or_b64 s[10:11], vcc, s[10:11]
	s_waitcnt vmcnt(0) lgkmcnt(0)
	v_fmac_f64_e32 v[104:105], v[112:113], v[114:115]
	s_andn2_b64 exec, exec, s[10:11]
	s_cbranch_execnz .LBB114_907
; %bb.908:
	s_or_b64 exec, exec, s[10:11]
.LBB114_909:
	s_or_b64 exec, exec, s[8:9]
	v_mov_b32_e32 v108, 0
	ds_read_b64 v[108:109], v108 offset:336
	s_waitcnt lgkmcnt(0)
	v_mul_f64 v[104:105], v[104:105], v[108:109]
	buffer_store_dword v105, off, s[0:3], 0 offset:340
	buffer_store_dword v104, off, s[0:3], 0 offset:336
.LBB114_910:
	s_or_b64 exec, exec, s[6:7]
	buffer_load_dword v104, off, s[0:3], 0 offset:344
	buffer_load_dword v105, off, s[0:3], 0 offset:348
	v_cmp_gt_u32_e32 vcc, 43, v0
	s_waitcnt vmcnt(0)
	ds_write_b64 v106, v[104:105]
	s_waitcnt lgkmcnt(0)
	; wave barrier
	s_waitcnt lgkmcnt(0)
	s_and_saveexec_b64 s[6:7], vcc
	s_cbranch_execz .LBB114_920
; %bb.911:
	s_and_b64 vcc, exec, s[4:5]
	s_cbranch_vccnz .LBB114_913
; %bb.912:
	buffer_load_dword v104, v107, s[0:3], 0 offen
	buffer_load_dword v105, v107, s[0:3], 0 offen offset:4
	ds_read_b64 v[108:109], v106
	s_waitcnt vmcnt(0) lgkmcnt(0)
	v_mul_f64 v[104:105], v[104:105], v[108:109]
	s_cbranch_execz .LBB114_914
	s_branch .LBB114_915
.LBB114_913:
                                        ; implicit-def: $vgpr104_vgpr105
.LBB114_914:
	ds_read_b64 v[104:105], v106
.LBB114_915:
	v_cmp_ne_u32_e32 vcc, 42, v0
	s_and_saveexec_b64 s[8:9], vcc
	s_cbranch_execz .LBB114_919
; %bb.916:
	v_mov_b32_e32 v109, 0
	v_add_u32_e32 v108, 0x1a8, v1
	v_add3_u32 v109, v1, v109, 8
	s_mov_b64 s[10:11], 0
	v_mov_b32_e32 v110, v0
.LBB114_917:                            ; =>This Inner Loop Header: Depth=1
	buffer_load_dword v112, v109, s[0:3], 0 offen
	buffer_load_dword v113, v109, s[0:3], 0 offen offset:4
	ds_read_b64 v[114:115], v108
	v_add_u32_e32 v110, 1, v110
	v_cmp_lt_u32_e32 vcc, 41, v110
	v_add_u32_e32 v108, 8, v108
	v_add_u32_e32 v109, 8, v109
	s_or_b64 s[10:11], vcc, s[10:11]
	s_waitcnt vmcnt(0) lgkmcnt(0)
	v_fmac_f64_e32 v[104:105], v[112:113], v[114:115]
	s_andn2_b64 exec, exec, s[10:11]
	s_cbranch_execnz .LBB114_917
; %bb.918:
	s_or_b64 exec, exec, s[10:11]
.LBB114_919:
	s_or_b64 exec, exec, s[8:9]
	v_mov_b32_e32 v108, 0
	ds_read_b64 v[108:109], v108 offset:344
	s_waitcnt lgkmcnt(0)
	v_mul_f64 v[104:105], v[104:105], v[108:109]
	buffer_store_dword v105, off, s[0:3], 0 offset:348
	buffer_store_dword v104, off, s[0:3], 0 offset:344
.LBB114_920:
	s_or_b64 exec, exec, s[6:7]
	buffer_load_dword v104, off, s[0:3], 0 offset:352
	buffer_load_dword v105, off, s[0:3], 0 offset:356
	v_cmp_gt_u32_e32 vcc, 44, v0
	s_waitcnt vmcnt(0)
	ds_write_b64 v106, v[104:105]
	s_waitcnt lgkmcnt(0)
	; wave barrier
	s_waitcnt lgkmcnt(0)
	s_and_saveexec_b64 s[6:7], vcc
	s_cbranch_execz .LBB114_930
; %bb.921:
	s_and_b64 vcc, exec, s[4:5]
	s_cbranch_vccnz .LBB114_923
; %bb.922:
	buffer_load_dword v104, v107, s[0:3], 0 offen
	buffer_load_dword v105, v107, s[0:3], 0 offen offset:4
	ds_read_b64 v[108:109], v106
	s_waitcnt vmcnt(0) lgkmcnt(0)
	v_mul_f64 v[104:105], v[104:105], v[108:109]
	s_cbranch_execz .LBB114_924
	s_branch .LBB114_925
.LBB114_923:
                                        ; implicit-def: $vgpr104_vgpr105
.LBB114_924:
	ds_read_b64 v[104:105], v106
.LBB114_925:
	v_cmp_ne_u32_e32 vcc, 43, v0
	s_and_saveexec_b64 s[8:9], vcc
	s_cbranch_execz .LBB114_929
; %bb.926:
	v_mov_b32_e32 v109, 0
	v_add_u32_e32 v108, 0x1a8, v1
	v_add3_u32 v109, v1, v109, 8
	s_mov_b64 s[10:11], 0
	v_mov_b32_e32 v110, v0
.LBB114_927:                            ; =>This Inner Loop Header: Depth=1
	buffer_load_dword v112, v109, s[0:3], 0 offen
	buffer_load_dword v113, v109, s[0:3], 0 offen offset:4
	ds_read_b64 v[114:115], v108
	v_add_u32_e32 v110, 1, v110
	v_cmp_lt_u32_e32 vcc, 42, v110
	v_add_u32_e32 v108, 8, v108
	v_add_u32_e32 v109, 8, v109
	s_or_b64 s[10:11], vcc, s[10:11]
	s_waitcnt vmcnt(0) lgkmcnt(0)
	v_fmac_f64_e32 v[104:105], v[112:113], v[114:115]
	s_andn2_b64 exec, exec, s[10:11]
	s_cbranch_execnz .LBB114_927
; %bb.928:
	s_or_b64 exec, exec, s[10:11]
.LBB114_929:
	s_or_b64 exec, exec, s[8:9]
	v_mov_b32_e32 v108, 0
	ds_read_b64 v[108:109], v108 offset:352
	s_waitcnt lgkmcnt(0)
	v_mul_f64 v[104:105], v[104:105], v[108:109]
	buffer_store_dword v105, off, s[0:3], 0 offset:356
	buffer_store_dword v104, off, s[0:3], 0 offset:352
.LBB114_930:
	s_or_b64 exec, exec, s[6:7]
	buffer_load_dword v104, off, s[0:3], 0 offset:360
	buffer_load_dword v105, off, s[0:3], 0 offset:364
	v_cmp_gt_u32_e32 vcc, 45, v0
	s_waitcnt vmcnt(0)
	ds_write_b64 v106, v[104:105]
	s_waitcnt lgkmcnt(0)
	; wave barrier
	s_waitcnt lgkmcnt(0)
	s_and_saveexec_b64 s[6:7], vcc
	s_cbranch_execz .LBB114_940
; %bb.931:
	s_and_b64 vcc, exec, s[4:5]
	s_cbranch_vccnz .LBB114_933
; %bb.932:
	buffer_load_dword v104, v107, s[0:3], 0 offen
	buffer_load_dword v105, v107, s[0:3], 0 offen offset:4
	ds_read_b64 v[108:109], v106
	s_waitcnt vmcnt(0) lgkmcnt(0)
	v_mul_f64 v[104:105], v[104:105], v[108:109]
	s_cbranch_execz .LBB114_934
	s_branch .LBB114_935
.LBB114_933:
                                        ; implicit-def: $vgpr104_vgpr105
.LBB114_934:
	ds_read_b64 v[104:105], v106
.LBB114_935:
	v_cmp_ne_u32_e32 vcc, 44, v0
	s_and_saveexec_b64 s[8:9], vcc
	s_cbranch_execz .LBB114_939
; %bb.936:
	v_mov_b32_e32 v109, 0
	v_add_u32_e32 v108, 0x1a8, v1
	v_add3_u32 v109, v1, v109, 8
	s_mov_b64 s[10:11], 0
	v_mov_b32_e32 v110, v0
.LBB114_937:                            ; =>This Inner Loop Header: Depth=1
	buffer_load_dword v112, v109, s[0:3], 0 offen
	buffer_load_dword v113, v109, s[0:3], 0 offen offset:4
	ds_read_b64 v[114:115], v108
	v_add_u32_e32 v110, 1, v110
	v_cmp_lt_u32_e32 vcc, 43, v110
	v_add_u32_e32 v108, 8, v108
	v_add_u32_e32 v109, 8, v109
	s_or_b64 s[10:11], vcc, s[10:11]
	s_waitcnt vmcnt(0) lgkmcnt(0)
	v_fmac_f64_e32 v[104:105], v[112:113], v[114:115]
	s_andn2_b64 exec, exec, s[10:11]
	s_cbranch_execnz .LBB114_937
; %bb.938:
	s_or_b64 exec, exec, s[10:11]
.LBB114_939:
	s_or_b64 exec, exec, s[8:9]
	v_mov_b32_e32 v108, 0
	ds_read_b64 v[108:109], v108 offset:360
	s_waitcnt lgkmcnt(0)
	v_mul_f64 v[104:105], v[104:105], v[108:109]
	buffer_store_dword v105, off, s[0:3], 0 offset:364
	buffer_store_dword v104, off, s[0:3], 0 offset:360
.LBB114_940:
	s_or_b64 exec, exec, s[6:7]
	buffer_load_dword v104, off, s[0:3], 0 offset:368
	buffer_load_dword v105, off, s[0:3], 0 offset:372
	v_cmp_gt_u32_e32 vcc, 46, v0
	s_waitcnt vmcnt(0)
	ds_write_b64 v106, v[104:105]
	s_waitcnt lgkmcnt(0)
	; wave barrier
	s_waitcnt lgkmcnt(0)
	s_and_saveexec_b64 s[6:7], vcc
	s_cbranch_execz .LBB114_950
; %bb.941:
	s_and_b64 vcc, exec, s[4:5]
	s_cbranch_vccnz .LBB114_943
; %bb.942:
	buffer_load_dword v104, v107, s[0:3], 0 offen
	buffer_load_dword v105, v107, s[0:3], 0 offen offset:4
	ds_read_b64 v[108:109], v106
	s_waitcnt vmcnt(0) lgkmcnt(0)
	v_mul_f64 v[104:105], v[104:105], v[108:109]
	s_cbranch_execz .LBB114_944
	s_branch .LBB114_945
.LBB114_943:
                                        ; implicit-def: $vgpr104_vgpr105
.LBB114_944:
	ds_read_b64 v[104:105], v106
.LBB114_945:
	v_cmp_ne_u32_e32 vcc, 45, v0
	s_and_saveexec_b64 s[8:9], vcc
	s_cbranch_execz .LBB114_949
; %bb.946:
	v_mov_b32_e32 v109, 0
	v_add_u32_e32 v108, 0x1a8, v1
	v_add3_u32 v109, v1, v109, 8
	s_mov_b64 s[10:11], 0
	v_mov_b32_e32 v110, v0
.LBB114_947:                            ; =>This Inner Loop Header: Depth=1
	buffer_load_dword v112, v109, s[0:3], 0 offen
	buffer_load_dword v113, v109, s[0:3], 0 offen offset:4
	ds_read_b64 v[114:115], v108
	v_add_u32_e32 v110, 1, v110
	v_cmp_lt_u32_e32 vcc, 44, v110
	v_add_u32_e32 v108, 8, v108
	v_add_u32_e32 v109, 8, v109
	s_or_b64 s[10:11], vcc, s[10:11]
	s_waitcnt vmcnt(0) lgkmcnt(0)
	v_fmac_f64_e32 v[104:105], v[112:113], v[114:115]
	s_andn2_b64 exec, exec, s[10:11]
	s_cbranch_execnz .LBB114_947
; %bb.948:
	s_or_b64 exec, exec, s[10:11]
.LBB114_949:
	s_or_b64 exec, exec, s[8:9]
	v_mov_b32_e32 v108, 0
	ds_read_b64 v[108:109], v108 offset:368
	s_waitcnt lgkmcnt(0)
	v_mul_f64 v[104:105], v[104:105], v[108:109]
	buffer_store_dword v105, off, s[0:3], 0 offset:372
	buffer_store_dword v104, off, s[0:3], 0 offset:368
.LBB114_950:
	s_or_b64 exec, exec, s[6:7]
	buffer_load_dword v104, off, s[0:3], 0 offset:376
	buffer_load_dword v105, off, s[0:3], 0 offset:380
	v_cmp_gt_u32_e32 vcc, 47, v0
	s_waitcnt vmcnt(0)
	ds_write_b64 v106, v[104:105]
	s_waitcnt lgkmcnt(0)
	; wave barrier
	s_waitcnt lgkmcnt(0)
	s_and_saveexec_b64 s[6:7], vcc
	s_cbranch_execz .LBB114_960
; %bb.951:
	s_and_b64 vcc, exec, s[4:5]
	s_cbranch_vccnz .LBB114_953
; %bb.952:
	buffer_load_dword v104, v107, s[0:3], 0 offen
	buffer_load_dword v105, v107, s[0:3], 0 offen offset:4
	ds_read_b64 v[108:109], v106
	s_waitcnt vmcnt(0) lgkmcnt(0)
	v_mul_f64 v[104:105], v[104:105], v[108:109]
	s_cbranch_execz .LBB114_954
	s_branch .LBB114_955
.LBB114_953:
                                        ; implicit-def: $vgpr104_vgpr105
.LBB114_954:
	ds_read_b64 v[104:105], v106
.LBB114_955:
	v_cmp_ne_u32_e32 vcc, 46, v0
	s_and_saveexec_b64 s[8:9], vcc
	s_cbranch_execz .LBB114_959
; %bb.956:
	v_mov_b32_e32 v109, 0
	v_add_u32_e32 v108, 0x1a8, v1
	v_add3_u32 v109, v1, v109, 8
	s_mov_b64 s[10:11], 0
	v_mov_b32_e32 v110, v0
.LBB114_957:                            ; =>This Inner Loop Header: Depth=1
	buffer_load_dword v112, v109, s[0:3], 0 offen
	buffer_load_dword v113, v109, s[0:3], 0 offen offset:4
	ds_read_b64 v[114:115], v108
	v_add_u32_e32 v110, 1, v110
	v_cmp_lt_u32_e32 vcc, 45, v110
	v_add_u32_e32 v108, 8, v108
	v_add_u32_e32 v109, 8, v109
	s_or_b64 s[10:11], vcc, s[10:11]
	s_waitcnt vmcnt(0) lgkmcnt(0)
	v_fmac_f64_e32 v[104:105], v[112:113], v[114:115]
	s_andn2_b64 exec, exec, s[10:11]
	s_cbranch_execnz .LBB114_957
; %bb.958:
	s_or_b64 exec, exec, s[10:11]
.LBB114_959:
	s_or_b64 exec, exec, s[8:9]
	v_mov_b32_e32 v108, 0
	ds_read_b64 v[108:109], v108 offset:376
	s_waitcnt lgkmcnt(0)
	v_mul_f64 v[104:105], v[104:105], v[108:109]
	buffer_store_dword v105, off, s[0:3], 0 offset:380
	buffer_store_dword v104, off, s[0:3], 0 offset:376
.LBB114_960:
	s_or_b64 exec, exec, s[6:7]
	buffer_load_dword v104, off, s[0:3], 0 offset:384
	buffer_load_dword v105, off, s[0:3], 0 offset:388
	v_cmp_gt_u32_e32 vcc, 48, v0
	s_waitcnt vmcnt(0)
	ds_write_b64 v106, v[104:105]
	s_waitcnt lgkmcnt(0)
	; wave barrier
	s_waitcnt lgkmcnt(0)
	s_and_saveexec_b64 s[6:7], vcc
	s_cbranch_execz .LBB114_970
; %bb.961:
	s_and_b64 vcc, exec, s[4:5]
	s_cbranch_vccnz .LBB114_963
; %bb.962:
	buffer_load_dword v104, v107, s[0:3], 0 offen
	buffer_load_dword v105, v107, s[0:3], 0 offen offset:4
	ds_read_b64 v[108:109], v106
	s_waitcnt vmcnt(0) lgkmcnt(0)
	v_mul_f64 v[104:105], v[104:105], v[108:109]
	s_cbranch_execz .LBB114_964
	s_branch .LBB114_965
.LBB114_963:
                                        ; implicit-def: $vgpr104_vgpr105
.LBB114_964:
	ds_read_b64 v[104:105], v106
.LBB114_965:
	v_cmp_ne_u32_e32 vcc, 47, v0
	s_and_saveexec_b64 s[8:9], vcc
	s_cbranch_execz .LBB114_969
; %bb.966:
	v_mov_b32_e32 v109, 0
	v_add_u32_e32 v108, 0x1a8, v1
	v_add3_u32 v109, v1, v109, 8
	s_mov_b64 s[10:11], 0
	v_mov_b32_e32 v110, v0
.LBB114_967:                            ; =>This Inner Loop Header: Depth=1
	buffer_load_dword v112, v109, s[0:3], 0 offen
	buffer_load_dword v113, v109, s[0:3], 0 offen offset:4
	ds_read_b64 v[114:115], v108
	v_add_u32_e32 v110, 1, v110
	v_cmp_lt_u32_e32 vcc, 46, v110
	v_add_u32_e32 v108, 8, v108
	v_add_u32_e32 v109, 8, v109
	s_or_b64 s[10:11], vcc, s[10:11]
	s_waitcnt vmcnt(0) lgkmcnt(0)
	v_fmac_f64_e32 v[104:105], v[112:113], v[114:115]
	s_andn2_b64 exec, exec, s[10:11]
	s_cbranch_execnz .LBB114_967
; %bb.968:
	s_or_b64 exec, exec, s[10:11]
.LBB114_969:
	s_or_b64 exec, exec, s[8:9]
	v_mov_b32_e32 v108, 0
	ds_read_b64 v[108:109], v108 offset:384
	s_waitcnt lgkmcnt(0)
	v_mul_f64 v[104:105], v[104:105], v[108:109]
	buffer_store_dword v105, off, s[0:3], 0 offset:388
	buffer_store_dword v104, off, s[0:3], 0 offset:384
.LBB114_970:
	s_or_b64 exec, exec, s[6:7]
	buffer_load_dword v104, off, s[0:3], 0 offset:392
	buffer_load_dword v105, off, s[0:3], 0 offset:396
	v_cmp_gt_u32_e64 s[6:7], 49, v0
	s_waitcnt vmcnt(0)
	ds_write_b64 v106, v[104:105]
	s_waitcnt lgkmcnt(0)
	; wave barrier
	s_waitcnt lgkmcnt(0)
	s_and_saveexec_b64 s[8:9], s[6:7]
	s_cbranch_execz .LBB114_980
; %bb.971:
	s_and_b64 vcc, exec, s[4:5]
	s_cbranch_vccnz .LBB114_973
; %bb.972:
	buffer_load_dword v104, v107, s[0:3], 0 offen
	buffer_load_dword v105, v107, s[0:3], 0 offen offset:4
	ds_read_b64 v[108:109], v106
	s_waitcnt vmcnt(0) lgkmcnt(0)
	v_mul_f64 v[104:105], v[104:105], v[108:109]
	s_cbranch_execz .LBB114_974
	s_branch .LBB114_975
.LBB114_973:
                                        ; implicit-def: $vgpr104_vgpr105
.LBB114_974:
	ds_read_b64 v[104:105], v106
.LBB114_975:
	v_cmp_ne_u32_e32 vcc, 48, v0
	s_and_saveexec_b64 s[10:11], vcc
	s_cbranch_execz .LBB114_979
; %bb.976:
	v_mov_b32_e32 v109, 0
	v_add_u32_e32 v108, 0x1a8, v1
	v_add3_u32 v109, v1, v109, 8
	s_mov_b64 s[12:13], 0
	v_mov_b32_e32 v110, v0
.LBB114_977:                            ; =>This Inner Loop Header: Depth=1
	buffer_load_dword v112, v109, s[0:3], 0 offen
	buffer_load_dword v113, v109, s[0:3], 0 offen offset:4
	ds_read_b64 v[114:115], v108
	v_add_u32_e32 v110, 1, v110
	v_cmp_lt_u32_e32 vcc, 47, v110
	v_add_u32_e32 v108, 8, v108
	v_add_u32_e32 v109, 8, v109
	s_or_b64 s[12:13], vcc, s[12:13]
	s_waitcnt vmcnt(0) lgkmcnt(0)
	v_fmac_f64_e32 v[104:105], v[112:113], v[114:115]
	s_andn2_b64 exec, exec, s[12:13]
	s_cbranch_execnz .LBB114_977
; %bb.978:
	s_or_b64 exec, exec, s[12:13]
.LBB114_979:
	s_or_b64 exec, exec, s[10:11]
	v_mov_b32_e32 v108, 0
	ds_read_b64 v[108:109], v108 offset:392
	s_waitcnt lgkmcnt(0)
	v_mul_f64 v[104:105], v[104:105], v[108:109]
	buffer_store_dword v105, off, s[0:3], 0 offset:396
	buffer_store_dword v104, off, s[0:3], 0 offset:392
.LBB114_980:
	s_or_b64 exec, exec, s[8:9]
	buffer_load_dword v104, off, s[0:3], 0 offset:400
	buffer_load_dword v105, off, s[0:3], 0 offset:404
	v_cmp_ne_u32_e32 vcc, 50, v0
	s_waitcnt vmcnt(0)
	ds_write_b64 v106, v[104:105]
	s_waitcnt lgkmcnt(0)
	; wave barrier
	s_waitcnt lgkmcnt(0)
	s_and_saveexec_b64 s[8:9], vcc
	s_cbranch_execz .LBB114_990
; %bb.981:
	s_and_b64 vcc, exec, s[4:5]
	s_cbranch_vccnz .LBB114_983
; %bb.982:
	buffer_load_dword v104, v107, s[0:3], 0 offen
	buffer_load_dword v105, v107, s[0:3], 0 offen offset:4
	ds_read_b64 v[108:109], v106
	s_waitcnt vmcnt(0) lgkmcnt(0)
	v_mul_f64 v[104:105], v[104:105], v[108:109]
	s_cbranch_execz .LBB114_984
	s_branch .LBB114_985
.LBB114_983:
                                        ; implicit-def: $vgpr104_vgpr105
.LBB114_984:
	ds_read_b64 v[104:105], v106
.LBB114_985:
	s_and_saveexec_b64 s[4:5], s[6:7]
	s_cbranch_execz .LBB114_989
; %bb.986:
	v_mov_b32_e32 v107, 0
	v_add_u32_e32 v106, 0x1a8, v1
	v_add3_u32 v1, v1, v107, 8
	s_mov_b64 s[6:7], 0
.LBB114_987:                            ; =>This Inner Loop Header: Depth=1
	buffer_load_dword v108, v1, s[0:3], 0 offen
	buffer_load_dword v109, v1, s[0:3], 0 offen offset:4
	ds_read_b64 v[110:111], v106
	v_add_u32_e32 v0, 1, v0
	v_cmp_lt_u32_e32 vcc, 48, v0
	v_add_u32_e32 v106, 8, v106
	v_add_u32_e32 v1, 8, v1
	s_or_b64 s[6:7], vcc, s[6:7]
	s_waitcnt vmcnt(0) lgkmcnt(0)
	v_fmac_f64_e32 v[104:105], v[108:109], v[110:111]
	s_andn2_b64 exec, exec, s[6:7]
	s_cbranch_execnz .LBB114_987
; %bb.988:
	s_or_b64 exec, exec, s[6:7]
.LBB114_989:
	s_or_b64 exec, exec, s[4:5]
	v_mov_b32_e32 v0, 0
	ds_read_b64 v[0:1], v0 offset:400
	s_waitcnt lgkmcnt(0)
	v_mul_f64 v[0:1], v[104:105], v[0:1]
	buffer_store_dword v1, off, s[0:3], 0 offset:404
	buffer_store_dword v0, off, s[0:3], 0 offset:400
.LBB114_990:
	s_or_b64 exec, exec, s[8:9]
.LBB114_991:
	buffer_load_dword v0, off, s[0:3], 0
	buffer_load_dword v1, off, s[0:3], 0 offset:4
	buffer_load_dword v104, off, s[0:3], 0 offset:8
	;; [unrolled: 1-line block ×15, first 2 shown]
	s_waitcnt vmcnt(14)
	global_store_dwordx2 v[100:101], v[0:1], off
	s_waitcnt vmcnt(13)
	global_store_dwordx2 v[102:103], v[104:105], off
	s_waitcnt vmcnt(12)
	global_store_dwordx2 v[2:3], v[106:107], off
	s_waitcnt vmcnt(11)
	global_store_dwordx2 v[4:5], v[108:109], off
	s_waitcnt vmcnt(10)
	global_store_dwordx2 v[6:7], v[110:111], off
	s_waitcnt vmcnt(9)
	global_store_dwordx2 v[8:9], v[112:113], off
	s_waitcnt vmcnt(8)
	global_store_dwordx2 v[10:11], v[114:115], off
	s_waitcnt vmcnt(7)
	global_store_dwordx2 v[14:15], v[116:117], off
	buffer_load_dword v1, off, s[0:3], 0 offset:68
	buffer_load_dword v0, off, s[0:3], 0 offset:64
	s_waitcnt vmcnt(0)
	global_store_dwordx2 v[20:21], v[0:1], off
	buffer_load_dword v0, off, s[0:3], 0 offset:72
	s_nop 0
	buffer_load_dword v1, off, s[0:3], 0 offset:76
	s_waitcnt vmcnt(0)
	global_store_dwordx2 v[12:13], v[0:1], off
	buffer_load_dword v0, off, s[0:3], 0 offset:80
	s_nop 0
	;; [unrolled: 5-line block ×42, first 2 shown]
	buffer_load_dword v1, off, s[0:3], 0 offset:404
	s_waitcnt vmcnt(0)
	global_store_dwordx2 v[84:85], v[0:1], off
.LBB114_992:
	s_endpgm
	.section	.rodata,"a",@progbits
	.p2align	6, 0x0
	.amdhsa_kernel _ZN9rocsolver6v33100L18trti2_kernel_smallILi51EdPKPdEEv13rocblas_fill_17rocblas_diagonal_T1_iil
		.amdhsa_group_segment_fixed_size 824
		.amdhsa_private_segment_fixed_size 416
		.amdhsa_kernarg_size 32
		.amdhsa_user_sgpr_count 8
		.amdhsa_user_sgpr_private_segment_buffer 1
		.amdhsa_user_sgpr_dispatch_ptr 0
		.amdhsa_user_sgpr_queue_ptr 0
		.amdhsa_user_sgpr_kernarg_segment_ptr 1
		.amdhsa_user_sgpr_dispatch_id 0
		.amdhsa_user_sgpr_flat_scratch_init 1
		.amdhsa_user_sgpr_kernarg_preload_length 0
		.amdhsa_user_sgpr_kernarg_preload_offset 0
		.amdhsa_user_sgpr_private_segment_size 0
		.amdhsa_uses_dynamic_stack 0
		.amdhsa_system_sgpr_private_segment_wavefront_offset 1
		.amdhsa_system_sgpr_workgroup_id_x 1
		.amdhsa_system_sgpr_workgroup_id_y 0
		.amdhsa_system_sgpr_workgroup_id_z 0
		.amdhsa_system_sgpr_workgroup_info 0
		.amdhsa_system_vgpr_workitem_id 0
		.amdhsa_next_free_vgpr 164
		.amdhsa_next_free_sgpr 16
		.amdhsa_accum_offset 164
		.amdhsa_reserve_vcc 1
		.amdhsa_reserve_flat_scratch 0
		.amdhsa_float_round_mode_32 0
		.amdhsa_float_round_mode_16_64 0
		.amdhsa_float_denorm_mode_32 3
		.amdhsa_float_denorm_mode_16_64 3
		.amdhsa_dx10_clamp 1
		.amdhsa_ieee_mode 1
		.amdhsa_fp16_overflow 0
		.amdhsa_tg_split 0
		.amdhsa_exception_fp_ieee_invalid_op 0
		.amdhsa_exception_fp_denorm_src 0
		.amdhsa_exception_fp_ieee_div_zero 0
		.amdhsa_exception_fp_ieee_overflow 0
		.amdhsa_exception_fp_ieee_underflow 0
		.amdhsa_exception_fp_ieee_inexact 0
		.amdhsa_exception_int_div_zero 0
	.end_amdhsa_kernel
	.section	.text._ZN9rocsolver6v33100L18trti2_kernel_smallILi51EdPKPdEEv13rocblas_fill_17rocblas_diagonal_T1_iil,"axG",@progbits,_ZN9rocsolver6v33100L18trti2_kernel_smallILi51EdPKPdEEv13rocblas_fill_17rocblas_diagonal_T1_iil,comdat
.Lfunc_end114:
	.size	_ZN9rocsolver6v33100L18trti2_kernel_smallILi51EdPKPdEEv13rocblas_fill_17rocblas_diagonal_T1_iil, .Lfunc_end114-_ZN9rocsolver6v33100L18trti2_kernel_smallILi51EdPKPdEEv13rocblas_fill_17rocblas_diagonal_T1_iil
                                        ; -- End function
	.section	.AMDGPU.csdata,"",@progbits
; Kernel info:
; codeLenInByte = 29968
; NumSgprs: 20
; NumVgprs: 164
; NumAgprs: 0
; TotalNumVgprs: 164
; ScratchSize: 416
; MemoryBound: 0
; FloatMode: 240
; IeeeMode: 1
; LDSByteSize: 824 bytes/workgroup (compile time only)
; SGPRBlocks: 2
; VGPRBlocks: 20
; NumSGPRsForWavesPerEU: 20
; NumVGPRsForWavesPerEU: 164
; AccumOffset: 164
; Occupancy: 3
; WaveLimiterHint : 1
; COMPUTE_PGM_RSRC2:SCRATCH_EN: 1
; COMPUTE_PGM_RSRC2:USER_SGPR: 8
; COMPUTE_PGM_RSRC2:TRAP_HANDLER: 0
; COMPUTE_PGM_RSRC2:TGID_X_EN: 1
; COMPUTE_PGM_RSRC2:TGID_Y_EN: 0
; COMPUTE_PGM_RSRC2:TGID_Z_EN: 0
; COMPUTE_PGM_RSRC2:TIDIG_COMP_CNT: 0
; COMPUTE_PGM_RSRC3_GFX90A:ACCUM_OFFSET: 40
; COMPUTE_PGM_RSRC3_GFX90A:TG_SPLIT: 0
	.section	.text._ZN9rocsolver6v33100L18trti2_kernel_smallILi52EdPKPdEEv13rocblas_fill_17rocblas_diagonal_T1_iil,"axG",@progbits,_ZN9rocsolver6v33100L18trti2_kernel_smallILi52EdPKPdEEv13rocblas_fill_17rocblas_diagonal_T1_iil,comdat
	.globl	_ZN9rocsolver6v33100L18trti2_kernel_smallILi52EdPKPdEEv13rocblas_fill_17rocblas_diagonal_T1_iil ; -- Begin function _ZN9rocsolver6v33100L18trti2_kernel_smallILi52EdPKPdEEv13rocblas_fill_17rocblas_diagonal_T1_iil
	.p2align	8
	.type	_ZN9rocsolver6v33100L18trti2_kernel_smallILi52EdPKPdEEv13rocblas_fill_17rocblas_diagonal_T1_iil,@function
_ZN9rocsolver6v33100L18trti2_kernel_smallILi52EdPKPdEEv13rocblas_fill_17rocblas_diagonal_T1_iil: ; @_ZN9rocsolver6v33100L18trti2_kernel_smallILi52EdPKPdEEv13rocblas_fill_17rocblas_diagonal_T1_iil
; %bb.0:
	s_add_u32 s0, s0, s9
	s_addc_u32 s1, s1, 0
	v_cmp_gt_u32_e32 vcc, 52, v0
	s_and_saveexec_b64 s[6:7], vcc
	s_cbranch_execz .LBB115_1012
; %bb.1:
	s_load_dwordx2 s[6:7], s[4:5], 0x10
	s_load_dwordx4 s[12:15], s[4:5], 0x0
	s_ashr_i32 s9, s8, 31
	s_lshl_b64 s[4:5], s[8:9], 3
	s_waitcnt lgkmcnt(0)
	s_ashr_i32 s9, s6, 31
	s_add_u32 s4, s14, s4
	s_addc_u32 s5, s15, s5
	s_load_dwordx2 s[4:5], s[4:5], 0x0
	s_mov_b32 s8, s6
	s_lshl_b64 s[8:9], s[8:9], 3
	s_waitcnt lgkmcnt(0)
	s_add_u32 s4, s4, s8
	s_addc_u32 s5, s5, s9
	s_add_i32 s6, s7, s7
	v_add_u32_e32 v4, s6, v0
	v_ashrrev_i32_e32 v5, 31, v4
	v_lshlrev_b64 v[2:3], 3, v[4:5]
	v_add_u32_e32 v6, s7, v4
	v_mov_b32_e32 v1, s5
	v_add_co_u32_e32 v2, vcc, s4, v2
	v_ashrrev_i32_e32 v7, 31, v6
	v_addc_co_u32_e32 v3, vcc, v1, v3, vcc
	v_lshlrev_b64 v[4:5], 3, v[6:7]
	v_add_u32_e32 v8, s7, v6
	v_add_co_u32_e32 v4, vcc, s4, v4
	v_ashrrev_i32_e32 v9, 31, v8
	v_addc_co_u32_e32 v5, vcc, v1, v5, vcc
	v_lshlrev_b64 v[6:7], 3, v[8:9]
	v_add_u32_e32 v10, s7, v8
	;; [unrolled: 5-line block ×5, first 2 shown]
	v_add_co_u32_e32 v14, vcc, s4, v14
	v_ashrrev_i32_e32 v13, 31, v12
	v_addc_co_u32_e32 v15, vcc, v1, v15, vcc
	v_lshlrev_b64 v[16:17], 3, v[12:13]
	v_add_co_u32_e32 v20, vcc, s4, v16
	v_add_u32_e32 v16, s7, v12
	v_addc_co_u32_e32 v21, vcc, v1, v17, vcc
	v_ashrrev_i32_e32 v17, 31, v16
	v_lshlrev_b64 v[12:13], 3, v[16:17]
	v_add_u32_e32 v18, s7, v16
	v_add_co_u32_e32 v12, vcc, s4, v12
	v_ashrrev_i32_e32 v19, 31, v18
	v_addc_co_u32_e32 v13, vcc, v1, v13, vcc
	v_lshlrev_b64 v[16:17], 3, v[18:19]
	v_add_u32_e32 v22, s7, v18
	v_add_co_u32_e32 v16, vcc, s4, v16
	v_ashrrev_i32_e32 v23, 31, v22
	v_addc_co_u32_e32 v17, vcc, v1, v17, vcc
	;; [unrolled: 5-line block ×35, first 2 shown]
	v_lshlrev_b64 v[86:87], 3, v[88:89]
	v_add_co_u32_e32 v86, vcc, s4, v86
	v_addc_co_u32_e32 v87, vcc, v1, v87, vcc
	v_lshlrev_b32_e32 v1, 3, v0
	v_mov_b32_e32 v89, s5
	v_add_co_u32_e32 v102, vcc, s4, v1
	s_ashr_i32 s9, s7, 31
	s_mov_b32 s8, s7
	v_addc_co_u32_e32 v103, vcc, 0, v89, vcc
	s_lshl_b64 s[8:9], s[8:9], 3
	v_mov_b32_e32 v89, s9
	v_add_co_u32_e32 v104, vcc, s8, v102
	v_addc_co_u32_e32 v105, vcc, v103, v89, vcc
	global_load_dwordx2 v[106:107], v1, s[4:5]
	global_load_dwordx2 v[110:111], v[2:3], off
	global_load_dwordx2 v[112:113], v[4:5], off
	;; [unrolled: 1-line block ×19, first 2 shown]
	v_add_u32_e32 v88, s7, v88
	v_ashrrev_i32_e32 v89, 31, v88
	v_lshlrev_b64 v[90:91], 3, v[88:89]
	v_add_u32_e32 v88, s7, v88
	v_mov_b32_e32 v92, s5
	v_add_co_u32_e32 v90, vcc, s4, v90
	v_ashrrev_i32_e32 v89, 31, v88
	v_addc_co_u32_e32 v91, vcc, v92, v91, vcc
	v_lshlrev_b64 v[92:93], 3, v[88:89]
	v_add_u32_e32 v88, s7, v88
	v_mov_b32_e32 v94, s5
	v_add_co_u32_e32 v92, vcc, s4, v92
	v_ashrrev_i32_e32 v89, 31, v88
	v_addc_co_u32_e32 v93, vcc, v94, v93, vcc
	v_lshlrev_b64 v[94:95], 3, v[88:89]
	v_add_u32_e32 v88, s7, v88
	global_load_dwordx2 v[146:147], v[38:39], off
	global_load_dwordx2 v[148:149], v[40:41], off
	v_mov_b32_e32 v96, s5
	v_add_co_u32_e32 v94, vcc, s4, v94
	v_ashrrev_i32_e32 v89, 31, v88
	v_addc_co_u32_e32 v95, vcc, v96, v95, vcc
	v_lshlrev_b64 v[96:97], 3, v[88:89]
	v_add_u32_e32 v88, s7, v88
	v_mov_b32_e32 v98, s5
	v_add_co_u32_e32 v96, vcc, s4, v96
	v_ashrrev_i32_e32 v89, 31, v88
	v_addc_co_u32_e32 v97, vcc, v98, v97, vcc
	v_lshlrev_b64 v[98:99], 3, v[88:89]
	v_add_u32_e32 v88, s7, v88
	v_mov_b32_e32 v100, s5
	v_add_co_u32_e32 v98, vcc, s4, v98
	v_ashrrev_i32_e32 v89, 31, v88
	v_addc_co_u32_e32 v99, vcc, v100, v99, vcc
	v_lshlrev_b64 v[100:101], 3, v[88:89]
	v_mov_b32_e32 v150, s5
	v_add_co_u32_e32 v100, vcc, s4, v100
	v_addc_co_u32_e32 v101, vcc, v150, v101, vcc
	global_load_dwordx2 v[150:151], v[42:43], off
	v_add_u32_e32 v88, s7, v88
	v_ashrrev_i32_e32 v89, 31, v88
	v_lshlrev_b64 v[88:89], 3, v[88:89]
	v_mov_b32_e32 v152, s5
	v_add_co_u32_e32 v88, vcc, s4, v88
	v_addc_co_u32_e32 v89, vcc, v152, v89, vcc
	global_load_dwordx2 v[152:153], v[88:89], off
	s_waitcnt vmcnt(23)
	buffer_store_dword v107, off, s[0:3], 0 offset:4
	buffer_store_dword v106, off, s[0:3], 0
	s_waitcnt vmcnt(22)
	buffer_store_dword v109, off, s[0:3], 0 offset:12
	buffer_store_dword v108, off, s[0:3], 0 offset:8
	;; [unrolled: 1-line block ×6, first 2 shown]
	s_waitcnt vmcnt(27)
	buffer_store_dword v115, off, s[0:3], 0 offset:36
	buffer_store_dword v114, off, s[0:3], 0 offset:32
	s_waitcnt vmcnt(28)
	buffer_store_dword v117, off, s[0:3], 0 offset:44
	buffer_store_dword v116, off, s[0:3], 0 offset:40
	;; [unrolled: 3-line block ×5, first 2 shown]
	s_waitcnt vmcnt(32)
	buffer_store_dword v124, off, s[0:3], 0 offset:72
	global_load_dwordx2 v[106:107], v[44:45], off
	global_load_dwordx2 v[108:109], v[46:47], off
	;; [unrolled: 1-line block ×14, first 2 shown]
	s_cmpk_lg_i32 s13, 0x84
	buffer_store_dword v125, off, s[0:3], 0 offset:76
	global_load_dwordx2 v[124:125], v[62:63], off
	s_cselect_b64 s[8:9], -1, 0
	s_waitcnt vmcnt(48)
	buffer_store_dword v126, off, s[0:3], 0 offset:80
	buffer_store_dword v127, off, s[0:3], 0 offset:84
	global_load_dwordx2 v[126:127], v[64:65], off
	s_cmpk_eq_i32 s13, 0x84
	s_waitcnt vmcnt(50)
	buffer_store_dword v128, off, s[0:3], 0 offset:88
	buffer_store_dword v129, off, s[0:3], 0 offset:92
	global_load_dwordx2 v[128:129], v[66:67], off
	s_waitcnt vmcnt(52)
	buffer_store_dword v130, off, s[0:3], 0 offset:96
	buffer_store_dword v131, off, s[0:3], 0 offset:100
	global_load_dwordx2 v[130:131], v[68:69], off
	;; [unrolled: 4-line block ×8, first 2 shown]
	s_nop 0
	buffer_store_dword v145, off, s[0:3], 0 offset:156
	buffer_store_dword v144, off, s[0:3], 0 offset:152
	global_load_dwordx2 v[144:145], v[86:87], off
	s_nop 0
	buffer_store_dword v147, off, s[0:3], 0 offset:164
	buffer_store_dword v146, off, s[0:3], 0 offset:160
	global_load_dwordx2 v[146:147], v[92:93], off
	s_waitcnt vmcnt(62)
	buffer_store_dword v148, off, s[0:3], 0 offset:168
	buffer_store_dword v149, off, s[0:3], 0 offset:172
	global_load_dwordx2 v[148:149], v[96:97], off
	s_nop 0
	buffer_store_dword v150, off, s[0:3], 0 offset:176
	buffer_store_dword v151, off, s[0:3], 0 offset:180
	global_load_dwordx2 v[150:151], v[100:101], off
	s_waitcnt vmcnt(54)
	buffer_store_dword v106, off, s[0:3], 0 offset:184
	buffer_store_dword v107, off, s[0:3], 0 offset:188
	s_waitcnt vmcnt(55)
	buffer_store_dword v108, off, s[0:3], 0 offset:192
	buffer_store_dword v109, off, s[0:3], 0 offset:196
	;; [unrolled: 3-line block ×18, first 2 shown]
	buffer_store_dword v154, off, s[0:3], 0 offset:328
	buffer_store_dword v155, off, s[0:3], 0 offset:332
	s_waitcnt vmcnt(50)
	buffer_store_dword v142, off, s[0:3], 0 offset:336
	buffer_store_dword v143, off, s[0:3], 0 offset:340
	buffer_store_dword v157, off, s[0:3], 0 offset:348
	buffer_store_dword v156, off, s[0:3], 0 offset:344
	s_waitcnt vmcnt(51)
	buffer_store_dword v145, off, s[0:3], 0 offset:356
	buffer_store_dword v144, off, s[0:3], 0 offset:352
	;; [unrolled: 5-line block ×5, first 2 shown]
	buffer_store_dword v152, off, s[0:3], 0 offset:408
	buffer_store_dword v153, off, s[0:3], 0 offset:412
	v_mov_b32_e32 v106, 0
	v_mov_b32_e32 v158, 0
	;; [unrolled: 1-line block ×3, first 2 shown]
	s_cbranch_scc1 .LBB115_3
; %bb.2:
	v_lshl_add_u32 v116, v0, 3, v158
	buffer_load_dword v106, v116, s[0:3], 0 offen
	buffer_load_dword v107, v116, s[0:3], 0 offen offset:4
	s_waitcnt vmcnt(0)
	v_div_scale_f64 v[108:109], s[4:5], v[106:107], v[106:107], 1.0
	v_rcp_f64_e32 v[110:111], v[108:109]
	v_div_scale_f64 v[112:113], vcc, 1.0, v[106:107], 1.0
	v_fma_f64 v[114:115], -v[108:109], v[110:111], 1.0
	v_fmac_f64_e32 v[110:111], v[110:111], v[114:115]
	v_fma_f64 v[114:115], -v[108:109], v[110:111], 1.0
	v_fmac_f64_e32 v[110:111], v[110:111], v[114:115]
	v_mul_f64 v[114:115], v[112:113], v[110:111]
	v_fma_f64 v[108:109], -v[108:109], v[114:115], v[112:113]
	v_div_fmas_f64 v[108:109], v[108:109], v[110:111], v[114:115]
	v_div_fixup_f64 v[106:107], v[108:109], v[106:107], 1.0
	buffer_store_dword v106, v116, s[0:3], 0 offen
	buffer_store_dword v107, v116, s[0:3], 0 offen offset:4
	v_xor_b32_e32 v107, 0x80000000, v107
.LBB115_3:
	s_cmpk_eq_i32 s12, 0x79
	v_add_u32_e32 v108, 0x1a0, v1
	v_add_u32_e32 v109, 0, v1
	s_mov_b64 s[4:5], -1
	ds_write_b64 v1, v[106:107]
	s_cbranch_scc1 .LBB115_507
; %bb.4:
	buffer_load_dword v106, off, s[0:3], 0 offset:400
	buffer_load_dword v107, off, s[0:3], 0 offset:404
	v_cmp_eq_u32_e64 s[4:5], 51, v0
	s_waitcnt vmcnt(0)
	ds_write_b64 v108, v[106:107]
	s_waitcnt lgkmcnt(0)
	; wave barrier
	s_waitcnt lgkmcnt(0)
	s_and_saveexec_b64 s[6:7], s[4:5]
	s_cbranch_execz .LBB115_10
; %bb.5:
	s_and_b64 vcc, exec, s[8:9]
	s_cbranch_vccz .LBB115_7
; %bb.6:
	buffer_load_dword v106, v109, s[0:3], 0 offen
	buffer_load_dword v107, v109, s[0:3], 0 offen offset:4
	ds_read_b64 v[110:111], v108
	s_waitcnt vmcnt(0) lgkmcnt(0)
	v_mul_f64 v[106:107], v[106:107], v[110:111]
	s_cbranch_execz .LBB115_8
	s_branch .LBB115_9
.LBB115_7:
                                        ; implicit-def: $vgpr106_vgpr107
.LBB115_8:
	ds_read_b64 v[106:107], v108
.LBB115_9:
	v_mov_b32_e32 v110, 0
	ds_read_b64 v[110:111], v110 offset:400
	s_waitcnt lgkmcnt(0)
	v_mul_f64 v[106:107], v[106:107], v[110:111]
	buffer_store_dword v107, off, s[0:3], 0 offset:404
	buffer_store_dword v106, off, s[0:3], 0 offset:400
.LBB115_10:
	s_or_b64 exec, exec, s[6:7]
	buffer_load_dword v106, off, s[0:3], 0 offset:392
	buffer_load_dword v107, off, s[0:3], 0 offset:396
	v_or_b32_e32 v110, 8, v158
	v_add_u32_e32 v111, 16, v158
	v_add_u32_e32 v112, 24, v158
	;; [unrolled: 1-line block ×48, first 2 shown]
	v_cmp_lt_u32_e64 s[6:7], 49, v0
	s_waitcnt vmcnt(0)
	ds_write_b64 v108, v[106:107]
	s_waitcnt lgkmcnt(0)
	; wave barrier
	s_waitcnt lgkmcnt(0)
	s_and_saveexec_b64 s[10:11], s[6:7]
	s_cbranch_execz .LBB115_16
; %bb.11:
	s_andn2_b64 vcc, exec, s[8:9]
	s_cbranch_vccnz .LBB115_13
; %bb.12:
	buffer_load_dword v106, v109, s[0:3], 0 offen
	buffer_load_dword v107, v109, s[0:3], 0 offen offset:4
	ds_read_b64 v[160:161], v108
	s_waitcnt vmcnt(0) lgkmcnt(0)
	v_mul_f64 v[106:107], v[106:107], v[160:161]
	s_cbranch_execz .LBB115_14
	s_branch .LBB115_15
.LBB115_13:
                                        ; implicit-def: $vgpr106_vgpr107
.LBB115_14:
	ds_read_b64 v[106:107], v108
.LBB115_15:
	buffer_load_dword v164, off, s[0:3], 0 offset:400
	buffer_load_dword v165, off, s[0:3], 0 offset:404
	v_mov_b32_e32 v159, 0
	ds_read2_b64 v[160:163], v159 offset0:49 offset1:102
	s_waitcnt vmcnt(0) lgkmcnt(0)
	v_fma_f64 v[162:163], v[164:165], v[162:163], v[106:107]
	v_cndmask_b32_e64 v107, v107, v163, s[4:5]
	v_cndmask_b32_e64 v106, v106, v162, s[4:5]
	v_mul_f64 v[106:107], v[106:107], v[160:161]
	buffer_store_dword v107, off, s[0:3], 0 offset:396
	buffer_store_dword v106, off, s[0:3], 0 offset:392
.LBB115_16:
	s_or_b64 exec, exec, s[10:11]
	buffer_load_dword v106, off, s[0:3], 0 offset:384
	buffer_load_dword v107, off, s[0:3], 0 offset:388
	v_cmp_lt_u32_e64 s[4:5], 48, v0
	s_waitcnt vmcnt(0)
	ds_write_b64 v108, v[106:107]
	s_waitcnt lgkmcnt(0)
	; wave barrier
	s_waitcnt lgkmcnt(0)
	s_and_saveexec_b64 s[10:11], s[4:5]
	s_cbranch_execz .LBB115_26
; %bb.17:
	s_andn2_b64 vcc, exec, s[8:9]
	s_cbranch_vccnz .LBB115_19
; %bb.18:
	buffer_load_dword v106, v109, s[0:3], 0 offen
	buffer_load_dword v107, v109, s[0:3], 0 offen offset:4
	ds_read_b64 v[160:161], v108
	s_waitcnt vmcnt(0) lgkmcnt(0)
	v_mul_f64 v[106:107], v[106:107], v[160:161]
	s_cbranch_execz .LBB115_20
	s_branch .LBB115_21
.LBB115_19:
                                        ; implicit-def: $vgpr106_vgpr107
.LBB115_20:
	ds_read_b64 v[106:107], v108
.LBB115_21:
	s_and_saveexec_b64 s[12:13], s[6:7]
	s_cbranch_execz .LBB115_25
; %bb.22:
	v_subrev_u32_e32 v159, 49, v0
	s_movk_i32 s14, 0x328
	s_mov_b64 s[6:7], 0
.LBB115_23:                             ; =>This Inner Loop Header: Depth=1
	buffer_load_dword v160, v158, s[0:3], 0 offen
	buffer_load_dword v161, v158, s[0:3], 0 offen offset:4
	v_mov_b32_e32 v162, s14
	ds_read_b64 v[162:163], v162
	v_add_u32_e32 v159, -1, v159
	s_add_i32 s14, s14, 8
	v_cmp_eq_u32_e32 vcc, 0, v159
	v_add_u32_e32 v158, 8, v158
	s_or_b64 s[6:7], vcc, s[6:7]
	s_waitcnt vmcnt(0) lgkmcnt(0)
	v_fmac_f64_e32 v[106:107], v[160:161], v[162:163]
	s_andn2_b64 exec, exec, s[6:7]
	s_cbranch_execnz .LBB115_23
; %bb.24:
	s_or_b64 exec, exec, s[6:7]
.LBB115_25:
	s_or_b64 exec, exec, s[12:13]
	v_mov_b32_e32 v158, 0
	ds_read_b64 v[158:159], v158 offset:384
	s_waitcnt lgkmcnt(0)
	v_mul_f64 v[106:107], v[106:107], v[158:159]
	buffer_store_dword v107, off, s[0:3], 0 offset:388
	buffer_store_dword v106, off, s[0:3], 0 offset:384
.LBB115_26:
	s_or_b64 exec, exec, s[10:11]
	buffer_load_dword v106, off, s[0:3], 0 offset:376
	buffer_load_dword v107, off, s[0:3], 0 offset:380
	v_cmp_lt_u32_e64 s[6:7], 47, v0
	s_waitcnt vmcnt(0)
	ds_write_b64 v108, v[106:107]
	s_waitcnt lgkmcnt(0)
	; wave barrier
	s_waitcnt lgkmcnt(0)
	s_and_saveexec_b64 s[10:11], s[6:7]
	s_cbranch_execz .LBB115_36
; %bb.27:
	s_andn2_b64 vcc, exec, s[8:9]
	s_cbranch_vccnz .LBB115_29
; %bb.28:
	buffer_load_dword v106, v109, s[0:3], 0 offen
	buffer_load_dword v107, v109, s[0:3], 0 offen offset:4
	ds_read_b64 v[158:159], v108
	s_waitcnt vmcnt(0) lgkmcnt(0)
	v_mul_f64 v[106:107], v[106:107], v[158:159]
	s_cbranch_execz .LBB115_30
	s_branch .LBB115_31
.LBB115_29:
                                        ; implicit-def: $vgpr106_vgpr107
.LBB115_30:
	ds_read_b64 v[106:107], v108
.LBB115_31:
	s_and_saveexec_b64 s[12:13], s[4:5]
	s_cbranch_execz .LBB115_35
; %bb.32:
	v_subrev_u32_e32 v158, 48, v0
	s_movk_i32 s14, 0x320
	s_mov_b64 s[4:5], 0
.LBB115_33:                             ; =>This Inner Loop Header: Depth=1
	buffer_load_dword v160, v157, s[0:3], 0 offen
	buffer_load_dword v161, v157, s[0:3], 0 offen offset:4
	v_mov_b32_e32 v159, s14
	ds_read_b64 v[162:163], v159
	v_add_u32_e32 v158, -1, v158
	s_add_i32 s14, s14, 8
	v_cmp_eq_u32_e32 vcc, 0, v158
	v_add_u32_e32 v157, 8, v157
	s_or_b64 s[4:5], vcc, s[4:5]
	s_waitcnt vmcnt(0) lgkmcnt(0)
	v_fmac_f64_e32 v[106:107], v[160:161], v[162:163]
	s_andn2_b64 exec, exec, s[4:5]
	s_cbranch_execnz .LBB115_33
; %bb.34:
	s_or_b64 exec, exec, s[4:5]
.LBB115_35:
	s_or_b64 exec, exec, s[12:13]
	v_mov_b32_e32 v157, 0
	ds_read_b64 v[158:159], v157 offset:376
	s_waitcnt lgkmcnt(0)
	v_mul_f64 v[106:107], v[106:107], v[158:159]
	buffer_store_dword v107, off, s[0:3], 0 offset:380
	buffer_store_dword v106, off, s[0:3], 0 offset:376
.LBB115_36:
	;; [unrolled: 58-line block ×8, first 2 shown]
	s_or_b64 exec, exec, s[10:11]
	buffer_load_dword v106, off, s[0:3], 0 offset:320
	buffer_load_dword v107, off, s[0:3], 0 offset:324
	v_cmp_lt_u32_e64 s[4:5], 40, v0
	s_waitcnt vmcnt(0)
	ds_write_b64 v108, v[106:107]
	s_waitcnt lgkmcnt(0)
	; wave barrier
	s_waitcnt lgkmcnt(0)
	s_and_saveexec_b64 s[10:11], s[4:5]
	s_cbranch_execz .LBB115_106
; %bb.97:
	s_andn2_b64 vcc, exec, s[8:9]
	s_cbranch_vccnz .LBB115_99
; %bb.98:
	buffer_load_dword v106, v109, s[0:3], 0 offen
	buffer_load_dword v107, v109, s[0:3], 0 offen offset:4
	ds_read_b64 v[152:153], v108
	s_waitcnt vmcnt(0) lgkmcnt(0)
	v_mul_f64 v[106:107], v[106:107], v[152:153]
	s_cbranch_execz .LBB115_100
	s_branch .LBB115_101
.LBB115_99:
                                        ; implicit-def: $vgpr106_vgpr107
.LBB115_100:
	ds_read_b64 v[106:107], v108
.LBB115_101:
	s_and_saveexec_b64 s[12:13], s[6:7]
	s_cbranch_execz .LBB115_105
; %bb.102:
	v_subrev_u32_e32 v151, 41, v0
	s_movk_i32 s14, 0x2e8
	s_mov_b64 s[6:7], 0
.LBB115_103:                            ; =>This Inner Loop Header: Depth=1
	buffer_load_dword v152, v150, s[0:3], 0 offen
	buffer_load_dword v153, v150, s[0:3], 0 offen offset:4
	v_mov_b32_e32 v154, s14
	ds_read_b64 v[154:155], v154
	v_add_u32_e32 v151, -1, v151
	s_add_i32 s14, s14, 8
	v_cmp_eq_u32_e32 vcc, 0, v151
	v_add_u32_e32 v150, 8, v150
	s_or_b64 s[6:7], vcc, s[6:7]
	s_waitcnt vmcnt(0) lgkmcnt(0)
	v_fmac_f64_e32 v[106:107], v[152:153], v[154:155]
	s_andn2_b64 exec, exec, s[6:7]
	s_cbranch_execnz .LBB115_103
; %bb.104:
	s_or_b64 exec, exec, s[6:7]
.LBB115_105:
	s_or_b64 exec, exec, s[12:13]
	v_mov_b32_e32 v150, 0
	ds_read_b64 v[150:151], v150 offset:320
	s_waitcnt lgkmcnt(0)
	v_mul_f64 v[106:107], v[106:107], v[150:151]
	buffer_store_dword v107, off, s[0:3], 0 offset:324
	buffer_store_dword v106, off, s[0:3], 0 offset:320
.LBB115_106:
	s_or_b64 exec, exec, s[10:11]
	buffer_load_dword v106, off, s[0:3], 0 offset:312
	buffer_load_dword v107, off, s[0:3], 0 offset:316
	v_cmp_lt_u32_e64 s[6:7], 39, v0
	s_waitcnt vmcnt(0)
	ds_write_b64 v108, v[106:107]
	s_waitcnt lgkmcnt(0)
	; wave barrier
	s_waitcnt lgkmcnt(0)
	s_and_saveexec_b64 s[10:11], s[6:7]
	s_cbranch_execz .LBB115_116
; %bb.107:
	s_andn2_b64 vcc, exec, s[8:9]
	s_cbranch_vccnz .LBB115_109
; %bb.108:
	buffer_load_dword v106, v109, s[0:3], 0 offen
	buffer_load_dword v107, v109, s[0:3], 0 offen offset:4
	ds_read_b64 v[150:151], v108
	s_waitcnt vmcnt(0) lgkmcnt(0)
	v_mul_f64 v[106:107], v[106:107], v[150:151]
	s_cbranch_execz .LBB115_110
	s_branch .LBB115_111
.LBB115_109:
                                        ; implicit-def: $vgpr106_vgpr107
.LBB115_110:
	ds_read_b64 v[106:107], v108
.LBB115_111:
	s_and_saveexec_b64 s[12:13], s[4:5]
	s_cbranch_execz .LBB115_115
; %bb.112:
	v_subrev_u32_e32 v150, 40, v0
	s_movk_i32 s14, 0x2e0
	s_mov_b64 s[4:5], 0
.LBB115_113:                            ; =>This Inner Loop Header: Depth=1
	buffer_load_dword v152, v149, s[0:3], 0 offen
	buffer_load_dword v153, v149, s[0:3], 0 offen offset:4
	v_mov_b32_e32 v151, s14
	ds_read_b64 v[154:155], v151
	v_add_u32_e32 v150, -1, v150
	s_add_i32 s14, s14, 8
	v_cmp_eq_u32_e32 vcc, 0, v150
	v_add_u32_e32 v149, 8, v149
	s_or_b64 s[4:5], vcc, s[4:5]
	s_waitcnt vmcnt(0) lgkmcnt(0)
	v_fmac_f64_e32 v[106:107], v[152:153], v[154:155]
	s_andn2_b64 exec, exec, s[4:5]
	s_cbranch_execnz .LBB115_113
; %bb.114:
	s_or_b64 exec, exec, s[4:5]
.LBB115_115:
	s_or_b64 exec, exec, s[12:13]
	v_mov_b32_e32 v149, 0
	ds_read_b64 v[150:151], v149 offset:312
	s_waitcnt lgkmcnt(0)
	v_mul_f64 v[106:107], v[106:107], v[150:151]
	buffer_store_dword v107, off, s[0:3], 0 offset:316
	buffer_store_dword v106, off, s[0:3], 0 offset:312
.LBB115_116:
	;; [unrolled: 58-line block ×25, first 2 shown]
	s_or_b64 exec, exec, s[10:11]
	buffer_load_dword v106, off, s[0:3], 0 offset:120
	buffer_load_dword v107, off, s[0:3], 0 offset:124
	v_cmp_lt_u32_e64 s[6:7], 15, v0
	s_waitcnt vmcnt(0)
	ds_write_b64 v108, v[106:107]
	s_waitcnt lgkmcnt(0)
	; wave barrier
	s_waitcnt lgkmcnt(0)
	s_and_saveexec_b64 s[10:11], s[6:7]
	s_cbranch_execz .LBB115_356
; %bb.347:
	s_andn2_b64 vcc, exec, s[8:9]
	s_cbranch_vccnz .LBB115_349
; %bb.348:
	buffer_load_dword v106, v109, s[0:3], 0 offen
	buffer_load_dword v107, v109, s[0:3], 0 offen offset:4
	ds_read_b64 v[126:127], v108
	s_waitcnt vmcnt(0) lgkmcnt(0)
	v_mul_f64 v[106:107], v[106:107], v[126:127]
	s_cbranch_execz .LBB115_350
	s_branch .LBB115_351
.LBB115_349:
                                        ; implicit-def: $vgpr106_vgpr107
.LBB115_350:
	ds_read_b64 v[106:107], v108
.LBB115_351:
	s_and_saveexec_b64 s[12:13], s[4:5]
	s_cbranch_execz .LBB115_355
; %bb.352:
	v_add_u32_e32 v126, -16, v0
	s_movk_i32 s14, 0x220
	s_mov_b64 s[4:5], 0
.LBB115_353:                            ; =>This Inner Loop Header: Depth=1
	buffer_load_dword v128, v125, s[0:3], 0 offen
	buffer_load_dword v129, v125, s[0:3], 0 offen offset:4
	v_mov_b32_e32 v127, s14
	ds_read_b64 v[130:131], v127
	v_add_u32_e32 v126, -1, v126
	s_add_i32 s14, s14, 8
	v_cmp_eq_u32_e32 vcc, 0, v126
	v_add_u32_e32 v125, 8, v125
	s_or_b64 s[4:5], vcc, s[4:5]
	s_waitcnt vmcnt(0) lgkmcnt(0)
	v_fmac_f64_e32 v[106:107], v[128:129], v[130:131]
	s_andn2_b64 exec, exec, s[4:5]
	s_cbranch_execnz .LBB115_353
; %bb.354:
	s_or_b64 exec, exec, s[4:5]
.LBB115_355:
	s_or_b64 exec, exec, s[12:13]
	v_mov_b32_e32 v125, 0
	ds_read_b64 v[126:127], v125 offset:120
	s_waitcnt lgkmcnt(0)
	v_mul_f64 v[106:107], v[106:107], v[126:127]
	buffer_store_dword v107, off, s[0:3], 0 offset:124
	buffer_store_dword v106, off, s[0:3], 0 offset:120
.LBB115_356:
	s_or_b64 exec, exec, s[10:11]
	buffer_load_dword v106, off, s[0:3], 0 offset:112
	buffer_load_dword v107, off, s[0:3], 0 offset:116
	v_cmp_lt_u32_e64 s[4:5], 14, v0
	s_waitcnt vmcnt(0)
	ds_write_b64 v108, v[106:107]
	s_waitcnt lgkmcnt(0)
	; wave barrier
	s_waitcnt lgkmcnt(0)
	s_and_saveexec_b64 s[10:11], s[4:5]
	s_cbranch_execz .LBB115_366
; %bb.357:
	s_andn2_b64 vcc, exec, s[8:9]
	s_cbranch_vccnz .LBB115_359
; %bb.358:
	buffer_load_dword v106, v109, s[0:3], 0 offen
	buffer_load_dword v107, v109, s[0:3], 0 offen offset:4
	ds_read_b64 v[126:127], v108
	s_waitcnt vmcnt(0) lgkmcnt(0)
	v_mul_f64 v[106:107], v[106:107], v[126:127]
	s_cbranch_execz .LBB115_360
	s_branch .LBB115_361
.LBB115_359:
                                        ; implicit-def: $vgpr106_vgpr107
.LBB115_360:
	ds_read_b64 v[106:107], v108
.LBB115_361:
	s_and_saveexec_b64 s[12:13], s[6:7]
	s_cbranch_execz .LBB115_365
; %bb.362:
	v_add_u32_e32 v125, -15, v0
	s_movk_i32 s14, 0x218
	s_mov_b64 s[6:7], 0
.LBB115_363:                            ; =>This Inner Loop Header: Depth=1
	buffer_load_dword v126, v124, s[0:3], 0 offen
	buffer_load_dword v127, v124, s[0:3], 0 offen offset:4
	v_mov_b32_e32 v128, s14
	ds_read_b64 v[128:129], v128
	v_add_u32_e32 v125, -1, v125
	s_add_i32 s14, s14, 8
	v_cmp_eq_u32_e32 vcc, 0, v125
	v_add_u32_e32 v124, 8, v124
	s_or_b64 s[6:7], vcc, s[6:7]
	s_waitcnt vmcnt(0) lgkmcnt(0)
	v_fmac_f64_e32 v[106:107], v[126:127], v[128:129]
	s_andn2_b64 exec, exec, s[6:7]
	s_cbranch_execnz .LBB115_363
; %bb.364:
	s_or_b64 exec, exec, s[6:7]
.LBB115_365:
	s_or_b64 exec, exec, s[12:13]
	v_mov_b32_e32 v124, 0
	ds_read_b64 v[124:125], v124 offset:112
	s_waitcnt lgkmcnt(0)
	v_mul_f64 v[106:107], v[106:107], v[124:125]
	buffer_store_dword v107, off, s[0:3], 0 offset:116
	buffer_store_dword v106, off, s[0:3], 0 offset:112
.LBB115_366:
	;; [unrolled: 58-line block ×15, first 2 shown]
	s_or_b64 exec, exec, s[10:11]
	buffer_load_dword v106, off, s[0:3], 0
	buffer_load_dword v107, off, s[0:3], 0 offset:4
	v_cmp_ne_u32_e32 vcc, 0, v0
	s_waitcnt vmcnt(0)
	ds_write_b64 v108, v[106:107]
	s_waitcnt lgkmcnt(0)
	; wave barrier
	s_waitcnt lgkmcnt(0)
	s_and_saveexec_b64 s[4:5], vcc
	s_cbranch_execz .LBB115_506
; %bb.497:
	s_andn2_b64 vcc, exec, s[8:9]
	s_cbranch_vccnz .LBB115_499
; %bb.498:
	buffer_load_dword v106, v109, s[0:3], 0 offen
	buffer_load_dword v107, v109, s[0:3], 0 offen offset:4
	ds_read_b64 v[112:113], v108
	s_waitcnt vmcnt(0) lgkmcnt(0)
	v_mul_f64 v[106:107], v[106:107], v[112:113]
	s_cbranch_execz .LBB115_500
	s_branch .LBB115_501
.LBB115_499:
                                        ; implicit-def: $vgpr106_vgpr107
.LBB115_500:
	ds_read_b64 v[106:107], v108
.LBB115_501:
	s_and_saveexec_b64 s[10:11], s[6:7]
	s_cbranch_execz .LBB115_505
; %bb.502:
	v_add_u32_e32 v111, -1, v0
	s_movk_i32 s12, 0x1a8
	s_mov_b64 s[6:7], 0
.LBB115_503:                            ; =>This Inner Loop Header: Depth=1
	buffer_load_dword v112, v110, s[0:3], 0 offen
	buffer_load_dword v113, v110, s[0:3], 0 offen offset:4
	v_mov_b32_e32 v114, s12
	ds_read_b64 v[114:115], v114
	v_add_u32_e32 v111, -1, v111
	s_add_i32 s12, s12, 8
	v_cmp_eq_u32_e32 vcc, 0, v111
	v_add_u32_e32 v110, 8, v110
	s_or_b64 s[6:7], vcc, s[6:7]
	s_waitcnt vmcnt(0) lgkmcnt(0)
	v_fmac_f64_e32 v[106:107], v[112:113], v[114:115]
	s_andn2_b64 exec, exec, s[6:7]
	s_cbranch_execnz .LBB115_503
; %bb.504:
	s_or_b64 exec, exec, s[6:7]
.LBB115_505:
	s_or_b64 exec, exec, s[10:11]
	v_mov_b32_e32 v110, 0
	ds_read_b64 v[110:111], v110
	s_waitcnt lgkmcnt(0)
	v_mul_f64 v[106:107], v[106:107], v[110:111]
	buffer_store_dword v107, off, s[0:3], 0 offset:4
	buffer_store_dword v106, off, s[0:3], 0
.LBB115_506:
	s_or_b64 exec, exec, s[4:5]
	s_mov_b64 s[4:5], 0
.LBB115_507:
	s_and_b64 vcc, exec, s[4:5]
	s_cbranch_vccz .LBB115_1011
; %bb.508:
	buffer_load_dword v106, off, s[0:3], 0 offset:8
	buffer_load_dword v107, off, s[0:3], 0 offset:12
	v_cmp_eq_u32_e64 s[6:7], 0, v0
	s_waitcnt vmcnt(0)
	ds_write_b64 v108, v[106:107]
	s_waitcnt lgkmcnt(0)
	; wave barrier
	s_waitcnt lgkmcnt(0)
	s_and_saveexec_b64 s[4:5], s[6:7]
	s_cbranch_execz .LBB115_514
; %bb.509:
	s_and_b64 vcc, exec, s[8:9]
	s_cbranch_vccz .LBB115_511
; %bb.510:
	buffer_load_dword v106, v109, s[0:3], 0 offen
	buffer_load_dword v107, v109, s[0:3], 0 offen offset:4
	ds_read_b64 v[110:111], v108
	s_waitcnt vmcnt(0) lgkmcnt(0)
	v_mul_f64 v[106:107], v[106:107], v[110:111]
	s_cbranch_execz .LBB115_512
	s_branch .LBB115_513
.LBB115_511:
                                        ; implicit-def: $vgpr106_vgpr107
.LBB115_512:
	ds_read_b64 v[106:107], v108
.LBB115_513:
	v_mov_b32_e32 v110, 0
	ds_read_b64 v[110:111], v110 offset:8
	s_waitcnt lgkmcnt(0)
	v_mul_f64 v[106:107], v[106:107], v[110:111]
	buffer_store_dword v107, off, s[0:3], 0 offset:12
	buffer_store_dword v106, off, s[0:3], 0 offset:8
.LBB115_514:
	s_or_b64 exec, exec, s[4:5]
	buffer_load_dword v106, off, s[0:3], 0 offset:16
	buffer_load_dword v107, off, s[0:3], 0 offset:20
	v_cndmask_b32_e64 v110, 0, 1, s[8:9]
	v_cmp_gt_u32_e32 vcc, 2, v0
	v_cmp_ne_u32_e64 s[4:5], 1, v110
	s_waitcnt vmcnt(0)
	ds_write_b64 v108, v[106:107]
	s_waitcnt lgkmcnt(0)
	; wave barrier
	s_waitcnt lgkmcnt(0)
	s_and_saveexec_b64 s[8:9], vcc
	s_cbranch_execz .LBB115_522
; %bb.515:
	s_and_b64 vcc, exec, s[4:5]
	s_cbranch_vccnz .LBB115_517
; %bb.516:
	buffer_load_dword v106, v109, s[0:3], 0 offen
	buffer_load_dword v107, v109, s[0:3], 0 offen offset:4
	ds_read_b64 v[110:111], v108
	s_waitcnt vmcnt(0) lgkmcnt(0)
	v_mul_f64 v[106:107], v[106:107], v[110:111]
	s_cbranch_execz .LBB115_518
	s_branch .LBB115_519
.LBB115_517:
                                        ; implicit-def: $vgpr106_vgpr107
.LBB115_518:
	ds_read_b64 v[106:107], v108
.LBB115_519:
	s_and_saveexec_b64 s[10:11], s[6:7]
	s_cbranch_execz .LBB115_521
; %bb.520:
	buffer_load_dword v110, v109, s[0:3], 0 offen offset:8
	buffer_load_dword v111, v109, s[0:3], 0 offen offset:12
	ds_read_b64 v[112:113], v108 offset:8
	s_waitcnt vmcnt(0) lgkmcnt(0)
	v_fmac_f64_e32 v[106:107], v[110:111], v[112:113]
.LBB115_521:
	s_or_b64 exec, exec, s[10:11]
	v_mov_b32_e32 v110, 0
	ds_read_b64 v[110:111], v110 offset:16
	s_waitcnt lgkmcnt(0)
	v_mul_f64 v[106:107], v[106:107], v[110:111]
	buffer_store_dword v107, off, s[0:3], 0 offset:20
	buffer_store_dword v106, off, s[0:3], 0 offset:16
.LBB115_522:
	s_or_b64 exec, exec, s[8:9]
	buffer_load_dword v106, off, s[0:3], 0 offset:24
	buffer_load_dword v107, off, s[0:3], 0 offset:28
	v_cmp_gt_u32_e32 vcc, 3, v0
	s_waitcnt vmcnt(0)
	ds_write_b64 v108, v[106:107]
	s_waitcnt lgkmcnt(0)
	; wave barrier
	s_waitcnt lgkmcnt(0)
	s_and_saveexec_b64 s[8:9], vcc
	s_cbranch_execz .LBB115_530
; %bb.523:
	s_and_b64 vcc, exec, s[4:5]
	s_cbranch_vccnz .LBB115_525
; %bb.524:
	buffer_load_dword v106, v109, s[0:3], 0 offen
	buffer_load_dword v107, v109, s[0:3], 0 offen offset:4
	ds_read_b64 v[110:111], v108
	s_waitcnt vmcnt(0) lgkmcnt(0)
	v_mul_f64 v[106:107], v[106:107], v[110:111]
	s_cbranch_execz .LBB115_526
	s_branch .LBB115_527
.LBB115_525:
                                        ; implicit-def: $vgpr106_vgpr107
.LBB115_526:
	ds_read_b64 v[106:107], v108
.LBB115_527:
	v_cmp_ne_u32_e32 vcc, 2, v0
	s_and_saveexec_b64 s[10:11], vcc
	s_cbranch_execz .LBB115_529
; %bb.528:
	buffer_load_dword v111, v109, s[0:3], 0 offen offset:12
	buffer_load_dword v112, off, s[0:3], 0 offset:16
	buffer_load_dword v110, v109, s[0:3], 0 offen offset:8
	buffer_load_dword v113, off, s[0:3], 0 offset:20
	v_mov_b32_e32 v116, 0
	ds_read_b64 v[114:115], v108 offset:8
	ds_read_b64 v[116:117], v116 offset:432
	s_waitcnt vmcnt(1) lgkmcnt(1)
	v_fmac_f64_e32 v[106:107], v[110:111], v[114:115]
	s_waitcnt vmcnt(0) lgkmcnt(0)
	v_fma_f64 v[110:111], v[112:113], v[116:117], v[106:107]
	v_cndmask_b32_e64 v107, v107, v111, s[6:7]
	v_cndmask_b32_e64 v106, v106, v110, s[6:7]
.LBB115_529:
	s_or_b64 exec, exec, s[10:11]
	v_mov_b32_e32 v110, 0
	ds_read_b64 v[110:111], v110 offset:24
	s_waitcnt lgkmcnt(0)
	v_mul_f64 v[106:107], v[106:107], v[110:111]
	buffer_store_dword v107, off, s[0:3], 0 offset:28
	buffer_store_dword v106, off, s[0:3], 0 offset:24
.LBB115_530:
	s_or_b64 exec, exec, s[8:9]
	buffer_load_dword v106, off, s[0:3], 0 offset:32
	buffer_load_dword v107, off, s[0:3], 0 offset:36
	v_cmp_gt_u32_e32 vcc, 4, v0
	s_waitcnt vmcnt(0)
	ds_write_b64 v108, v[106:107]
	s_waitcnt lgkmcnt(0)
	; wave barrier
	s_waitcnt lgkmcnt(0)
	s_and_saveexec_b64 s[6:7], vcc
	s_cbranch_execz .LBB115_540
; %bb.531:
	s_and_b64 vcc, exec, s[4:5]
	s_cbranch_vccnz .LBB115_533
; %bb.532:
	buffer_load_dword v106, v109, s[0:3], 0 offen
	buffer_load_dword v107, v109, s[0:3], 0 offen offset:4
	ds_read_b64 v[110:111], v108
	s_waitcnt vmcnt(0) lgkmcnt(0)
	v_mul_f64 v[106:107], v[106:107], v[110:111]
	s_cbranch_execz .LBB115_534
	s_branch .LBB115_535
.LBB115_533:
                                        ; implicit-def: $vgpr106_vgpr107
.LBB115_534:
	ds_read_b64 v[106:107], v108
.LBB115_535:
	v_cmp_ne_u32_e32 vcc, 3, v0
	s_and_saveexec_b64 s[8:9], vcc
	s_cbranch_execz .LBB115_539
; %bb.536:
	v_mov_b32_e32 v111, 0
	v_add_u32_e32 v110, 0x1a8, v1
	v_add3_u32 v111, v1, v111, 8
	s_mov_b64 s[10:11], 0
	v_mov_b32_e32 v112, v0
.LBB115_537:                            ; =>This Inner Loop Header: Depth=1
	buffer_load_dword v114, v111, s[0:3], 0 offen
	buffer_load_dword v115, v111, s[0:3], 0 offen offset:4
	ds_read_b64 v[116:117], v110
	v_add_u32_e32 v112, 1, v112
	v_cmp_lt_u32_e32 vcc, 2, v112
	v_add_u32_e32 v110, 8, v110
	v_add_u32_e32 v111, 8, v111
	s_or_b64 s[10:11], vcc, s[10:11]
	s_waitcnt vmcnt(0) lgkmcnt(0)
	v_fmac_f64_e32 v[106:107], v[114:115], v[116:117]
	s_andn2_b64 exec, exec, s[10:11]
	s_cbranch_execnz .LBB115_537
; %bb.538:
	s_or_b64 exec, exec, s[10:11]
.LBB115_539:
	s_or_b64 exec, exec, s[8:9]
	v_mov_b32_e32 v110, 0
	ds_read_b64 v[110:111], v110 offset:32
	s_waitcnt lgkmcnt(0)
	v_mul_f64 v[106:107], v[106:107], v[110:111]
	buffer_store_dword v107, off, s[0:3], 0 offset:36
	buffer_store_dword v106, off, s[0:3], 0 offset:32
.LBB115_540:
	s_or_b64 exec, exec, s[6:7]
	buffer_load_dword v106, off, s[0:3], 0 offset:40
	buffer_load_dword v107, off, s[0:3], 0 offset:44
	v_cmp_gt_u32_e32 vcc, 5, v0
	s_waitcnt vmcnt(0)
	ds_write_b64 v108, v[106:107]
	s_waitcnt lgkmcnt(0)
	; wave barrier
	s_waitcnt lgkmcnt(0)
	s_and_saveexec_b64 s[6:7], vcc
	s_cbranch_execz .LBB115_550
; %bb.541:
	s_and_b64 vcc, exec, s[4:5]
	s_cbranch_vccnz .LBB115_543
; %bb.542:
	buffer_load_dword v106, v109, s[0:3], 0 offen
	buffer_load_dword v107, v109, s[0:3], 0 offen offset:4
	ds_read_b64 v[110:111], v108
	s_waitcnt vmcnt(0) lgkmcnt(0)
	v_mul_f64 v[106:107], v[106:107], v[110:111]
	s_cbranch_execz .LBB115_544
	s_branch .LBB115_545
.LBB115_543:
                                        ; implicit-def: $vgpr106_vgpr107
.LBB115_544:
	ds_read_b64 v[106:107], v108
.LBB115_545:
	v_cmp_ne_u32_e32 vcc, 4, v0
	s_and_saveexec_b64 s[8:9], vcc
	s_cbranch_execz .LBB115_549
; %bb.546:
	v_mov_b32_e32 v111, 0
	v_add_u32_e32 v110, 0x1a8, v1
	v_add3_u32 v111, v1, v111, 8
	s_mov_b64 s[10:11], 0
	v_mov_b32_e32 v112, v0
.LBB115_547:                            ; =>This Inner Loop Header: Depth=1
	buffer_load_dword v114, v111, s[0:3], 0 offen
	buffer_load_dword v115, v111, s[0:3], 0 offen offset:4
	ds_read_b64 v[116:117], v110
	v_add_u32_e32 v112, 1, v112
	v_cmp_lt_u32_e32 vcc, 3, v112
	v_add_u32_e32 v110, 8, v110
	v_add_u32_e32 v111, 8, v111
	s_or_b64 s[10:11], vcc, s[10:11]
	s_waitcnt vmcnt(0) lgkmcnt(0)
	v_fmac_f64_e32 v[106:107], v[114:115], v[116:117]
	s_andn2_b64 exec, exec, s[10:11]
	s_cbranch_execnz .LBB115_547
; %bb.548:
	s_or_b64 exec, exec, s[10:11]
.LBB115_549:
	s_or_b64 exec, exec, s[8:9]
	v_mov_b32_e32 v110, 0
	ds_read_b64 v[110:111], v110 offset:40
	s_waitcnt lgkmcnt(0)
	v_mul_f64 v[106:107], v[106:107], v[110:111]
	buffer_store_dword v107, off, s[0:3], 0 offset:44
	buffer_store_dword v106, off, s[0:3], 0 offset:40
.LBB115_550:
	;; [unrolled: 60-line block ×46, first 2 shown]
	s_or_b64 exec, exec, s[6:7]
	buffer_load_dword v106, off, s[0:3], 0 offset:400
	buffer_load_dword v107, off, s[0:3], 0 offset:404
	v_cmp_gt_u32_e64 s[6:7], 50, v0
	s_waitcnt vmcnt(0)
	ds_write_b64 v108, v[106:107]
	s_waitcnt lgkmcnt(0)
	; wave barrier
	s_waitcnt lgkmcnt(0)
	s_and_saveexec_b64 s[8:9], s[6:7]
	s_cbranch_execz .LBB115_1000
; %bb.991:
	s_and_b64 vcc, exec, s[4:5]
	s_cbranch_vccnz .LBB115_993
; %bb.992:
	buffer_load_dword v106, v109, s[0:3], 0 offen
	buffer_load_dword v107, v109, s[0:3], 0 offen offset:4
	ds_read_b64 v[110:111], v108
	s_waitcnt vmcnt(0) lgkmcnt(0)
	v_mul_f64 v[106:107], v[106:107], v[110:111]
	s_cbranch_execz .LBB115_994
	s_branch .LBB115_995
.LBB115_993:
                                        ; implicit-def: $vgpr106_vgpr107
.LBB115_994:
	ds_read_b64 v[106:107], v108
.LBB115_995:
	v_cmp_ne_u32_e32 vcc, 49, v0
	s_and_saveexec_b64 s[10:11], vcc
	s_cbranch_execz .LBB115_999
; %bb.996:
	v_mov_b32_e32 v111, 0
	v_add_u32_e32 v110, 0x1a8, v1
	v_add3_u32 v111, v1, v111, 8
	s_mov_b64 s[12:13], 0
	v_mov_b32_e32 v112, v0
.LBB115_997:                            ; =>This Inner Loop Header: Depth=1
	buffer_load_dword v114, v111, s[0:3], 0 offen
	buffer_load_dword v115, v111, s[0:3], 0 offen offset:4
	ds_read_b64 v[116:117], v110
	v_add_u32_e32 v112, 1, v112
	v_cmp_lt_u32_e32 vcc, 48, v112
	v_add_u32_e32 v110, 8, v110
	v_add_u32_e32 v111, 8, v111
	s_or_b64 s[12:13], vcc, s[12:13]
	s_waitcnt vmcnt(0) lgkmcnt(0)
	v_fmac_f64_e32 v[106:107], v[114:115], v[116:117]
	s_andn2_b64 exec, exec, s[12:13]
	s_cbranch_execnz .LBB115_997
; %bb.998:
	s_or_b64 exec, exec, s[12:13]
.LBB115_999:
	s_or_b64 exec, exec, s[10:11]
	v_mov_b32_e32 v110, 0
	ds_read_b64 v[110:111], v110 offset:400
	s_waitcnt lgkmcnt(0)
	v_mul_f64 v[106:107], v[106:107], v[110:111]
	buffer_store_dword v107, off, s[0:3], 0 offset:404
	buffer_store_dword v106, off, s[0:3], 0 offset:400
.LBB115_1000:
	s_or_b64 exec, exec, s[8:9]
	buffer_load_dword v106, off, s[0:3], 0 offset:408
	buffer_load_dword v107, off, s[0:3], 0 offset:412
	v_cmp_ne_u32_e32 vcc, 51, v0
	s_waitcnt vmcnt(0)
	ds_write_b64 v108, v[106:107]
	s_waitcnt lgkmcnt(0)
	; wave barrier
	s_waitcnt lgkmcnt(0)
	s_and_saveexec_b64 s[8:9], vcc
	s_cbranch_execz .LBB115_1010
; %bb.1001:
	s_and_b64 vcc, exec, s[4:5]
	s_cbranch_vccnz .LBB115_1003
; %bb.1002:
	buffer_load_dword v106, v109, s[0:3], 0 offen
	buffer_load_dword v107, v109, s[0:3], 0 offen offset:4
	ds_read_b64 v[110:111], v108
	s_waitcnt vmcnt(0) lgkmcnt(0)
	v_mul_f64 v[106:107], v[106:107], v[110:111]
	s_cbranch_execz .LBB115_1004
	s_branch .LBB115_1005
.LBB115_1003:
                                        ; implicit-def: $vgpr106_vgpr107
.LBB115_1004:
	ds_read_b64 v[106:107], v108
.LBB115_1005:
	s_and_saveexec_b64 s[4:5], s[6:7]
	s_cbranch_execz .LBB115_1009
; %bb.1006:
	v_mov_b32_e32 v109, 0
	v_add_u32_e32 v108, 0x1a8, v1
	v_add3_u32 v1, v1, v109, 8
	s_mov_b64 s[6:7], 0
.LBB115_1007:                           ; =>This Inner Loop Header: Depth=1
	buffer_load_dword v110, v1, s[0:3], 0 offen
	buffer_load_dword v111, v1, s[0:3], 0 offen offset:4
	ds_read_b64 v[112:113], v108
	v_add_u32_e32 v0, 1, v0
	v_cmp_lt_u32_e32 vcc, 49, v0
	v_add_u32_e32 v108, 8, v108
	v_add_u32_e32 v1, 8, v1
	s_or_b64 s[6:7], vcc, s[6:7]
	s_waitcnt vmcnt(0) lgkmcnt(0)
	v_fmac_f64_e32 v[106:107], v[110:111], v[112:113]
	s_andn2_b64 exec, exec, s[6:7]
	s_cbranch_execnz .LBB115_1007
; %bb.1008:
	s_or_b64 exec, exec, s[6:7]
.LBB115_1009:
	s_or_b64 exec, exec, s[4:5]
	v_mov_b32_e32 v0, 0
	ds_read_b64 v[0:1], v0 offset:408
	s_waitcnt lgkmcnt(0)
	v_mul_f64 v[0:1], v[106:107], v[0:1]
	buffer_store_dword v1, off, s[0:3], 0 offset:412
	buffer_store_dword v0, off, s[0:3], 0 offset:408
.LBB115_1010:
	s_or_b64 exec, exec, s[8:9]
.LBB115_1011:
	buffer_load_dword v0, off, s[0:3], 0
	buffer_load_dword v1, off, s[0:3], 0 offset:4
	buffer_load_dword v106, off, s[0:3], 0 offset:8
	;; [unrolled: 1-line block ×15, first 2 shown]
	s_waitcnt vmcnt(14)
	global_store_dwordx2 v[102:103], v[0:1], off
	s_waitcnt vmcnt(13)
	global_store_dwordx2 v[104:105], v[106:107], off
	;; [unrolled: 2-line block ×8, first 2 shown]
	buffer_load_dword v1, off, s[0:3], 0 offset:68
	buffer_load_dword v0, off, s[0:3], 0 offset:64
	s_waitcnt vmcnt(0)
	global_store_dwordx2 v[20:21], v[0:1], off
	buffer_load_dword v0, off, s[0:3], 0 offset:72
	s_nop 0
	buffer_load_dword v1, off, s[0:3], 0 offset:76
	s_waitcnt vmcnt(0)
	global_store_dwordx2 v[12:13], v[0:1], off
	buffer_load_dword v0, off, s[0:3], 0 offset:80
	s_nop 0
	;; [unrolled: 5-line block ×43, first 2 shown]
	buffer_load_dword v1, off, s[0:3], 0 offset:412
	s_waitcnt vmcnt(0)
	global_store_dwordx2 v[88:89], v[0:1], off
.LBB115_1012:
	s_endpgm
	.section	.rodata,"a",@progbits
	.p2align	6, 0x0
	.amdhsa_kernel _ZN9rocsolver6v33100L18trti2_kernel_smallILi52EdPKPdEEv13rocblas_fill_17rocblas_diagonal_T1_iil
		.amdhsa_group_segment_fixed_size 832
		.amdhsa_private_segment_fixed_size 432
		.amdhsa_kernarg_size 32
		.amdhsa_user_sgpr_count 8
		.amdhsa_user_sgpr_private_segment_buffer 1
		.amdhsa_user_sgpr_dispatch_ptr 0
		.amdhsa_user_sgpr_queue_ptr 0
		.amdhsa_user_sgpr_kernarg_segment_ptr 1
		.amdhsa_user_sgpr_dispatch_id 0
		.amdhsa_user_sgpr_flat_scratch_init 1
		.amdhsa_user_sgpr_kernarg_preload_length 0
		.amdhsa_user_sgpr_kernarg_preload_offset 0
		.amdhsa_user_sgpr_private_segment_size 0
		.amdhsa_uses_dynamic_stack 0
		.amdhsa_system_sgpr_private_segment_wavefront_offset 1
		.amdhsa_system_sgpr_workgroup_id_x 1
		.amdhsa_system_sgpr_workgroup_id_y 0
		.amdhsa_system_sgpr_workgroup_id_z 0
		.amdhsa_system_sgpr_workgroup_info 0
		.amdhsa_system_vgpr_workitem_id 0
		.amdhsa_next_free_vgpr 166
		.amdhsa_next_free_sgpr 16
		.amdhsa_accum_offset 168
		.amdhsa_reserve_vcc 1
		.amdhsa_reserve_flat_scratch 0
		.amdhsa_float_round_mode_32 0
		.amdhsa_float_round_mode_16_64 0
		.amdhsa_float_denorm_mode_32 3
		.amdhsa_float_denorm_mode_16_64 3
		.amdhsa_dx10_clamp 1
		.amdhsa_ieee_mode 1
		.amdhsa_fp16_overflow 0
		.amdhsa_tg_split 0
		.amdhsa_exception_fp_ieee_invalid_op 0
		.amdhsa_exception_fp_denorm_src 0
		.amdhsa_exception_fp_ieee_div_zero 0
		.amdhsa_exception_fp_ieee_overflow 0
		.amdhsa_exception_fp_ieee_underflow 0
		.amdhsa_exception_fp_ieee_inexact 0
		.amdhsa_exception_int_div_zero 0
	.end_amdhsa_kernel
	.section	.text._ZN9rocsolver6v33100L18trti2_kernel_smallILi52EdPKPdEEv13rocblas_fill_17rocblas_diagonal_T1_iil,"axG",@progbits,_ZN9rocsolver6v33100L18trti2_kernel_smallILi52EdPKPdEEv13rocblas_fill_17rocblas_diagonal_T1_iil,comdat
.Lfunc_end115:
	.size	_ZN9rocsolver6v33100L18trti2_kernel_smallILi52EdPKPdEEv13rocblas_fill_17rocblas_diagonal_T1_iil, .Lfunc_end115-_ZN9rocsolver6v33100L18trti2_kernel_smallILi52EdPKPdEEv13rocblas_fill_17rocblas_diagonal_T1_iil
                                        ; -- End function
	.section	.AMDGPU.csdata,"",@progbits
; Kernel info:
; codeLenInByte = 30584
; NumSgprs: 20
; NumVgprs: 166
; NumAgprs: 0
; TotalNumVgprs: 166
; ScratchSize: 432
; MemoryBound: 0
; FloatMode: 240
; IeeeMode: 1
; LDSByteSize: 832 bytes/workgroup (compile time only)
; SGPRBlocks: 2
; VGPRBlocks: 20
; NumSGPRsForWavesPerEU: 20
; NumVGPRsForWavesPerEU: 166
; AccumOffset: 168
; Occupancy: 3
; WaveLimiterHint : 1
; COMPUTE_PGM_RSRC2:SCRATCH_EN: 1
; COMPUTE_PGM_RSRC2:USER_SGPR: 8
; COMPUTE_PGM_RSRC2:TRAP_HANDLER: 0
; COMPUTE_PGM_RSRC2:TGID_X_EN: 1
; COMPUTE_PGM_RSRC2:TGID_Y_EN: 0
; COMPUTE_PGM_RSRC2:TGID_Z_EN: 0
; COMPUTE_PGM_RSRC2:TIDIG_COMP_CNT: 0
; COMPUTE_PGM_RSRC3_GFX90A:ACCUM_OFFSET: 41
; COMPUTE_PGM_RSRC3_GFX90A:TG_SPLIT: 0
	.section	.text._ZN9rocsolver6v33100L18trti2_kernel_smallILi53EdPKPdEEv13rocblas_fill_17rocblas_diagonal_T1_iil,"axG",@progbits,_ZN9rocsolver6v33100L18trti2_kernel_smallILi53EdPKPdEEv13rocblas_fill_17rocblas_diagonal_T1_iil,comdat
	.globl	_ZN9rocsolver6v33100L18trti2_kernel_smallILi53EdPKPdEEv13rocblas_fill_17rocblas_diagonal_T1_iil ; -- Begin function _ZN9rocsolver6v33100L18trti2_kernel_smallILi53EdPKPdEEv13rocblas_fill_17rocblas_diagonal_T1_iil
	.p2align	8
	.type	_ZN9rocsolver6v33100L18trti2_kernel_smallILi53EdPKPdEEv13rocblas_fill_17rocblas_diagonal_T1_iil,@function
_ZN9rocsolver6v33100L18trti2_kernel_smallILi53EdPKPdEEv13rocblas_fill_17rocblas_diagonal_T1_iil: ; @_ZN9rocsolver6v33100L18trti2_kernel_smallILi53EdPKPdEEv13rocblas_fill_17rocblas_diagonal_T1_iil
; %bb.0:
	s_add_u32 s0, s0, s9
	s_addc_u32 s1, s1, 0
	v_cmp_gt_u32_e32 vcc, 53, v0
	s_and_saveexec_b64 s[6:7], vcc
	s_cbranch_execz .LBB116_1032
; %bb.1:
	s_load_dwordx2 s[6:7], s[4:5], 0x10
	s_load_dwordx4 s[12:15], s[4:5], 0x0
	s_ashr_i32 s9, s8, 31
	s_lshl_b64 s[4:5], s[8:9], 3
	s_waitcnt lgkmcnt(0)
	s_ashr_i32 s9, s6, 31
	s_add_u32 s4, s14, s4
	s_addc_u32 s5, s15, s5
	s_load_dwordx2 s[4:5], s[4:5], 0x0
	s_mov_b32 s8, s6
	s_lshl_b64 s[8:9], s[8:9], 3
	s_waitcnt lgkmcnt(0)
	s_add_u32 s4, s4, s8
	s_addc_u32 s5, s5, s9
	s_add_i32 s6, s7, s7
	v_add_u32_e32 v4, s6, v0
	v_ashrrev_i32_e32 v5, 31, v4
	v_lshlrev_b64 v[2:3], 3, v[4:5]
	v_add_u32_e32 v6, s7, v4
	v_mov_b32_e32 v1, s5
	v_add_co_u32_e32 v2, vcc, s4, v2
	v_ashrrev_i32_e32 v7, 31, v6
	v_addc_co_u32_e32 v3, vcc, v1, v3, vcc
	v_lshlrev_b64 v[4:5], 3, v[6:7]
	v_add_u32_e32 v8, s7, v6
	v_add_co_u32_e32 v4, vcc, s4, v4
	v_ashrrev_i32_e32 v9, 31, v8
	v_addc_co_u32_e32 v5, vcc, v1, v5, vcc
	v_lshlrev_b64 v[6:7], 3, v[8:9]
	v_add_u32_e32 v10, s7, v8
	;; [unrolled: 5-line block ×42, first 2 shown]
	v_add_co_u32_e32 v86, vcc, s4, v86
	v_ashrrev_i32_e32 v91, 31, v90
	v_addc_co_u32_e32 v87, vcc, v1, v87, vcc
	v_lshlrev_b64 v[88:89], 3, v[90:91]
	v_add_co_u32_e32 v88, vcc, s4, v88
	v_add_u32_e32 v92, s7, v90
	v_addc_co_u32_e32 v89, vcc, v1, v89, vcc
	v_ashrrev_i32_e32 v93, 31, v92
	v_lshlrev_b32_e32 v1, 3, v0
	v_lshlrev_b64 v[90:91], 3, v[92:93]
	global_load_dwordx2 v[108:109], v1, s[4:5]
	global_load_dwordx2 v[112:113], v[2:3], off
	global_load_dwordx2 v[114:115], v[4:5], off
	;; [unrolled: 1-line block ×3, first 2 shown]
	v_mov_b32_e32 v93, s5
	v_add_co_u32_e32 v96, vcc, s4, v1
	s_ashr_i32 s9, s7, 31
	s_mov_b32 s8, s7
	v_addc_co_u32_e32 v97, vcc, 0, v93, vcc
	s_lshl_b64 s[8:9], s[8:9], 3
	v_mov_b32_e32 v93, s9
	v_add_co_u32_e32 v100, vcc, s8, v96
	v_addc_co_u32_e32 v101, vcc, v97, v93, vcc
	global_load_dwordx2 v[110:111], v[100:101], off
	global_load_dwordx2 v[122:123], v[12:13], off
	;; [unrolled: 1-line block ×4, first 2 shown]
	v_mov_b32_e32 v94, s5
	v_add_co_u32_e32 v90, vcc, s4, v90
	v_addc_co_u32_e32 v91, vcc, v94, v91, vcc
	v_add_u32_e32 v94, s7, v92
	v_ashrrev_i32_e32 v95, 31, v94
	v_lshlrev_b64 v[92:93], 3, v[94:95]
	v_mov_b32_e32 v98, s5
	v_add_co_u32_e32 v92, vcc, s4, v92
	v_addc_co_u32_e32 v93, vcc, v98, v93, vcc
	v_add_u32_e32 v98, s7, v94
	v_ashrrev_i32_e32 v99, 31, v98
	v_lshlrev_b64 v[94:95], 3, v[98:99]
	global_load_dwordx2 v[124:125], v[14:15], off
	global_load_dwordx2 v[126:127], v[16:17], off
	v_mov_b32_e32 v102, s5
	v_add_co_u32_e32 v94, vcc, s4, v94
	v_addc_co_u32_e32 v95, vcc, v102, v95, vcc
	v_add_u32_e32 v102, s7, v98
	v_ashrrev_i32_e32 v103, 31, v102
	v_lshlrev_b64 v[98:99], 3, v[102:103]
	v_mov_b32_e32 v104, s5
	v_add_co_u32_e32 v98, vcc, s4, v98
	v_addc_co_u32_e32 v99, vcc, v104, v99, vcc
	v_add_u32_e32 v104, s7, v102
	v_ashrrev_i32_e32 v105, 31, v104
	global_load_dwordx2 v[128:129], v[18:19], off
	global_load_dwordx2 v[130:131], v[20:21], off
	global_load_dwordx2 v[132:133], v[22:23], off
	global_load_dwordx2 v[134:135], v[24:25], off
	v_lshlrev_b64 v[102:103], 3, v[104:105]
	v_mov_b32_e32 v106, s5
	v_add_co_u32_e32 v102, vcc, s4, v102
	v_addc_co_u32_e32 v103, vcc, v106, v103, vcc
	v_add_u32_e32 v106, s7, v104
	v_ashrrev_i32_e32 v107, 31, v106
	v_lshlrev_b64 v[104:105], 3, v[106:107]
	v_mov_b32_e32 v146, s5
	v_add_co_u32_e32 v104, vcc, s4, v104
	global_load_dwordx2 v[136:137], v[26:27], off
	global_load_dwordx2 v[138:139], v[28:29], off
	;; [unrolled: 1-line block ×5, first 2 shown]
	v_addc_co_u32_e32 v105, vcc, v146, v105, vcc
	global_load_dwordx2 v[146:147], v[36:37], off
	global_load_dwordx2 v[148:149], v[38:39], off
	global_load_dwordx2 v[150:151], v[40:41], off
	global_load_dwordx2 v[152:153], v[42:43], off
	global_load_dwordx2 v[154:155], v[44:45], off
	global_load_dwordx2 v[156:157], v[46:47], off
	global_load_dwordx2 v[158:159], v[48:49], off
	global_load_dwordx2 v[160:161], v[50:51], off
	v_add_u32_e32 v106, s7, v106
	v_ashrrev_i32_e32 v107, 31, v106
	v_lshlrev_b64 v[106:107], 3, v[106:107]
	v_mov_b32_e32 v162, s5
	v_add_co_u32_e32 v106, vcc, s4, v106
	v_addc_co_u32_e32 v107, vcc, v162, v107, vcc
	global_load_dwordx2 v[162:163], v[52:53], off
	global_load_dwordx2 v[164:165], v[54:55], off
	;; [unrolled: 1-line block ×14, first 2 shown]
	s_cmpk_lg_i32 s13, 0x84
	s_waitcnt vmcnt(40)
	buffer_store_dword v109, off, s[0:3], 0 offset:4
	buffer_store_dword v108, off, s[0:3], 0
	global_load_dwordx2 v[108:109], v[56:57], off
	s_cselect_b64 s[8:9], -1, 0
	s_waitcnt vmcnt(39)
	buffer_store_dword v111, off, s[0:3], 0 offset:12
	buffer_store_dword v110, off, s[0:3], 0 offset:8
	global_load_dwordx2 v[110:111], v[60:61], off
	s_cmpk_eq_i32 s13, 0x84
	buffer_store_dword v113, off, s[0:3], 0 offset:20
	buffer_store_dword v112, off, s[0:3], 0 offset:16
	global_load_dwordx2 v[112:113], v[64:65], off
	s_nop 0
	buffer_store_dword v115, off, s[0:3], 0 offset:28
	buffer_store_dword v114, off, s[0:3], 0 offset:24
	global_load_dwordx2 v[114:115], v[68:69], off
	s_nop 0
	buffer_store_dword v117, off, s[0:3], 0 offset:36
	buffer_store_dword v116, off, s[0:3], 0 offset:32
	global_load_dwordx2 v[116:117], v[72:73], off
	s_waitcnt vmcnt(49)
	buffer_store_dword v119, off, s[0:3], 0 offset:44
	buffer_store_dword v118, off, s[0:3], 0 offset:40
	global_load_dwordx2 v[118:119], v[76:77], off
	s_waitcnt vmcnt(51)
	buffer_store_dword v121, off, s[0:3], 0 offset:52
	buffer_store_dword v120, off, s[0:3], 0 offset:48
	global_load_dwordx2 v[120:121], v[80:81], off
	s_nop 0
	buffer_store_dword v123, off, s[0:3], 0 offset:60
	buffer_store_dword v122, off, s[0:3], 0 offset:56
	global_load_dwordx2 v[122:123], v[84:85], off
	s_waitcnt vmcnt(56)
	buffer_store_dword v125, off, s[0:3], 0 offset:68
	buffer_store_dword v124, off, s[0:3], 0 offset:64
	global_load_dwordx2 v[124:125], v[88:89], off
	s_waitcnt vmcnt(58)
	;; [unrolled: 4-line block ×5, first 2 shown]
	buffer_store_dword v132, off, s[0:3], 0 offset:96
	buffer_store_dword v133, off, s[0:3], 0 offset:100
	;; [unrolled: 1-line block ×6, first 2 shown]
	s_waitcnt vmcnt(62)
	buffer_store_dword v138, off, s[0:3], 0 offset:120
	buffer_store_dword v139, off, s[0:3], 0 offset:124
	;; [unrolled: 1-line block ×12, first 2 shown]
	s_waitcnt vmcnt(62)
	buffer_store_dword v150, off, s[0:3], 0 offset:168
	buffer_store_dword v151, off, s[0:3], 0 offset:172
	;; [unrolled: 1-line block ×16, first 2 shown]
	s_waitcnt vmcnt(62)
	buffer_store_dword v108, off, s[0:3], 0 offset:232
	buffer_store_dword v109, off, s[0:3], 0 offset:236
	;; [unrolled: 1-line block ×8, first 2 shown]
	s_waitcnt vmcnt(62)
	buffer_store_dword v112, off, s[0:3], 0 offset:264
	buffer_store_dword v113, off, s[0:3], 0 offset:268
	;; [unrolled: 1-line block ×12, first 2 shown]
	s_waitcnt vmcnt(62)
	buffer_store_dword v118, off, s[0:3], 0 offset:312
	buffer_store_dword v119, off, s[0:3], 0 offset:316
	;; [unrolled: 1-line block ×16, first 2 shown]
	s_waitcnt vmcnt(62)
	buffer_store_dword v126, off, s[0:3], 0 offset:376
	buffer_store_dword v127, off, s[0:3], 0 offset:380
	;; [unrolled: 1-line block ×12, first 2 shown]
	v_mov_b32_e32 v108, 0
	v_mov_b32_e32 v161, 0
	;; [unrolled: 1-line block ×3, first 2 shown]
	s_cbranch_scc1 .LBB116_3
; %bb.2:
	v_lshl_add_u32 v118, v0, 3, v161
	buffer_load_dword v108, v118, s[0:3], 0 offen
	buffer_load_dword v109, v118, s[0:3], 0 offen offset:4
	s_waitcnt vmcnt(0)
	v_div_scale_f64 v[110:111], s[4:5], v[108:109], v[108:109], 1.0
	v_rcp_f64_e32 v[112:113], v[110:111]
	v_div_scale_f64 v[114:115], vcc, 1.0, v[108:109], 1.0
	v_fma_f64 v[116:117], -v[110:111], v[112:113], 1.0
	v_fmac_f64_e32 v[112:113], v[112:113], v[116:117]
	v_fma_f64 v[116:117], -v[110:111], v[112:113], 1.0
	v_fmac_f64_e32 v[112:113], v[112:113], v[116:117]
	v_mul_f64 v[116:117], v[114:115], v[112:113]
	v_fma_f64 v[110:111], -v[110:111], v[116:117], v[114:115]
	v_div_fmas_f64 v[110:111], v[110:111], v[112:113], v[116:117]
	v_div_fixup_f64 v[108:109], v[110:111], v[108:109], 1.0
	buffer_store_dword v108, v118, s[0:3], 0 offen
	buffer_store_dword v109, v118, s[0:3], 0 offen offset:4
	v_xor_b32_e32 v109, 0x80000000, v109
.LBB116_3:
	s_cmpk_eq_i32 s12, 0x79
	v_add_u32_e32 v110, 0x1b0, v1
	v_add_u32_e32 v111, 0, v1
	s_mov_b64 s[4:5], -1
	ds_write_b64 v1, v[108:109]
	s_cbranch_scc1 .LBB116_517
; %bb.4:
	buffer_load_dword v108, off, s[0:3], 0 offset:408
	buffer_load_dword v109, off, s[0:3], 0 offset:412
	v_cmp_eq_u32_e64 s[4:5], 52, v0
	s_waitcnt vmcnt(0)
	ds_write_b64 v110, v[108:109]
	s_waitcnt lgkmcnt(0)
	; wave barrier
	s_waitcnt lgkmcnt(0)
	s_and_saveexec_b64 s[6:7], s[4:5]
	s_cbranch_execz .LBB116_10
; %bb.5:
	s_and_b64 vcc, exec, s[8:9]
	s_cbranch_vccz .LBB116_7
; %bb.6:
	buffer_load_dword v108, v111, s[0:3], 0 offen
	buffer_load_dword v109, v111, s[0:3], 0 offen offset:4
	ds_read_b64 v[112:113], v110
	s_waitcnt vmcnt(0) lgkmcnt(0)
	v_mul_f64 v[108:109], v[108:109], v[112:113]
	s_cbranch_execz .LBB116_8
	s_branch .LBB116_9
.LBB116_7:
                                        ; implicit-def: $vgpr108_vgpr109
.LBB116_8:
	ds_read_b64 v[108:109], v110
.LBB116_9:
	v_mov_b32_e32 v112, 0
	ds_read_b64 v[112:113], v112 offset:408
	s_waitcnt lgkmcnt(0)
	v_mul_f64 v[108:109], v[108:109], v[112:113]
	buffer_store_dword v109, off, s[0:3], 0 offset:412
	buffer_store_dword v108, off, s[0:3], 0 offset:408
.LBB116_10:
	s_or_b64 exec, exec, s[6:7]
	buffer_load_dword v108, off, s[0:3], 0 offset:400
	buffer_load_dword v109, off, s[0:3], 0 offset:404
	v_or_b32_e32 v112, 8, v161
	v_add_u32_e32 v113, 16, v161
	v_add_u32_e32 v114, 24, v161
	;; [unrolled: 1-line block ×49, first 2 shown]
	v_cmp_lt_u32_e64 s[6:7], 50, v0
	s_waitcnt vmcnt(0)
	ds_write_b64 v110, v[108:109]
	s_waitcnt lgkmcnt(0)
	; wave barrier
	s_waitcnt lgkmcnt(0)
	s_and_saveexec_b64 s[10:11], s[6:7]
	s_cbranch_execz .LBB116_16
; %bb.11:
	s_andn2_b64 vcc, exec, s[8:9]
	s_cbranch_vccnz .LBB116_13
; %bb.12:
	buffer_load_dword v108, v111, s[0:3], 0 offen
	buffer_load_dword v109, v111, s[0:3], 0 offen offset:4
	ds_read_b64 v[162:163], v110
	s_waitcnt vmcnt(0) lgkmcnt(0)
	v_mul_f64 v[108:109], v[108:109], v[162:163]
	s_cbranch_execz .LBB116_14
	s_branch .LBB116_15
.LBB116_13:
                                        ; implicit-def: $vgpr108_vgpr109
.LBB116_14:
	ds_read_b64 v[108:109], v110
.LBB116_15:
	buffer_load_dword v166, off, s[0:3], 0 offset:408
	buffer_load_dword v167, off, s[0:3], 0 offset:412
	v_mov_b32_e32 v162, 0
	ds_read2_b64 v[162:165], v162 offset0:50 offset1:105
	s_waitcnt vmcnt(0) lgkmcnt(0)
	v_fma_f64 v[164:165], v[166:167], v[164:165], v[108:109]
	v_cndmask_b32_e64 v109, v109, v165, s[4:5]
	v_cndmask_b32_e64 v108, v108, v164, s[4:5]
	v_mul_f64 v[108:109], v[108:109], v[162:163]
	buffer_store_dword v109, off, s[0:3], 0 offset:404
	buffer_store_dword v108, off, s[0:3], 0 offset:400
.LBB116_16:
	s_or_b64 exec, exec, s[10:11]
	buffer_load_dword v108, off, s[0:3], 0 offset:392
	buffer_load_dword v109, off, s[0:3], 0 offset:396
	v_cmp_lt_u32_e64 s[4:5], 49, v0
	s_waitcnt vmcnt(0)
	ds_write_b64 v110, v[108:109]
	s_waitcnt lgkmcnt(0)
	; wave barrier
	s_waitcnt lgkmcnt(0)
	s_and_saveexec_b64 s[10:11], s[4:5]
	s_cbranch_execz .LBB116_26
; %bb.17:
	s_andn2_b64 vcc, exec, s[8:9]
	s_cbranch_vccnz .LBB116_19
; %bb.18:
	buffer_load_dword v108, v111, s[0:3], 0 offen
	buffer_load_dword v109, v111, s[0:3], 0 offen offset:4
	ds_read_b64 v[162:163], v110
	s_waitcnt vmcnt(0) lgkmcnt(0)
	v_mul_f64 v[108:109], v[108:109], v[162:163]
	s_cbranch_execz .LBB116_20
	s_branch .LBB116_21
.LBB116_19:
                                        ; implicit-def: $vgpr108_vgpr109
.LBB116_20:
	ds_read_b64 v[108:109], v110
.LBB116_21:
	s_and_saveexec_b64 s[12:13], s[6:7]
	s_cbranch_execz .LBB116_25
; %bb.22:
	v_subrev_u32_e32 v162, 50, v0
	s_movk_i32 s14, 0x340
	s_mov_b64 s[6:7], 0
.LBB116_23:                             ; =>This Inner Loop Header: Depth=1
	buffer_load_dword v164, v161, s[0:3], 0 offen
	buffer_load_dword v165, v161, s[0:3], 0 offen offset:4
	v_mov_b32_e32 v163, s14
	ds_read_b64 v[166:167], v163
	v_add_u32_e32 v162, -1, v162
	s_add_i32 s14, s14, 8
	v_cmp_eq_u32_e32 vcc, 0, v162
	v_add_u32_e32 v161, 8, v161
	s_or_b64 s[6:7], vcc, s[6:7]
	s_waitcnt vmcnt(0) lgkmcnt(0)
	v_fmac_f64_e32 v[108:109], v[164:165], v[166:167]
	s_andn2_b64 exec, exec, s[6:7]
	s_cbranch_execnz .LBB116_23
; %bb.24:
	s_or_b64 exec, exec, s[6:7]
.LBB116_25:
	s_or_b64 exec, exec, s[12:13]
	v_mov_b32_e32 v161, 0
	ds_read_b64 v[162:163], v161 offset:392
	s_waitcnt lgkmcnt(0)
	v_mul_f64 v[108:109], v[108:109], v[162:163]
	buffer_store_dword v109, off, s[0:3], 0 offset:396
	buffer_store_dword v108, off, s[0:3], 0 offset:392
.LBB116_26:
	s_or_b64 exec, exec, s[10:11]
	buffer_load_dword v108, off, s[0:3], 0 offset:384
	buffer_load_dword v109, off, s[0:3], 0 offset:388
	v_cmp_lt_u32_e64 s[6:7], 48, v0
	s_waitcnt vmcnt(0)
	ds_write_b64 v110, v[108:109]
	s_waitcnt lgkmcnt(0)
	; wave barrier
	s_waitcnt lgkmcnt(0)
	s_and_saveexec_b64 s[10:11], s[6:7]
	s_cbranch_execz .LBB116_36
; %bb.27:
	s_andn2_b64 vcc, exec, s[8:9]
	s_cbranch_vccnz .LBB116_29
; %bb.28:
	buffer_load_dword v108, v111, s[0:3], 0 offen
	buffer_load_dword v109, v111, s[0:3], 0 offen offset:4
	ds_read_b64 v[162:163], v110
	s_waitcnt vmcnt(0) lgkmcnt(0)
	v_mul_f64 v[108:109], v[108:109], v[162:163]
	s_cbranch_execz .LBB116_30
	s_branch .LBB116_31
.LBB116_29:
                                        ; implicit-def: $vgpr108_vgpr109
.LBB116_30:
	ds_read_b64 v[108:109], v110
.LBB116_31:
	s_and_saveexec_b64 s[12:13], s[4:5]
	s_cbranch_execz .LBB116_35
; %bb.32:
	v_subrev_u32_e32 v161, 49, v0
	s_movk_i32 s14, 0x338
	s_mov_b64 s[4:5], 0
.LBB116_33:                             ; =>This Inner Loop Header: Depth=1
	buffer_load_dword v162, v160, s[0:3], 0 offen
	buffer_load_dword v163, v160, s[0:3], 0 offen offset:4
	v_mov_b32_e32 v164, s14
	ds_read_b64 v[164:165], v164
	v_add_u32_e32 v161, -1, v161
	s_add_i32 s14, s14, 8
	v_cmp_eq_u32_e32 vcc, 0, v161
	v_add_u32_e32 v160, 8, v160
	s_or_b64 s[4:5], vcc, s[4:5]
	s_waitcnt vmcnt(0) lgkmcnt(0)
	v_fmac_f64_e32 v[108:109], v[162:163], v[164:165]
	s_andn2_b64 exec, exec, s[4:5]
	s_cbranch_execnz .LBB116_33
; %bb.34:
	s_or_b64 exec, exec, s[4:5]
.LBB116_35:
	s_or_b64 exec, exec, s[12:13]
	v_mov_b32_e32 v160, 0
	ds_read_b64 v[160:161], v160 offset:384
	s_waitcnt lgkmcnt(0)
	v_mul_f64 v[108:109], v[108:109], v[160:161]
	buffer_store_dword v109, off, s[0:3], 0 offset:388
	buffer_store_dword v108, off, s[0:3], 0 offset:384
.LBB116_36:
	;; [unrolled: 58-line block ×8, first 2 shown]
	s_or_b64 exec, exec, s[10:11]
	buffer_load_dword v108, off, s[0:3], 0 offset:328
	buffer_load_dword v109, off, s[0:3], 0 offset:332
	v_cmp_lt_u32_e64 s[4:5], 41, v0
	s_waitcnt vmcnt(0)
	ds_write_b64 v110, v[108:109]
	s_waitcnt lgkmcnt(0)
	; wave barrier
	s_waitcnt lgkmcnt(0)
	s_and_saveexec_b64 s[10:11], s[4:5]
	s_cbranch_execz .LBB116_106
; %bb.97:
	s_andn2_b64 vcc, exec, s[8:9]
	s_cbranch_vccnz .LBB116_99
; %bb.98:
	buffer_load_dword v108, v111, s[0:3], 0 offen
	buffer_load_dword v109, v111, s[0:3], 0 offen offset:4
	ds_read_b64 v[154:155], v110
	s_waitcnt vmcnt(0) lgkmcnt(0)
	v_mul_f64 v[108:109], v[108:109], v[154:155]
	s_cbranch_execz .LBB116_100
	s_branch .LBB116_101
.LBB116_99:
                                        ; implicit-def: $vgpr108_vgpr109
.LBB116_100:
	ds_read_b64 v[108:109], v110
.LBB116_101:
	s_and_saveexec_b64 s[12:13], s[6:7]
	s_cbranch_execz .LBB116_105
; %bb.102:
	v_subrev_u32_e32 v154, 42, v0
	s_movk_i32 s14, 0x300
	s_mov_b64 s[6:7], 0
.LBB116_103:                            ; =>This Inner Loop Header: Depth=1
	buffer_load_dword v156, v153, s[0:3], 0 offen
	buffer_load_dword v157, v153, s[0:3], 0 offen offset:4
	v_mov_b32_e32 v155, s14
	ds_read_b64 v[158:159], v155
	v_add_u32_e32 v154, -1, v154
	s_add_i32 s14, s14, 8
	v_cmp_eq_u32_e32 vcc, 0, v154
	v_add_u32_e32 v153, 8, v153
	s_or_b64 s[6:7], vcc, s[6:7]
	s_waitcnt vmcnt(0) lgkmcnt(0)
	v_fmac_f64_e32 v[108:109], v[156:157], v[158:159]
	s_andn2_b64 exec, exec, s[6:7]
	s_cbranch_execnz .LBB116_103
; %bb.104:
	s_or_b64 exec, exec, s[6:7]
.LBB116_105:
	s_or_b64 exec, exec, s[12:13]
	v_mov_b32_e32 v153, 0
	ds_read_b64 v[154:155], v153 offset:328
	s_waitcnt lgkmcnt(0)
	v_mul_f64 v[108:109], v[108:109], v[154:155]
	buffer_store_dword v109, off, s[0:3], 0 offset:332
	buffer_store_dword v108, off, s[0:3], 0 offset:328
.LBB116_106:
	s_or_b64 exec, exec, s[10:11]
	buffer_load_dword v108, off, s[0:3], 0 offset:320
	buffer_load_dword v109, off, s[0:3], 0 offset:324
	v_cmp_lt_u32_e64 s[6:7], 40, v0
	s_waitcnt vmcnt(0)
	ds_write_b64 v110, v[108:109]
	s_waitcnt lgkmcnt(0)
	; wave barrier
	s_waitcnt lgkmcnt(0)
	s_and_saveexec_b64 s[10:11], s[6:7]
	s_cbranch_execz .LBB116_116
; %bb.107:
	s_andn2_b64 vcc, exec, s[8:9]
	s_cbranch_vccnz .LBB116_109
; %bb.108:
	buffer_load_dword v108, v111, s[0:3], 0 offen
	buffer_load_dword v109, v111, s[0:3], 0 offen offset:4
	ds_read_b64 v[154:155], v110
	s_waitcnt vmcnt(0) lgkmcnt(0)
	v_mul_f64 v[108:109], v[108:109], v[154:155]
	s_cbranch_execz .LBB116_110
	s_branch .LBB116_111
.LBB116_109:
                                        ; implicit-def: $vgpr108_vgpr109
.LBB116_110:
	ds_read_b64 v[108:109], v110
.LBB116_111:
	s_and_saveexec_b64 s[12:13], s[4:5]
	s_cbranch_execz .LBB116_115
; %bb.112:
	v_subrev_u32_e32 v153, 41, v0
	s_movk_i32 s14, 0x2f8
	s_mov_b64 s[4:5], 0
.LBB116_113:                            ; =>This Inner Loop Header: Depth=1
	buffer_load_dword v154, v152, s[0:3], 0 offen
	buffer_load_dword v155, v152, s[0:3], 0 offen offset:4
	v_mov_b32_e32 v156, s14
	ds_read_b64 v[156:157], v156
	v_add_u32_e32 v153, -1, v153
	s_add_i32 s14, s14, 8
	v_cmp_eq_u32_e32 vcc, 0, v153
	v_add_u32_e32 v152, 8, v152
	s_or_b64 s[4:5], vcc, s[4:5]
	s_waitcnt vmcnt(0) lgkmcnt(0)
	v_fmac_f64_e32 v[108:109], v[154:155], v[156:157]
	s_andn2_b64 exec, exec, s[4:5]
	s_cbranch_execnz .LBB116_113
; %bb.114:
	s_or_b64 exec, exec, s[4:5]
.LBB116_115:
	s_or_b64 exec, exec, s[12:13]
	v_mov_b32_e32 v152, 0
	ds_read_b64 v[152:153], v152 offset:320
	s_waitcnt lgkmcnt(0)
	v_mul_f64 v[108:109], v[108:109], v[152:153]
	buffer_store_dword v109, off, s[0:3], 0 offset:324
	buffer_store_dword v108, off, s[0:3], 0 offset:320
.LBB116_116:
	;; [unrolled: 58-line block ×26, first 2 shown]
	s_or_b64 exec, exec, s[10:11]
	buffer_load_dword v108, off, s[0:3], 0 offset:120
	buffer_load_dword v109, off, s[0:3], 0 offset:124
	v_cmp_lt_u32_e64 s[4:5], 15, v0
	s_waitcnt vmcnt(0)
	ds_write_b64 v110, v[108:109]
	s_waitcnt lgkmcnt(0)
	; wave barrier
	s_waitcnt lgkmcnt(0)
	s_and_saveexec_b64 s[10:11], s[4:5]
	s_cbranch_execz .LBB116_366
; %bb.357:
	s_andn2_b64 vcc, exec, s[8:9]
	s_cbranch_vccnz .LBB116_359
; %bb.358:
	buffer_load_dword v108, v111, s[0:3], 0 offen
	buffer_load_dword v109, v111, s[0:3], 0 offen offset:4
	ds_read_b64 v[128:129], v110
	s_waitcnt vmcnt(0) lgkmcnt(0)
	v_mul_f64 v[108:109], v[108:109], v[128:129]
	s_cbranch_execz .LBB116_360
	s_branch .LBB116_361
.LBB116_359:
                                        ; implicit-def: $vgpr108_vgpr109
.LBB116_360:
	ds_read_b64 v[108:109], v110
.LBB116_361:
	s_and_saveexec_b64 s[12:13], s[6:7]
	s_cbranch_execz .LBB116_365
; %bb.362:
	v_add_u32_e32 v128, -16, v0
	s_movk_i32 s14, 0x230
	s_mov_b64 s[6:7], 0
.LBB116_363:                            ; =>This Inner Loop Header: Depth=1
	buffer_load_dword v130, v127, s[0:3], 0 offen
	buffer_load_dword v131, v127, s[0:3], 0 offen offset:4
	v_mov_b32_e32 v129, s14
	ds_read_b64 v[132:133], v129
	v_add_u32_e32 v128, -1, v128
	s_add_i32 s14, s14, 8
	v_cmp_eq_u32_e32 vcc, 0, v128
	v_add_u32_e32 v127, 8, v127
	s_or_b64 s[6:7], vcc, s[6:7]
	s_waitcnt vmcnt(0) lgkmcnt(0)
	v_fmac_f64_e32 v[108:109], v[130:131], v[132:133]
	s_andn2_b64 exec, exec, s[6:7]
	s_cbranch_execnz .LBB116_363
; %bb.364:
	s_or_b64 exec, exec, s[6:7]
.LBB116_365:
	s_or_b64 exec, exec, s[12:13]
	v_mov_b32_e32 v127, 0
	ds_read_b64 v[128:129], v127 offset:120
	s_waitcnt lgkmcnt(0)
	v_mul_f64 v[108:109], v[108:109], v[128:129]
	buffer_store_dword v109, off, s[0:3], 0 offset:124
	buffer_store_dword v108, off, s[0:3], 0 offset:120
.LBB116_366:
	s_or_b64 exec, exec, s[10:11]
	buffer_load_dword v108, off, s[0:3], 0 offset:112
	buffer_load_dword v109, off, s[0:3], 0 offset:116
	v_cmp_lt_u32_e64 s[6:7], 14, v0
	s_waitcnt vmcnt(0)
	ds_write_b64 v110, v[108:109]
	s_waitcnt lgkmcnt(0)
	; wave barrier
	s_waitcnt lgkmcnt(0)
	s_and_saveexec_b64 s[10:11], s[6:7]
	s_cbranch_execz .LBB116_376
; %bb.367:
	s_andn2_b64 vcc, exec, s[8:9]
	s_cbranch_vccnz .LBB116_369
; %bb.368:
	buffer_load_dword v108, v111, s[0:3], 0 offen
	buffer_load_dword v109, v111, s[0:3], 0 offen offset:4
	ds_read_b64 v[128:129], v110
	s_waitcnt vmcnt(0) lgkmcnt(0)
	v_mul_f64 v[108:109], v[108:109], v[128:129]
	s_cbranch_execz .LBB116_370
	s_branch .LBB116_371
.LBB116_369:
                                        ; implicit-def: $vgpr108_vgpr109
.LBB116_370:
	ds_read_b64 v[108:109], v110
.LBB116_371:
	s_and_saveexec_b64 s[12:13], s[4:5]
	s_cbranch_execz .LBB116_375
; %bb.372:
	v_add_u32_e32 v127, -15, v0
	s_movk_i32 s14, 0x228
	s_mov_b64 s[4:5], 0
.LBB116_373:                            ; =>This Inner Loop Header: Depth=1
	buffer_load_dword v128, v126, s[0:3], 0 offen
	buffer_load_dword v129, v126, s[0:3], 0 offen offset:4
	v_mov_b32_e32 v130, s14
	ds_read_b64 v[130:131], v130
	v_add_u32_e32 v127, -1, v127
	s_add_i32 s14, s14, 8
	v_cmp_eq_u32_e32 vcc, 0, v127
	v_add_u32_e32 v126, 8, v126
	s_or_b64 s[4:5], vcc, s[4:5]
	s_waitcnt vmcnt(0) lgkmcnt(0)
	v_fmac_f64_e32 v[108:109], v[128:129], v[130:131]
	s_andn2_b64 exec, exec, s[4:5]
	s_cbranch_execnz .LBB116_373
; %bb.374:
	s_or_b64 exec, exec, s[4:5]
.LBB116_375:
	s_or_b64 exec, exec, s[12:13]
	v_mov_b32_e32 v126, 0
	ds_read_b64 v[126:127], v126 offset:112
	s_waitcnt lgkmcnt(0)
	v_mul_f64 v[108:109], v[108:109], v[126:127]
	buffer_store_dword v109, off, s[0:3], 0 offset:116
	buffer_store_dword v108, off, s[0:3], 0 offset:112
.LBB116_376:
	s_or_b64 exec, exec, s[10:11]
	buffer_load_dword v108, off, s[0:3], 0 offset:104
	buffer_load_dword v109, off, s[0:3], 0 offset:108
	v_cmp_lt_u32_e64 s[4:5], 13, v0
	s_waitcnt vmcnt(0)
	ds_write_b64 v110, v[108:109]
	s_waitcnt lgkmcnt(0)
	; wave barrier
	s_waitcnt lgkmcnt(0)
	s_and_saveexec_b64 s[10:11], s[4:5]
	s_cbranch_execz .LBB116_386
; %bb.377:
	s_andn2_b64 vcc, exec, s[8:9]
	s_cbranch_vccnz .LBB116_379
; %bb.378:
	buffer_load_dword v108, v111, s[0:3], 0 offen
	buffer_load_dword v109, v111, s[0:3], 0 offen offset:4
	ds_read_b64 v[126:127], v110
	s_waitcnt vmcnt(0) lgkmcnt(0)
	v_mul_f64 v[108:109], v[108:109], v[126:127]
	s_cbranch_execz .LBB116_380
	s_branch .LBB116_381
.LBB116_379:
                                        ; implicit-def: $vgpr108_vgpr109
.LBB116_380:
	ds_read_b64 v[108:109], v110
.LBB116_381:
	s_and_saveexec_b64 s[12:13], s[6:7]
	s_cbranch_execz .LBB116_385
; %bb.382:
	v_add_u32_e32 v126, -14, v0
	s_movk_i32 s14, 0x220
	s_mov_b64 s[6:7], 0
.LBB116_383:                            ; =>This Inner Loop Header: Depth=1
	buffer_load_dword v128, v125, s[0:3], 0 offen
	buffer_load_dword v129, v125, s[0:3], 0 offen offset:4
	v_mov_b32_e32 v127, s14
	ds_read_b64 v[130:131], v127
	v_add_u32_e32 v126, -1, v126
	s_add_i32 s14, s14, 8
	v_cmp_eq_u32_e32 vcc, 0, v126
	v_add_u32_e32 v125, 8, v125
	s_or_b64 s[6:7], vcc, s[6:7]
	s_waitcnt vmcnt(0) lgkmcnt(0)
	v_fmac_f64_e32 v[108:109], v[128:129], v[130:131]
	s_andn2_b64 exec, exec, s[6:7]
	s_cbranch_execnz .LBB116_383
; %bb.384:
	s_or_b64 exec, exec, s[6:7]
.LBB116_385:
	s_or_b64 exec, exec, s[12:13]
	v_mov_b32_e32 v125, 0
	ds_read_b64 v[126:127], v125 offset:104
	s_waitcnt lgkmcnt(0)
	v_mul_f64 v[108:109], v[108:109], v[126:127]
	buffer_store_dword v109, off, s[0:3], 0 offset:108
	buffer_store_dword v108, off, s[0:3], 0 offset:104
.LBB116_386:
	s_or_b64 exec, exec, s[10:11]
	buffer_load_dword v108, off, s[0:3], 0 offset:96
	buffer_load_dword v109, off, s[0:3], 0 offset:100
	v_cmp_lt_u32_e64 s[6:7], 12, v0
	s_waitcnt vmcnt(0)
	ds_write_b64 v110, v[108:109]
	s_waitcnt lgkmcnt(0)
	; wave barrier
	s_waitcnt lgkmcnt(0)
	s_and_saveexec_b64 s[10:11], s[6:7]
	s_cbranch_execz .LBB116_396
; %bb.387:
	s_andn2_b64 vcc, exec, s[8:9]
	s_cbranch_vccnz .LBB116_389
; %bb.388:
	buffer_load_dword v108, v111, s[0:3], 0 offen
	buffer_load_dword v109, v111, s[0:3], 0 offen offset:4
	ds_read_b64 v[126:127], v110
	s_waitcnt vmcnt(0) lgkmcnt(0)
	v_mul_f64 v[108:109], v[108:109], v[126:127]
	s_cbranch_execz .LBB116_390
	s_branch .LBB116_391
.LBB116_389:
                                        ; implicit-def: $vgpr108_vgpr109
.LBB116_390:
	ds_read_b64 v[108:109], v110
.LBB116_391:
	s_and_saveexec_b64 s[12:13], s[4:5]
	s_cbranch_execz .LBB116_395
; %bb.392:
	v_add_u32_e32 v125, -13, v0
	s_movk_i32 s14, 0x218
	s_mov_b64 s[4:5], 0
.LBB116_393:                            ; =>This Inner Loop Header: Depth=1
	buffer_load_dword v126, v124, s[0:3], 0 offen
	buffer_load_dword v127, v124, s[0:3], 0 offen offset:4
	v_mov_b32_e32 v128, s14
	ds_read_b64 v[128:129], v128
	v_add_u32_e32 v125, -1, v125
	s_add_i32 s14, s14, 8
	v_cmp_eq_u32_e32 vcc, 0, v125
	v_add_u32_e32 v124, 8, v124
	s_or_b64 s[4:5], vcc, s[4:5]
	s_waitcnt vmcnt(0) lgkmcnt(0)
	v_fmac_f64_e32 v[108:109], v[126:127], v[128:129]
	s_andn2_b64 exec, exec, s[4:5]
	s_cbranch_execnz .LBB116_393
; %bb.394:
	s_or_b64 exec, exec, s[4:5]
.LBB116_395:
	s_or_b64 exec, exec, s[12:13]
	v_mov_b32_e32 v124, 0
	ds_read_b64 v[124:125], v124 offset:96
	s_waitcnt lgkmcnt(0)
	v_mul_f64 v[108:109], v[108:109], v[124:125]
	buffer_store_dword v109, off, s[0:3], 0 offset:100
	buffer_store_dword v108, off, s[0:3], 0 offset:96
.LBB116_396:
	s_or_b64 exec, exec, s[10:11]
	buffer_load_dword v108, off, s[0:3], 0 offset:88
	buffer_load_dword v109, off, s[0:3], 0 offset:92
	v_cmp_lt_u32_e64 s[4:5], 11, v0
	s_waitcnt vmcnt(0)
	ds_write_b64 v110, v[108:109]
	s_waitcnt lgkmcnt(0)
	; wave barrier
	s_waitcnt lgkmcnt(0)
	s_and_saveexec_b64 s[10:11], s[4:5]
	s_cbranch_execz .LBB116_406
; %bb.397:
	s_andn2_b64 vcc, exec, s[8:9]
	s_cbranch_vccnz .LBB116_399
; %bb.398:
	buffer_load_dword v108, v111, s[0:3], 0 offen
	buffer_load_dword v109, v111, s[0:3], 0 offen offset:4
	ds_read_b64 v[124:125], v110
	s_waitcnt vmcnt(0) lgkmcnt(0)
	v_mul_f64 v[108:109], v[108:109], v[124:125]
	s_cbranch_execz .LBB116_400
	s_branch .LBB116_401
.LBB116_399:
                                        ; implicit-def: $vgpr108_vgpr109
.LBB116_400:
	ds_read_b64 v[108:109], v110
.LBB116_401:
	s_and_saveexec_b64 s[12:13], s[6:7]
	s_cbranch_execz .LBB116_405
; %bb.402:
	v_add_u32_e32 v124, -12, v0
	s_movk_i32 s14, 0x210
	s_mov_b64 s[6:7], 0
.LBB116_403:                            ; =>This Inner Loop Header: Depth=1
	buffer_load_dword v126, v123, s[0:3], 0 offen
	buffer_load_dword v127, v123, s[0:3], 0 offen offset:4
	v_mov_b32_e32 v125, s14
	ds_read_b64 v[128:129], v125
	v_add_u32_e32 v124, -1, v124
	s_add_i32 s14, s14, 8
	v_cmp_eq_u32_e32 vcc, 0, v124
	v_add_u32_e32 v123, 8, v123
	s_or_b64 s[6:7], vcc, s[6:7]
	s_waitcnt vmcnt(0) lgkmcnt(0)
	v_fmac_f64_e32 v[108:109], v[126:127], v[128:129]
	s_andn2_b64 exec, exec, s[6:7]
	s_cbranch_execnz .LBB116_403
; %bb.404:
	s_or_b64 exec, exec, s[6:7]
.LBB116_405:
	s_or_b64 exec, exec, s[12:13]
	v_mov_b32_e32 v123, 0
	ds_read_b64 v[124:125], v123 offset:88
	s_waitcnt lgkmcnt(0)
	v_mul_f64 v[108:109], v[108:109], v[124:125]
	buffer_store_dword v109, off, s[0:3], 0 offset:92
	buffer_store_dword v108, off, s[0:3], 0 offset:88
.LBB116_406:
	s_or_b64 exec, exec, s[10:11]
	buffer_load_dword v108, off, s[0:3], 0 offset:80
	buffer_load_dword v109, off, s[0:3], 0 offset:84
	v_cmp_lt_u32_e64 s[6:7], 10, v0
	s_waitcnt vmcnt(0)
	ds_write_b64 v110, v[108:109]
	s_waitcnt lgkmcnt(0)
	; wave barrier
	s_waitcnt lgkmcnt(0)
	s_and_saveexec_b64 s[10:11], s[6:7]
	s_cbranch_execz .LBB116_416
; %bb.407:
	s_andn2_b64 vcc, exec, s[8:9]
	s_cbranch_vccnz .LBB116_409
; %bb.408:
	buffer_load_dword v108, v111, s[0:3], 0 offen
	buffer_load_dword v109, v111, s[0:3], 0 offen offset:4
	ds_read_b64 v[124:125], v110
	s_waitcnt vmcnt(0) lgkmcnt(0)
	v_mul_f64 v[108:109], v[108:109], v[124:125]
	s_cbranch_execz .LBB116_410
	s_branch .LBB116_411
.LBB116_409:
                                        ; implicit-def: $vgpr108_vgpr109
.LBB116_410:
	ds_read_b64 v[108:109], v110
.LBB116_411:
	s_and_saveexec_b64 s[12:13], s[4:5]
	s_cbranch_execz .LBB116_415
; %bb.412:
	v_add_u32_e32 v123, -11, v0
	s_movk_i32 s14, 0x208
	s_mov_b64 s[4:5], 0
.LBB116_413:                            ; =>This Inner Loop Header: Depth=1
	buffer_load_dword v124, v122, s[0:3], 0 offen
	buffer_load_dword v125, v122, s[0:3], 0 offen offset:4
	v_mov_b32_e32 v126, s14
	ds_read_b64 v[126:127], v126
	v_add_u32_e32 v123, -1, v123
	s_add_i32 s14, s14, 8
	v_cmp_eq_u32_e32 vcc, 0, v123
	v_add_u32_e32 v122, 8, v122
	s_or_b64 s[4:5], vcc, s[4:5]
	s_waitcnt vmcnt(0) lgkmcnt(0)
	v_fmac_f64_e32 v[108:109], v[124:125], v[126:127]
	s_andn2_b64 exec, exec, s[4:5]
	s_cbranch_execnz .LBB116_413
; %bb.414:
	s_or_b64 exec, exec, s[4:5]
.LBB116_415:
	s_or_b64 exec, exec, s[12:13]
	v_mov_b32_e32 v122, 0
	ds_read_b64 v[122:123], v122 offset:80
	s_waitcnt lgkmcnt(0)
	v_mul_f64 v[108:109], v[108:109], v[122:123]
	buffer_store_dword v109, off, s[0:3], 0 offset:84
	buffer_store_dword v108, off, s[0:3], 0 offset:80
.LBB116_416:
	s_or_b64 exec, exec, s[10:11]
	buffer_load_dword v108, off, s[0:3], 0 offset:72
	buffer_load_dword v109, off, s[0:3], 0 offset:76
	v_cmp_lt_u32_e64 s[4:5], 9, v0
	s_waitcnt vmcnt(0)
	ds_write_b64 v110, v[108:109]
	s_waitcnt lgkmcnt(0)
	; wave barrier
	s_waitcnt lgkmcnt(0)
	s_and_saveexec_b64 s[10:11], s[4:5]
	s_cbranch_execz .LBB116_426
; %bb.417:
	s_andn2_b64 vcc, exec, s[8:9]
	s_cbranch_vccnz .LBB116_419
; %bb.418:
	buffer_load_dword v108, v111, s[0:3], 0 offen
	buffer_load_dword v109, v111, s[0:3], 0 offen offset:4
	ds_read_b64 v[122:123], v110
	s_waitcnt vmcnt(0) lgkmcnt(0)
	v_mul_f64 v[108:109], v[108:109], v[122:123]
	s_cbranch_execz .LBB116_420
	s_branch .LBB116_421
.LBB116_419:
                                        ; implicit-def: $vgpr108_vgpr109
.LBB116_420:
	ds_read_b64 v[108:109], v110
.LBB116_421:
	s_and_saveexec_b64 s[12:13], s[6:7]
	s_cbranch_execz .LBB116_425
; %bb.422:
	v_add_u32_e32 v122, -10, v0
	s_movk_i32 s14, 0x200
	s_mov_b64 s[6:7], 0
.LBB116_423:                            ; =>This Inner Loop Header: Depth=1
	buffer_load_dword v124, v121, s[0:3], 0 offen
	buffer_load_dword v125, v121, s[0:3], 0 offen offset:4
	v_mov_b32_e32 v123, s14
	ds_read_b64 v[126:127], v123
	v_add_u32_e32 v122, -1, v122
	s_add_i32 s14, s14, 8
	v_cmp_eq_u32_e32 vcc, 0, v122
	v_add_u32_e32 v121, 8, v121
	s_or_b64 s[6:7], vcc, s[6:7]
	s_waitcnt vmcnt(0) lgkmcnt(0)
	v_fmac_f64_e32 v[108:109], v[124:125], v[126:127]
	s_andn2_b64 exec, exec, s[6:7]
	s_cbranch_execnz .LBB116_423
; %bb.424:
	s_or_b64 exec, exec, s[6:7]
.LBB116_425:
	s_or_b64 exec, exec, s[12:13]
	v_mov_b32_e32 v121, 0
	ds_read_b64 v[122:123], v121 offset:72
	s_waitcnt lgkmcnt(0)
	v_mul_f64 v[108:109], v[108:109], v[122:123]
	buffer_store_dword v109, off, s[0:3], 0 offset:76
	buffer_store_dword v108, off, s[0:3], 0 offset:72
.LBB116_426:
	s_or_b64 exec, exec, s[10:11]
	buffer_load_dword v108, off, s[0:3], 0 offset:64
	buffer_load_dword v109, off, s[0:3], 0 offset:68
	v_cmp_lt_u32_e64 s[6:7], 8, v0
	s_waitcnt vmcnt(0)
	ds_write_b64 v110, v[108:109]
	s_waitcnt lgkmcnt(0)
	; wave barrier
	s_waitcnt lgkmcnt(0)
	s_and_saveexec_b64 s[10:11], s[6:7]
	s_cbranch_execz .LBB116_436
; %bb.427:
	s_andn2_b64 vcc, exec, s[8:9]
	s_cbranch_vccnz .LBB116_429
; %bb.428:
	buffer_load_dword v108, v111, s[0:3], 0 offen
	buffer_load_dword v109, v111, s[0:3], 0 offen offset:4
	ds_read_b64 v[122:123], v110
	s_waitcnt vmcnt(0) lgkmcnt(0)
	v_mul_f64 v[108:109], v[108:109], v[122:123]
	s_cbranch_execz .LBB116_430
	s_branch .LBB116_431
.LBB116_429:
                                        ; implicit-def: $vgpr108_vgpr109
.LBB116_430:
	ds_read_b64 v[108:109], v110
.LBB116_431:
	s_and_saveexec_b64 s[12:13], s[4:5]
	s_cbranch_execz .LBB116_435
; %bb.432:
	v_add_u32_e32 v121, -9, v0
	s_movk_i32 s14, 0x1f8
	s_mov_b64 s[4:5], 0
.LBB116_433:                            ; =>This Inner Loop Header: Depth=1
	buffer_load_dword v122, v120, s[0:3], 0 offen
	buffer_load_dword v123, v120, s[0:3], 0 offen offset:4
	v_mov_b32_e32 v124, s14
	ds_read_b64 v[124:125], v124
	v_add_u32_e32 v121, -1, v121
	s_add_i32 s14, s14, 8
	v_cmp_eq_u32_e32 vcc, 0, v121
	v_add_u32_e32 v120, 8, v120
	s_or_b64 s[4:5], vcc, s[4:5]
	s_waitcnt vmcnt(0) lgkmcnt(0)
	v_fmac_f64_e32 v[108:109], v[122:123], v[124:125]
	s_andn2_b64 exec, exec, s[4:5]
	s_cbranch_execnz .LBB116_433
; %bb.434:
	s_or_b64 exec, exec, s[4:5]
.LBB116_435:
	s_or_b64 exec, exec, s[12:13]
	v_mov_b32_e32 v120, 0
	ds_read_b64 v[120:121], v120 offset:64
	s_waitcnt lgkmcnt(0)
	v_mul_f64 v[108:109], v[108:109], v[120:121]
	buffer_store_dword v109, off, s[0:3], 0 offset:68
	buffer_store_dword v108, off, s[0:3], 0 offset:64
.LBB116_436:
	s_or_b64 exec, exec, s[10:11]
	buffer_load_dword v108, off, s[0:3], 0 offset:56
	buffer_load_dword v109, off, s[0:3], 0 offset:60
	v_cmp_lt_u32_e64 s[4:5], 7, v0
	s_waitcnt vmcnt(0)
	ds_write_b64 v110, v[108:109]
	s_waitcnt lgkmcnt(0)
	; wave barrier
	s_waitcnt lgkmcnt(0)
	s_and_saveexec_b64 s[10:11], s[4:5]
	s_cbranch_execz .LBB116_446
; %bb.437:
	s_andn2_b64 vcc, exec, s[8:9]
	s_cbranch_vccnz .LBB116_439
; %bb.438:
	buffer_load_dword v108, v111, s[0:3], 0 offen
	buffer_load_dword v109, v111, s[0:3], 0 offen offset:4
	ds_read_b64 v[120:121], v110
	s_waitcnt vmcnt(0) lgkmcnt(0)
	v_mul_f64 v[108:109], v[108:109], v[120:121]
	s_cbranch_execz .LBB116_440
	s_branch .LBB116_441
.LBB116_439:
                                        ; implicit-def: $vgpr108_vgpr109
.LBB116_440:
	ds_read_b64 v[108:109], v110
.LBB116_441:
	s_and_saveexec_b64 s[12:13], s[6:7]
	s_cbranch_execz .LBB116_445
; %bb.442:
	v_add_u32_e32 v120, -8, v0
	s_movk_i32 s14, 0x1f0
	s_mov_b64 s[6:7], 0
.LBB116_443:                            ; =>This Inner Loop Header: Depth=1
	buffer_load_dword v122, v119, s[0:3], 0 offen
	buffer_load_dword v123, v119, s[0:3], 0 offen offset:4
	v_mov_b32_e32 v121, s14
	ds_read_b64 v[124:125], v121
	v_add_u32_e32 v120, -1, v120
	s_add_i32 s14, s14, 8
	v_cmp_eq_u32_e32 vcc, 0, v120
	v_add_u32_e32 v119, 8, v119
	s_or_b64 s[6:7], vcc, s[6:7]
	s_waitcnt vmcnt(0) lgkmcnt(0)
	v_fmac_f64_e32 v[108:109], v[122:123], v[124:125]
	s_andn2_b64 exec, exec, s[6:7]
	s_cbranch_execnz .LBB116_443
; %bb.444:
	s_or_b64 exec, exec, s[6:7]
.LBB116_445:
	s_or_b64 exec, exec, s[12:13]
	v_mov_b32_e32 v119, 0
	ds_read_b64 v[120:121], v119 offset:56
	s_waitcnt lgkmcnt(0)
	v_mul_f64 v[108:109], v[108:109], v[120:121]
	buffer_store_dword v109, off, s[0:3], 0 offset:60
	buffer_store_dword v108, off, s[0:3], 0 offset:56
.LBB116_446:
	s_or_b64 exec, exec, s[10:11]
	buffer_load_dword v108, off, s[0:3], 0 offset:48
	buffer_load_dword v109, off, s[0:3], 0 offset:52
	v_cmp_lt_u32_e64 s[6:7], 6, v0
	s_waitcnt vmcnt(0)
	ds_write_b64 v110, v[108:109]
	s_waitcnt lgkmcnt(0)
	; wave barrier
	s_waitcnt lgkmcnt(0)
	s_and_saveexec_b64 s[10:11], s[6:7]
	s_cbranch_execz .LBB116_456
; %bb.447:
	s_andn2_b64 vcc, exec, s[8:9]
	s_cbranch_vccnz .LBB116_449
; %bb.448:
	buffer_load_dword v108, v111, s[0:3], 0 offen
	buffer_load_dword v109, v111, s[0:3], 0 offen offset:4
	ds_read_b64 v[120:121], v110
	s_waitcnt vmcnt(0) lgkmcnt(0)
	v_mul_f64 v[108:109], v[108:109], v[120:121]
	s_cbranch_execz .LBB116_450
	s_branch .LBB116_451
.LBB116_449:
                                        ; implicit-def: $vgpr108_vgpr109
.LBB116_450:
	ds_read_b64 v[108:109], v110
.LBB116_451:
	s_and_saveexec_b64 s[12:13], s[4:5]
	s_cbranch_execz .LBB116_455
; %bb.452:
	v_add_u32_e32 v119, -7, v0
	s_movk_i32 s14, 0x1e8
	s_mov_b64 s[4:5], 0
.LBB116_453:                            ; =>This Inner Loop Header: Depth=1
	buffer_load_dword v120, v118, s[0:3], 0 offen
	buffer_load_dword v121, v118, s[0:3], 0 offen offset:4
	v_mov_b32_e32 v122, s14
	ds_read_b64 v[122:123], v122
	v_add_u32_e32 v119, -1, v119
	s_add_i32 s14, s14, 8
	v_cmp_eq_u32_e32 vcc, 0, v119
	v_add_u32_e32 v118, 8, v118
	s_or_b64 s[4:5], vcc, s[4:5]
	s_waitcnt vmcnt(0) lgkmcnt(0)
	v_fmac_f64_e32 v[108:109], v[120:121], v[122:123]
	s_andn2_b64 exec, exec, s[4:5]
	s_cbranch_execnz .LBB116_453
; %bb.454:
	s_or_b64 exec, exec, s[4:5]
.LBB116_455:
	s_or_b64 exec, exec, s[12:13]
	v_mov_b32_e32 v118, 0
	ds_read_b64 v[118:119], v118 offset:48
	s_waitcnt lgkmcnt(0)
	v_mul_f64 v[108:109], v[108:109], v[118:119]
	buffer_store_dword v109, off, s[0:3], 0 offset:52
	buffer_store_dword v108, off, s[0:3], 0 offset:48
.LBB116_456:
	s_or_b64 exec, exec, s[10:11]
	buffer_load_dword v108, off, s[0:3], 0 offset:40
	buffer_load_dword v109, off, s[0:3], 0 offset:44
	v_cmp_lt_u32_e64 s[4:5], 5, v0
	s_waitcnt vmcnt(0)
	ds_write_b64 v110, v[108:109]
	s_waitcnt lgkmcnt(0)
	; wave barrier
	s_waitcnt lgkmcnt(0)
	s_and_saveexec_b64 s[10:11], s[4:5]
	s_cbranch_execz .LBB116_466
; %bb.457:
	s_andn2_b64 vcc, exec, s[8:9]
	s_cbranch_vccnz .LBB116_459
; %bb.458:
	buffer_load_dword v108, v111, s[0:3], 0 offen
	buffer_load_dword v109, v111, s[0:3], 0 offen offset:4
	ds_read_b64 v[118:119], v110
	s_waitcnt vmcnt(0) lgkmcnt(0)
	v_mul_f64 v[108:109], v[108:109], v[118:119]
	s_cbranch_execz .LBB116_460
	s_branch .LBB116_461
.LBB116_459:
                                        ; implicit-def: $vgpr108_vgpr109
.LBB116_460:
	ds_read_b64 v[108:109], v110
.LBB116_461:
	s_and_saveexec_b64 s[12:13], s[6:7]
	s_cbranch_execz .LBB116_465
; %bb.462:
	v_add_u32_e32 v118, -6, v0
	s_movk_i32 s14, 0x1e0
	s_mov_b64 s[6:7], 0
.LBB116_463:                            ; =>This Inner Loop Header: Depth=1
	buffer_load_dword v120, v117, s[0:3], 0 offen
	buffer_load_dword v121, v117, s[0:3], 0 offen offset:4
	v_mov_b32_e32 v119, s14
	ds_read_b64 v[122:123], v119
	v_add_u32_e32 v118, -1, v118
	s_add_i32 s14, s14, 8
	v_cmp_eq_u32_e32 vcc, 0, v118
	v_add_u32_e32 v117, 8, v117
	s_or_b64 s[6:7], vcc, s[6:7]
	s_waitcnt vmcnt(0) lgkmcnt(0)
	v_fmac_f64_e32 v[108:109], v[120:121], v[122:123]
	s_andn2_b64 exec, exec, s[6:7]
	s_cbranch_execnz .LBB116_463
; %bb.464:
	s_or_b64 exec, exec, s[6:7]
.LBB116_465:
	s_or_b64 exec, exec, s[12:13]
	v_mov_b32_e32 v117, 0
	ds_read_b64 v[118:119], v117 offset:40
	s_waitcnt lgkmcnt(0)
	v_mul_f64 v[108:109], v[108:109], v[118:119]
	buffer_store_dword v109, off, s[0:3], 0 offset:44
	buffer_store_dword v108, off, s[0:3], 0 offset:40
.LBB116_466:
	s_or_b64 exec, exec, s[10:11]
	buffer_load_dword v108, off, s[0:3], 0 offset:32
	buffer_load_dword v109, off, s[0:3], 0 offset:36
	v_cmp_lt_u32_e64 s[6:7], 4, v0
	s_waitcnt vmcnt(0)
	ds_write_b64 v110, v[108:109]
	s_waitcnt lgkmcnt(0)
	; wave barrier
	s_waitcnt lgkmcnt(0)
	s_and_saveexec_b64 s[10:11], s[6:7]
	s_cbranch_execz .LBB116_476
; %bb.467:
	s_andn2_b64 vcc, exec, s[8:9]
	s_cbranch_vccnz .LBB116_469
; %bb.468:
	buffer_load_dword v108, v111, s[0:3], 0 offen
	buffer_load_dword v109, v111, s[0:3], 0 offen offset:4
	ds_read_b64 v[118:119], v110
	s_waitcnt vmcnt(0) lgkmcnt(0)
	v_mul_f64 v[108:109], v[108:109], v[118:119]
	s_cbranch_execz .LBB116_470
	s_branch .LBB116_471
.LBB116_469:
                                        ; implicit-def: $vgpr108_vgpr109
.LBB116_470:
	ds_read_b64 v[108:109], v110
.LBB116_471:
	s_and_saveexec_b64 s[12:13], s[4:5]
	s_cbranch_execz .LBB116_475
; %bb.472:
	v_add_u32_e32 v117, -5, v0
	s_movk_i32 s14, 0x1d8
	s_mov_b64 s[4:5], 0
.LBB116_473:                            ; =>This Inner Loop Header: Depth=1
	buffer_load_dword v118, v116, s[0:3], 0 offen
	buffer_load_dword v119, v116, s[0:3], 0 offen offset:4
	v_mov_b32_e32 v120, s14
	ds_read_b64 v[120:121], v120
	v_add_u32_e32 v117, -1, v117
	s_add_i32 s14, s14, 8
	v_cmp_eq_u32_e32 vcc, 0, v117
	v_add_u32_e32 v116, 8, v116
	s_or_b64 s[4:5], vcc, s[4:5]
	s_waitcnt vmcnt(0) lgkmcnt(0)
	v_fmac_f64_e32 v[108:109], v[118:119], v[120:121]
	s_andn2_b64 exec, exec, s[4:5]
	s_cbranch_execnz .LBB116_473
; %bb.474:
	s_or_b64 exec, exec, s[4:5]
.LBB116_475:
	s_or_b64 exec, exec, s[12:13]
	v_mov_b32_e32 v116, 0
	ds_read_b64 v[116:117], v116 offset:32
	s_waitcnt lgkmcnt(0)
	v_mul_f64 v[108:109], v[108:109], v[116:117]
	buffer_store_dword v109, off, s[0:3], 0 offset:36
	buffer_store_dword v108, off, s[0:3], 0 offset:32
.LBB116_476:
	s_or_b64 exec, exec, s[10:11]
	buffer_load_dword v108, off, s[0:3], 0 offset:24
	buffer_load_dword v109, off, s[0:3], 0 offset:28
	v_cmp_lt_u32_e64 s[4:5], 3, v0
	s_waitcnt vmcnt(0)
	ds_write_b64 v110, v[108:109]
	s_waitcnt lgkmcnt(0)
	; wave barrier
	s_waitcnt lgkmcnt(0)
	s_and_saveexec_b64 s[10:11], s[4:5]
	s_cbranch_execz .LBB116_486
; %bb.477:
	s_andn2_b64 vcc, exec, s[8:9]
	s_cbranch_vccnz .LBB116_479
; %bb.478:
	buffer_load_dword v108, v111, s[0:3], 0 offen
	buffer_load_dword v109, v111, s[0:3], 0 offen offset:4
	ds_read_b64 v[116:117], v110
	s_waitcnt vmcnt(0) lgkmcnt(0)
	v_mul_f64 v[108:109], v[108:109], v[116:117]
	s_cbranch_execz .LBB116_480
	s_branch .LBB116_481
.LBB116_479:
                                        ; implicit-def: $vgpr108_vgpr109
.LBB116_480:
	ds_read_b64 v[108:109], v110
.LBB116_481:
	s_and_saveexec_b64 s[12:13], s[6:7]
	s_cbranch_execz .LBB116_485
; %bb.482:
	v_add_u32_e32 v116, -4, v0
	s_movk_i32 s14, 0x1d0
	s_mov_b64 s[6:7], 0
.LBB116_483:                            ; =>This Inner Loop Header: Depth=1
	buffer_load_dword v118, v115, s[0:3], 0 offen
	buffer_load_dword v119, v115, s[0:3], 0 offen offset:4
	v_mov_b32_e32 v117, s14
	ds_read_b64 v[120:121], v117
	v_add_u32_e32 v116, -1, v116
	s_add_i32 s14, s14, 8
	v_cmp_eq_u32_e32 vcc, 0, v116
	v_add_u32_e32 v115, 8, v115
	s_or_b64 s[6:7], vcc, s[6:7]
	s_waitcnt vmcnt(0) lgkmcnt(0)
	v_fmac_f64_e32 v[108:109], v[118:119], v[120:121]
	s_andn2_b64 exec, exec, s[6:7]
	s_cbranch_execnz .LBB116_483
; %bb.484:
	s_or_b64 exec, exec, s[6:7]
.LBB116_485:
	s_or_b64 exec, exec, s[12:13]
	v_mov_b32_e32 v115, 0
	ds_read_b64 v[116:117], v115 offset:24
	s_waitcnt lgkmcnt(0)
	v_mul_f64 v[108:109], v[108:109], v[116:117]
	buffer_store_dword v109, off, s[0:3], 0 offset:28
	buffer_store_dword v108, off, s[0:3], 0 offset:24
.LBB116_486:
	s_or_b64 exec, exec, s[10:11]
	buffer_load_dword v108, off, s[0:3], 0 offset:16
	buffer_load_dword v109, off, s[0:3], 0 offset:20
	v_cmp_lt_u32_e64 s[6:7], 2, v0
	s_waitcnt vmcnt(0)
	ds_write_b64 v110, v[108:109]
	s_waitcnt lgkmcnt(0)
	; wave barrier
	s_waitcnt lgkmcnt(0)
	s_and_saveexec_b64 s[10:11], s[6:7]
	s_cbranch_execz .LBB116_496
; %bb.487:
	s_andn2_b64 vcc, exec, s[8:9]
	s_cbranch_vccnz .LBB116_489
; %bb.488:
	buffer_load_dword v108, v111, s[0:3], 0 offen
	buffer_load_dword v109, v111, s[0:3], 0 offen offset:4
	ds_read_b64 v[116:117], v110
	s_waitcnt vmcnt(0) lgkmcnt(0)
	v_mul_f64 v[108:109], v[108:109], v[116:117]
	s_cbranch_execz .LBB116_490
	s_branch .LBB116_491
.LBB116_489:
                                        ; implicit-def: $vgpr108_vgpr109
.LBB116_490:
	ds_read_b64 v[108:109], v110
.LBB116_491:
	s_and_saveexec_b64 s[12:13], s[4:5]
	s_cbranch_execz .LBB116_495
; %bb.492:
	v_add_u32_e32 v115, -3, v0
	s_movk_i32 s14, 0x1c8
	s_mov_b64 s[4:5], 0
.LBB116_493:                            ; =>This Inner Loop Header: Depth=1
	buffer_load_dword v116, v114, s[0:3], 0 offen
	buffer_load_dword v117, v114, s[0:3], 0 offen offset:4
	v_mov_b32_e32 v118, s14
	ds_read_b64 v[118:119], v118
	v_add_u32_e32 v115, -1, v115
	s_add_i32 s14, s14, 8
	v_cmp_eq_u32_e32 vcc, 0, v115
	v_add_u32_e32 v114, 8, v114
	s_or_b64 s[4:5], vcc, s[4:5]
	s_waitcnt vmcnt(0) lgkmcnt(0)
	v_fmac_f64_e32 v[108:109], v[116:117], v[118:119]
	s_andn2_b64 exec, exec, s[4:5]
	s_cbranch_execnz .LBB116_493
; %bb.494:
	s_or_b64 exec, exec, s[4:5]
.LBB116_495:
	s_or_b64 exec, exec, s[12:13]
	v_mov_b32_e32 v114, 0
	ds_read_b64 v[114:115], v114 offset:16
	s_waitcnt lgkmcnt(0)
	v_mul_f64 v[108:109], v[108:109], v[114:115]
	buffer_store_dword v109, off, s[0:3], 0 offset:20
	buffer_store_dword v108, off, s[0:3], 0 offset:16
.LBB116_496:
	s_or_b64 exec, exec, s[10:11]
	buffer_load_dword v108, off, s[0:3], 0 offset:8
	buffer_load_dword v109, off, s[0:3], 0 offset:12
	v_cmp_lt_u32_e64 s[4:5], 1, v0
	s_waitcnt vmcnt(0)
	ds_write_b64 v110, v[108:109]
	s_waitcnt lgkmcnt(0)
	; wave barrier
	s_waitcnt lgkmcnt(0)
	s_and_saveexec_b64 s[10:11], s[4:5]
	s_cbranch_execz .LBB116_506
; %bb.497:
	s_andn2_b64 vcc, exec, s[8:9]
	s_cbranch_vccnz .LBB116_499
; %bb.498:
	buffer_load_dword v108, v111, s[0:3], 0 offen
	buffer_load_dword v109, v111, s[0:3], 0 offen offset:4
	ds_read_b64 v[114:115], v110
	s_waitcnt vmcnt(0) lgkmcnt(0)
	v_mul_f64 v[108:109], v[108:109], v[114:115]
	s_cbranch_execz .LBB116_500
	s_branch .LBB116_501
.LBB116_499:
                                        ; implicit-def: $vgpr108_vgpr109
.LBB116_500:
	ds_read_b64 v[108:109], v110
.LBB116_501:
	s_and_saveexec_b64 s[12:13], s[6:7]
	s_cbranch_execz .LBB116_505
; %bb.502:
	v_add_u32_e32 v114, -2, v0
	s_movk_i32 s14, 0x1c0
	s_mov_b64 s[6:7], 0
.LBB116_503:                            ; =>This Inner Loop Header: Depth=1
	buffer_load_dword v116, v113, s[0:3], 0 offen
	buffer_load_dword v117, v113, s[0:3], 0 offen offset:4
	v_mov_b32_e32 v115, s14
	ds_read_b64 v[118:119], v115
	v_add_u32_e32 v114, -1, v114
	s_add_i32 s14, s14, 8
	v_cmp_eq_u32_e32 vcc, 0, v114
	v_add_u32_e32 v113, 8, v113
	s_or_b64 s[6:7], vcc, s[6:7]
	s_waitcnt vmcnt(0) lgkmcnt(0)
	v_fmac_f64_e32 v[108:109], v[116:117], v[118:119]
	s_andn2_b64 exec, exec, s[6:7]
	s_cbranch_execnz .LBB116_503
; %bb.504:
	s_or_b64 exec, exec, s[6:7]
.LBB116_505:
	s_or_b64 exec, exec, s[12:13]
	v_mov_b32_e32 v113, 0
	ds_read_b64 v[114:115], v113 offset:8
	s_waitcnt lgkmcnt(0)
	v_mul_f64 v[108:109], v[108:109], v[114:115]
	buffer_store_dword v109, off, s[0:3], 0 offset:12
	buffer_store_dword v108, off, s[0:3], 0 offset:8
.LBB116_506:
	s_or_b64 exec, exec, s[10:11]
	buffer_load_dword v108, off, s[0:3], 0
	buffer_load_dword v109, off, s[0:3], 0 offset:4
	v_cmp_ne_u32_e32 vcc, 0, v0
	s_waitcnt vmcnt(0)
	ds_write_b64 v110, v[108:109]
	s_waitcnt lgkmcnt(0)
	; wave barrier
	s_waitcnt lgkmcnt(0)
	s_and_saveexec_b64 s[6:7], vcc
	s_cbranch_execz .LBB116_516
; %bb.507:
	s_andn2_b64 vcc, exec, s[8:9]
	s_cbranch_vccnz .LBB116_509
; %bb.508:
	buffer_load_dword v108, v111, s[0:3], 0 offen
	buffer_load_dword v109, v111, s[0:3], 0 offen offset:4
	ds_read_b64 v[114:115], v110
	s_waitcnt vmcnt(0) lgkmcnt(0)
	v_mul_f64 v[108:109], v[108:109], v[114:115]
	s_cbranch_execz .LBB116_510
	s_branch .LBB116_511
.LBB116_509:
                                        ; implicit-def: $vgpr108_vgpr109
.LBB116_510:
	ds_read_b64 v[108:109], v110
.LBB116_511:
	s_and_saveexec_b64 s[10:11], s[4:5]
	s_cbranch_execz .LBB116_515
; %bb.512:
	v_add_u32_e32 v113, -1, v0
	s_movk_i32 s12, 0x1b8
	s_mov_b64 s[4:5], 0
.LBB116_513:                            ; =>This Inner Loop Header: Depth=1
	buffer_load_dword v114, v112, s[0:3], 0 offen
	buffer_load_dword v115, v112, s[0:3], 0 offen offset:4
	v_mov_b32_e32 v116, s12
	ds_read_b64 v[116:117], v116
	v_add_u32_e32 v113, -1, v113
	s_add_i32 s12, s12, 8
	v_cmp_eq_u32_e32 vcc, 0, v113
	v_add_u32_e32 v112, 8, v112
	s_or_b64 s[4:5], vcc, s[4:5]
	s_waitcnt vmcnt(0) lgkmcnt(0)
	v_fmac_f64_e32 v[108:109], v[114:115], v[116:117]
	s_andn2_b64 exec, exec, s[4:5]
	s_cbranch_execnz .LBB116_513
; %bb.514:
	s_or_b64 exec, exec, s[4:5]
.LBB116_515:
	s_or_b64 exec, exec, s[10:11]
	v_mov_b32_e32 v112, 0
	ds_read_b64 v[112:113], v112
	s_waitcnt lgkmcnt(0)
	v_mul_f64 v[108:109], v[108:109], v[112:113]
	buffer_store_dword v109, off, s[0:3], 0 offset:4
	buffer_store_dword v108, off, s[0:3], 0
.LBB116_516:
	s_or_b64 exec, exec, s[6:7]
	s_mov_b64 s[4:5], 0
.LBB116_517:
	s_and_b64 vcc, exec, s[4:5]
	s_cbranch_vccz .LBB116_1031
; %bb.518:
	buffer_load_dword v108, off, s[0:3], 0 offset:8
	buffer_load_dword v109, off, s[0:3], 0 offset:12
	v_cmp_eq_u32_e64 s[6:7], 0, v0
	s_waitcnt vmcnt(0)
	ds_write_b64 v110, v[108:109]
	s_waitcnt lgkmcnt(0)
	; wave barrier
	s_waitcnt lgkmcnt(0)
	s_and_saveexec_b64 s[4:5], s[6:7]
	s_cbranch_execz .LBB116_524
; %bb.519:
	s_and_b64 vcc, exec, s[8:9]
	s_cbranch_vccz .LBB116_521
; %bb.520:
	buffer_load_dword v108, v111, s[0:3], 0 offen
	buffer_load_dword v109, v111, s[0:3], 0 offen offset:4
	ds_read_b64 v[112:113], v110
	s_waitcnt vmcnt(0) lgkmcnt(0)
	v_mul_f64 v[108:109], v[108:109], v[112:113]
	s_cbranch_execz .LBB116_522
	s_branch .LBB116_523
.LBB116_521:
                                        ; implicit-def: $vgpr108_vgpr109
.LBB116_522:
	ds_read_b64 v[108:109], v110
.LBB116_523:
	v_mov_b32_e32 v112, 0
	ds_read_b64 v[112:113], v112 offset:8
	s_waitcnt lgkmcnt(0)
	v_mul_f64 v[108:109], v[108:109], v[112:113]
	buffer_store_dword v109, off, s[0:3], 0 offset:12
	buffer_store_dword v108, off, s[0:3], 0 offset:8
.LBB116_524:
	s_or_b64 exec, exec, s[4:5]
	buffer_load_dword v108, off, s[0:3], 0 offset:16
	buffer_load_dword v109, off, s[0:3], 0 offset:20
	v_cndmask_b32_e64 v112, 0, 1, s[8:9]
	v_cmp_gt_u32_e32 vcc, 2, v0
	v_cmp_ne_u32_e64 s[4:5], 1, v112
	s_waitcnt vmcnt(0)
	ds_write_b64 v110, v[108:109]
	s_waitcnt lgkmcnt(0)
	; wave barrier
	s_waitcnt lgkmcnt(0)
	s_and_saveexec_b64 s[8:9], vcc
	s_cbranch_execz .LBB116_532
; %bb.525:
	s_and_b64 vcc, exec, s[4:5]
	s_cbranch_vccnz .LBB116_527
; %bb.526:
	buffer_load_dword v108, v111, s[0:3], 0 offen
	buffer_load_dword v109, v111, s[0:3], 0 offen offset:4
	ds_read_b64 v[112:113], v110
	s_waitcnt vmcnt(0) lgkmcnt(0)
	v_mul_f64 v[108:109], v[108:109], v[112:113]
	s_cbranch_execz .LBB116_528
	s_branch .LBB116_529
.LBB116_527:
                                        ; implicit-def: $vgpr108_vgpr109
.LBB116_528:
	ds_read_b64 v[108:109], v110
.LBB116_529:
	s_and_saveexec_b64 s[10:11], s[6:7]
	s_cbranch_execz .LBB116_531
; %bb.530:
	buffer_load_dword v112, v111, s[0:3], 0 offen offset:8
	buffer_load_dword v113, v111, s[0:3], 0 offen offset:12
	ds_read_b64 v[114:115], v110 offset:8
	s_waitcnt vmcnt(0) lgkmcnt(0)
	v_fmac_f64_e32 v[108:109], v[112:113], v[114:115]
.LBB116_531:
	s_or_b64 exec, exec, s[10:11]
	v_mov_b32_e32 v112, 0
	ds_read_b64 v[112:113], v112 offset:16
	s_waitcnt lgkmcnt(0)
	v_mul_f64 v[108:109], v[108:109], v[112:113]
	buffer_store_dword v109, off, s[0:3], 0 offset:20
	buffer_store_dword v108, off, s[0:3], 0 offset:16
.LBB116_532:
	s_or_b64 exec, exec, s[8:9]
	buffer_load_dword v108, off, s[0:3], 0 offset:24
	buffer_load_dword v109, off, s[0:3], 0 offset:28
	v_cmp_gt_u32_e32 vcc, 3, v0
	s_waitcnt vmcnt(0)
	ds_write_b64 v110, v[108:109]
	s_waitcnt lgkmcnt(0)
	; wave barrier
	s_waitcnt lgkmcnt(0)
	s_and_saveexec_b64 s[8:9], vcc
	s_cbranch_execz .LBB116_540
; %bb.533:
	s_and_b64 vcc, exec, s[4:5]
	s_cbranch_vccnz .LBB116_535
; %bb.534:
	buffer_load_dword v108, v111, s[0:3], 0 offen
	buffer_load_dword v109, v111, s[0:3], 0 offen offset:4
	ds_read_b64 v[112:113], v110
	s_waitcnt vmcnt(0) lgkmcnt(0)
	v_mul_f64 v[108:109], v[108:109], v[112:113]
	s_cbranch_execz .LBB116_536
	s_branch .LBB116_537
.LBB116_535:
                                        ; implicit-def: $vgpr108_vgpr109
.LBB116_536:
	ds_read_b64 v[108:109], v110
.LBB116_537:
	v_cmp_ne_u32_e32 vcc, 2, v0
	s_and_saveexec_b64 s[10:11], vcc
	s_cbranch_execz .LBB116_539
; %bb.538:
	buffer_load_dword v113, v111, s[0:3], 0 offen offset:12
	buffer_load_dword v114, off, s[0:3], 0 offset:16
	buffer_load_dword v112, v111, s[0:3], 0 offen offset:8
	buffer_load_dword v115, off, s[0:3], 0 offset:20
	v_mov_b32_e32 v118, 0
	ds_read_b64 v[116:117], v110 offset:8
	ds_read_b64 v[118:119], v118 offset:448
	s_waitcnt vmcnt(1) lgkmcnt(1)
	v_fmac_f64_e32 v[108:109], v[112:113], v[116:117]
	s_waitcnt vmcnt(0) lgkmcnt(0)
	v_fma_f64 v[112:113], v[114:115], v[118:119], v[108:109]
	v_cndmask_b32_e64 v109, v109, v113, s[6:7]
	v_cndmask_b32_e64 v108, v108, v112, s[6:7]
.LBB116_539:
	s_or_b64 exec, exec, s[10:11]
	v_mov_b32_e32 v112, 0
	ds_read_b64 v[112:113], v112 offset:24
	s_waitcnt lgkmcnt(0)
	v_mul_f64 v[108:109], v[108:109], v[112:113]
	buffer_store_dword v109, off, s[0:3], 0 offset:28
	buffer_store_dword v108, off, s[0:3], 0 offset:24
.LBB116_540:
	s_or_b64 exec, exec, s[8:9]
	buffer_load_dword v108, off, s[0:3], 0 offset:32
	buffer_load_dword v109, off, s[0:3], 0 offset:36
	v_cmp_gt_u32_e32 vcc, 4, v0
	s_waitcnt vmcnt(0)
	ds_write_b64 v110, v[108:109]
	s_waitcnt lgkmcnt(0)
	; wave barrier
	s_waitcnt lgkmcnt(0)
	s_and_saveexec_b64 s[6:7], vcc
	s_cbranch_execz .LBB116_550
; %bb.541:
	s_and_b64 vcc, exec, s[4:5]
	s_cbranch_vccnz .LBB116_543
; %bb.542:
	buffer_load_dword v108, v111, s[0:3], 0 offen
	buffer_load_dword v109, v111, s[0:3], 0 offen offset:4
	ds_read_b64 v[112:113], v110
	s_waitcnt vmcnt(0) lgkmcnt(0)
	v_mul_f64 v[108:109], v[108:109], v[112:113]
	s_cbranch_execz .LBB116_544
	s_branch .LBB116_545
.LBB116_543:
                                        ; implicit-def: $vgpr108_vgpr109
.LBB116_544:
	ds_read_b64 v[108:109], v110
.LBB116_545:
	v_cmp_ne_u32_e32 vcc, 3, v0
	s_and_saveexec_b64 s[8:9], vcc
	s_cbranch_execz .LBB116_549
; %bb.546:
	v_mov_b32_e32 v113, 0
	v_add_u32_e32 v112, 0x1b8, v1
	v_add3_u32 v113, v1, v113, 8
	s_mov_b64 s[10:11], 0
	v_mov_b32_e32 v114, v0
.LBB116_547:                            ; =>This Inner Loop Header: Depth=1
	buffer_load_dword v116, v113, s[0:3], 0 offen
	buffer_load_dword v117, v113, s[0:3], 0 offen offset:4
	ds_read_b64 v[118:119], v112
	v_add_u32_e32 v114, 1, v114
	v_cmp_lt_u32_e32 vcc, 2, v114
	v_add_u32_e32 v112, 8, v112
	v_add_u32_e32 v113, 8, v113
	s_or_b64 s[10:11], vcc, s[10:11]
	s_waitcnt vmcnt(0) lgkmcnt(0)
	v_fmac_f64_e32 v[108:109], v[116:117], v[118:119]
	s_andn2_b64 exec, exec, s[10:11]
	s_cbranch_execnz .LBB116_547
; %bb.548:
	s_or_b64 exec, exec, s[10:11]
.LBB116_549:
	s_or_b64 exec, exec, s[8:9]
	v_mov_b32_e32 v112, 0
	ds_read_b64 v[112:113], v112 offset:32
	s_waitcnt lgkmcnt(0)
	v_mul_f64 v[108:109], v[108:109], v[112:113]
	buffer_store_dword v109, off, s[0:3], 0 offset:36
	buffer_store_dword v108, off, s[0:3], 0 offset:32
.LBB116_550:
	s_or_b64 exec, exec, s[6:7]
	buffer_load_dword v108, off, s[0:3], 0 offset:40
	buffer_load_dword v109, off, s[0:3], 0 offset:44
	v_cmp_gt_u32_e32 vcc, 5, v0
	s_waitcnt vmcnt(0)
	ds_write_b64 v110, v[108:109]
	s_waitcnt lgkmcnt(0)
	; wave barrier
	s_waitcnt lgkmcnt(0)
	s_and_saveexec_b64 s[6:7], vcc
	s_cbranch_execz .LBB116_560
; %bb.551:
	s_and_b64 vcc, exec, s[4:5]
	s_cbranch_vccnz .LBB116_553
; %bb.552:
	buffer_load_dword v108, v111, s[0:3], 0 offen
	buffer_load_dword v109, v111, s[0:3], 0 offen offset:4
	ds_read_b64 v[112:113], v110
	s_waitcnt vmcnt(0) lgkmcnt(0)
	v_mul_f64 v[108:109], v[108:109], v[112:113]
	s_cbranch_execz .LBB116_554
	s_branch .LBB116_555
.LBB116_553:
                                        ; implicit-def: $vgpr108_vgpr109
.LBB116_554:
	ds_read_b64 v[108:109], v110
.LBB116_555:
	v_cmp_ne_u32_e32 vcc, 4, v0
	s_and_saveexec_b64 s[8:9], vcc
	s_cbranch_execz .LBB116_559
; %bb.556:
	v_mov_b32_e32 v113, 0
	v_add_u32_e32 v112, 0x1b8, v1
	v_add3_u32 v113, v1, v113, 8
	s_mov_b64 s[10:11], 0
	v_mov_b32_e32 v114, v0
.LBB116_557:                            ; =>This Inner Loop Header: Depth=1
	buffer_load_dword v116, v113, s[0:3], 0 offen
	buffer_load_dword v117, v113, s[0:3], 0 offen offset:4
	ds_read_b64 v[118:119], v112
	v_add_u32_e32 v114, 1, v114
	v_cmp_lt_u32_e32 vcc, 3, v114
	v_add_u32_e32 v112, 8, v112
	v_add_u32_e32 v113, 8, v113
	s_or_b64 s[10:11], vcc, s[10:11]
	s_waitcnt vmcnt(0) lgkmcnt(0)
	v_fmac_f64_e32 v[108:109], v[116:117], v[118:119]
	s_andn2_b64 exec, exec, s[10:11]
	s_cbranch_execnz .LBB116_557
; %bb.558:
	s_or_b64 exec, exec, s[10:11]
.LBB116_559:
	s_or_b64 exec, exec, s[8:9]
	v_mov_b32_e32 v112, 0
	ds_read_b64 v[112:113], v112 offset:40
	s_waitcnt lgkmcnt(0)
	v_mul_f64 v[108:109], v[108:109], v[112:113]
	buffer_store_dword v109, off, s[0:3], 0 offset:44
	buffer_store_dword v108, off, s[0:3], 0 offset:40
.LBB116_560:
	;; [unrolled: 60-line block ×46, first 2 shown]
	s_or_b64 exec, exec, s[6:7]
	buffer_load_dword v108, off, s[0:3], 0 offset:400
	buffer_load_dword v109, off, s[0:3], 0 offset:404
	v_cmp_gt_u32_e32 vcc, 50, v0
	s_waitcnt vmcnt(0)
	ds_write_b64 v110, v[108:109]
	s_waitcnt lgkmcnt(0)
	; wave barrier
	s_waitcnt lgkmcnt(0)
	s_and_saveexec_b64 s[6:7], vcc
	s_cbranch_execz .LBB116_1010
; %bb.1001:
	s_and_b64 vcc, exec, s[4:5]
	s_cbranch_vccnz .LBB116_1003
; %bb.1002:
	buffer_load_dword v108, v111, s[0:3], 0 offen
	buffer_load_dword v109, v111, s[0:3], 0 offen offset:4
	ds_read_b64 v[112:113], v110
	s_waitcnt vmcnt(0) lgkmcnt(0)
	v_mul_f64 v[108:109], v[108:109], v[112:113]
	s_cbranch_execz .LBB116_1004
	s_branch .LBB116_1005
.LBB116_1003:
                                        ; implicit-def: $vgpr108_vgpr109
.LBB116_1004:
	ds_read_b64 v[108:109], v110
.LBB116_1005:
	v_cmp_ne_u32_e32 vcc, 49, v0
	s_and_saveexec_b64 s[8:9], vcc
	s_cbranch_execz .LBB116_1009
; %bb.1006:
	v_mov_b32_e32 v113, 0
	v_add_u32_e32 v112, 0x1b8, v1
	v_add3_u32 v113, v1, v113, 8
	s_mov_b64 s[10:11], 0
	v_mov_b32_e32 v114, v0
.LBB116_1007:                           ; =>This Inner Loop Header: Depth=1
	buffer_load_dword v116, v113, s[0:3], 0 offen
	buffer_load_dword v117, v113, s[0:3], 0 offen offset:4
	ds_read_b64 v[118:119], v112
	v_add_u32_e32 v114, 1, v114
	v_cmp_lt_u32_e32 vcc, 48, v114
	v_add_u32_e32 v112, 8, v112
	v_add_u32_e32 v113, 8, v113
	s_or_b64 s[10:11], vcc, s[10:11]
	s_waitcnt vmcnt(0) lgkmcnt(0)
	v_fmac_f64_e32 v[108:109], v[116:117], v[118:119]
	s_andn2_b64 exec, exec, s[10:11]
	s_cbranch_execnz .LBB116_1007
; %bb.1008:
	s_or_b64 exec, exec, s[10:11]
.LBB116_1009:
	s_or_b64 exec, exec, s[8:9]
	v_mov_b32_e32 v112, 0
	ds_read_b64 v[112:113], v112 offset:400
	s_waitcnt lgkmcnt(0)
	v_mul_f64 v[108:109], v[108:109], v[112:113]
	buffer_store_dword v109, off, s[0:3], 0 offset:404
	buffer_store_dword v108, off, s[0:3], 0 offset:400
.LBB116_1010:
	s_or_b64 exec, exec, s[6:7]
	buffer_load_dword v108, off, s[0:3], 0 offset:408
	buffer_load_dword v109, off, s[0:3], 0 offset:412
	v_cmp_gt_u32_e64 s[6:7], 51, v0
	s_waitcnt vmcnt(0)
	ds_write_b64 v110, v[108:109]
	s_waitcnt lgkmcnt(0)
	; wave barrier
	s_waitcnt lgkmcnt(0)
	s_and_saveexec_b64 s[8:9], s[6:7]
	s_cbranch_execz .LBB116_1020
; %bb.1011:
	s_and_b64 vcc, exec, s[4:5]
	s_cbranch_vccnz .LBB116_1013
; %bb.1012:
	buffer_load_dword v108, v111, s[0:3], 0 offen
	buffer_load_dword v109, v111, s[0:3], 0 offen offset:4
	ds_read_b64 v[112:113], v110
	s_waitcnt vmcnt(0) lgkmcnt(0)
	v_mul_f64 v[108:109], v[108:109], v[112:113]
	s_cbranch_execz .LBB116_1014
	s_branch .LBB116_1015
.LBB116_1013:
                                        ; implicit-def: $vgpr108_vgpr109
.LBB116_1014:
	ds_read_b64 v[108:109], v110
.LBB116_1015:
	v_cmp_ne_u32_e32 vcc, 50, v0
	s_and_saveexec_b64 s[10:11], vcc
	s_cbranch_execz .LBB116_1019
; %bb.1016:
	v_mov_b32_e32 v113, 0
	v_add_u32_e32 v112, 0x1b8, v1
	v_add3_u32 v113, v1, v113, 8
	s_mov_b64 s[12:13], 0
	v_mov_b32_e32 v114, v0
.LBB116_1017:                           ; =>This Inner Loop Header: Depth=1
	buffer_load_dword v116, v113, s[0:3], 0 offen
	buffer_load_dword v117, v113, s[0:3], 0 offen offset:4
	ds_read_b64 v[118:119], v112
	v_add_u32_e32 v114, 1, v114
	v_cmp_lt_u32_e32 vcc, 49, v114
	v_add_u32_e32 v112, 8, v112
	v_add_u32_e32 v113, 8, v113
	s_or_b64 s[12:13], vcc, s[12:13]
	s_waitcnt vmcnt(0) lgkmcnt(0)
	v_fmac_f64_e32 v[108:109], v[116:117], v[118:119]
	s_andn2_b64 exec, exec, s[12:13]
	s_cbranch_execnz .LBB116_1017
; %bb.1018:
	s_or_b64 exec, exec, s[12:13]
.LBB116_1019:
	s_or_b64 exec, exec, s[10:11]
	v_mov_b32_e32 v112, 0
	ds_read_b64 v[112:113], v112 offset:408
	s_waitcnt lgkmcnt(0)
	v_mul_f64 v[108:109], v[108:109], v[112:113]
	buffer_store_dword v109, off, s[0:3], 0 offset:412
	buffer_store_dword v108, off, s[0:3], 0 offset:408
.LBB116_1020:
	s_or_b64 exec, exec, s[8:9]
	buffer_load_dword v108, off, s[0:3], 0 offset:416
	buffer_load_dword v109, off, s[0:3], 0 offset:420
	v_cmp_ne_u32_e32 vcc, 52, v0
	s_waitcnt vmcnt(0)
	ds_write_b64 v110, v[108:109]
	s_waitcnt lgkmcnt(0)
	; wave barrier
	s_waitcnt lgkmcnt(0)
	s_and_saveexec_b64 s[8:9], vcc
	s_cbranch_execz .LBB116_1030
; %bb.1021:
	s_and_b64 vcc, exec, s[4:5]
	s_cbranch_vccnz .LBB116_1023
; %bb.1022:
	buffer_load_dword v108, v111, s[0:3], 0 offen
	buffer_load_dword v109, v111, s[0:3], 0 offen offset:4
	ds_read_b64 v[112:113], v110
	s_waitcnt vmcnt(0) lgkmcnt(0)
	v_mul_f64 v[108:109], v[108:109], v[112:113]
	s_cbranch_execz .LBB116_1024
	s_branch .LBB116_1025
.LBB116_1023:
                                        ; implicit-def: $vgpr108_vgpr109
.LBB116_1024:
	ds_read_b64 v[108:109], v110
.LBB116_1025:
	s_and_saveexec_b64 s[4:5], s[6:7]
	s_cbranch_execz .LBB116_1029
; %bb.1026:
	v_mov_b32_e32 v111, 0
	v_add_u32_e32 v110, 0x1b8, v1
	v_add3_u32 v1, v1, v111, 8
	s_mov_b64 s[6:7], 0
.LBB116_1027:                           ; =>This Inner Loop Header: Depth=1
	buffer_load_dword v112, v1, s[0:3], 0 offen
	buffer_load_dword v113, v1, s[0:3], 0 offen offset:4
	ds_read_b64 v[114:115], v110
	v_add_u32_e32 v0, 1, v0
	v_cmp_lt_u32_e32 vcc, 50, v0
	v_add_u32_e32 v110, 8, v110
	v_add_u32_e32 v1, 8, v1
	s_or_b64 s[6:7], vcc, s[6:7]
	s_waitcnt vmcnt(0) lgkmcnt(0)
	v_fmac_f64_e32 v[108:109], v[112:113], v[114:115]
	s_andn2_b64 exec, exec, s[6:7]
	s_cbranch_execnz .LBB116_1027
; %bb.1028:
	s_or_b64 exec, exec, s[6:7]
.LBB116_1029:
	s_or_b64 exec, exec, s[4:5]
	v_mov_b32_e32 v0, 0
	ds_read_b64 v[0:1], v0 offset:416
	s_waitcnt lgkmcnt(0)
	v_mul_f64 v[0:1], v[108:109], v[0:1]
	buffer_store_dword v1, off, s[0:3], 0 offset:420
	buffer_store_dword v0, off, s[0:3], 0 offset:416
.LBB116_1030:
	s_or_b64 exec, exec, s[8:9]
.LBB116_1031:
	buffer_load_dword v0, off, s[0:3], 0
	buffer_load_dword v1, off, s[0:3], 0 offset:4
	buffer_load_dword v108, off, s[0:3], 0 offset:8
	;; [unrolled: 1-line block ×105, first 2 shown]
	s_waitcnt vmcnt(62)
	global_store_dwordx2 v[96:97], v[0:1], off
	global_store_dwordx2 v[100:101], v[108:109], off
	global_store_dwordx2 v[2:3], v[110:111], off
	global_store_dwordx2 v[4:5], v[112:113], off
	global_store_dwordx2 v[6:7], v[114:115], off
	global_store_dwordx2 v[8:9], v[116:117], off
	global_store_dwordx2 v[10:11], v[118:119], off
	global_store_dwordx2 v[12:13], v[120:121], off
	global_store_dwordx2 v[14:15], v[128:129], off
	global_store_dwordx2 v[16:17], v[122:123], off
	global_store_dwordx2 v[18:19], v[124:125], off
	global_store_dwordx2 v[20:21], v[126:127], off
	global_store_dwordx2 v[22:23], v[130:131], off
	global_store_dwordx2 v[24:25], v[132:133], off
	global_store_dwordx2 v[26:27], v[134:135], off
	global_store_dwordx2 v[28:29], v[136:137], off
	global_store_dwordx2 v[30:31], v[138:139], off
	global_store_dwordx2 v[32:33], v[140:141], off
	global_store_dwordx2 v[34:35], v[142:143], off
	global_store_dwordx2 v[36:37], v[144:145], off
	global_store_dwordx2 v[38:39], v[146:147], off
	global_store_dwordx2 v[40:41], v[148:149], off
	s_waitcnt vmcnt(62)
	global_store_dwordx2 v[42:43], v[150:151], off
	global_store_dwordx2 v[44:45], v[152:153], off
	;; [unrolled: 1-line block ×11, first 2 shown]
	s_waitcnt vmcnt(62)
	global_store_dwordx2 v[64:65], v[172:173], off
	global_store_dwordx2 v[66:67], v[174:175], off
	global_store_dwordx2 v[68:69], v[176:177], off
	global_store_dwordx2 v[70:71], v[178:179], off
	global_store_dwordx2 v[72:73], v[180:181], off
	s_waitcnt vmcnt(62)
	global_store_dwordx2 v[74:75], v[182:183], off
	global_store_dwordx2 v[76:77], v[184:185], off
	;; [unrolled: 1-line block ×3, first 2 shown]
	s_waitcnt vmcnt(62)
	global_store_dwordx2 v[80:81], v[188:189], off
	s_waitcnt vmcnt(62)
	global_store_dwordx2 v[82:83], v[190:191], off
	;; [unrolled: 2-line block ×12, first 2 shown]
.LBB116_1032:
	s_endpgm
	.section	.rodata,"a",@progbits
	.p2align	6, 0x0
	.amdhsa_kernel _ZN9rocsolver6v33100L18trti2_kernel_smallILi53EdPKPdEEv13rocblas_fill_17rocblas_diagonal_T1_iil
		.amdhsa_group_segment_fixed_size 856
		.amdhsa_private_segment_fixed_size 432
		.amdhsa_kernarg_size 32
		.amdhsa_user_sgpr_count 8
		.amdhsa_user_sgpr_private_segment_buffer 1
		.amdhsa_user_sgpr_dispatch_ptr 0
		.amdhsa_user_sgpr_queue_ptr 0
		.amdhsa_user_sgpr_kernarg_segment_ptr 1
		.amdhsa_user_sgpr_dispatch_id 0
		.amdhsa_user_sgpr_flat_scratch_init 1
		.amdhsa_user_sgpr_kernarg_preload_length 0
		.amdhsa_user_sgpr_kernarg_preload_offset 0
		.amdhsa_user_sgpr_private_segment_size 0
		.amdhsa_uses_dynamic_stack 0
		.amdhsa_system_sgpr_private_segment_wavefront_offset 1
		.amdhsa_system_sgpr_workgroup_id_x 1
		.amdhsa_system_sgpr_workgroup_id_y 0
		.amdhsa_system_sgpr_workgroup_id_z 0
		.amdhsa_system_sgpr_workgroup_info 0
		.amdhsa_system_vgpr_workitem_id 0
		.amdhsa_next_free_vgpr 212
		.amdhsa_next_free_sgpr 16
		.amdhsa_accum_offset 212
		.amdhsa_reserve_vcc 1
		.amdhsa_reserve_flat_scratch 0
		.amdhsa_float_round_mode_32 0
		.amdhsa_float_round_mode_16_64 0
		.amdhsa_float_denorm_mode_32 3
		.amdhsa_float_denorm_mode_16_64 3
		.amdhsa_dx10_clamp 1
		.amdhsa_ieee_mode 1
		.amdhsa_fp16_overflow 0
		.amdhsa_tg_split 0
		.amdhsa_exception_fp_ieee_invalid_op 0
		.amdhsa_exception_fp_denorm_src 0
		.amdhsa_exception_fp_ieee_div_zero 0
		.amdhsa_exception_fp_ieee_overflow 0
		.amdhsa_exception_fp_ieee_underflow 0
		.amdhsa_exception_fp_ieee_inexact 0
		.amdhsa_exception_int_div_zero 0
	.end_amdhsa_kernel
	.section	.text._ZN9rocsolver6v33100L18trti2_kernel_smallILi53EdPKPdEEv13rocblas_fill_17rocblas_diagonal_T1_iil,"axG",@progbits,_ZN9rocsolver6v33100L18trti2_kernel_smallILi53EdPKPdEEv13rocblas_fill_17rocblas_diagonal_T1_iil,comdat
.Lfunc_end116:
	.size	_ZN9rocsolver6v33100L18trti2_kernel_smallILi53EdPKPdEEv13rocblas_fill_17rocblas_diagonal_T1_iil, .Lfunc_end116-_ZN9rocsolver6v33100L18trti2_kernel_smallILi53EdPKPdEEv13rocblas_fill_17rocblas_diagonal_T1_iil
                                        ; -- End function
	.section	.AMDGPU.csdata,"",@progbits
; Kernel info:
; codeLenInByte = 30752
; NumSgprs: 20
; NumVgprs: 212
; NumAgprs: 0
; TotalNumVgprs: 212
; ScratchSize: 432
; MemoryBound: 0
; FloatMode: 240
; IeeeMode: 1
; LDSByteSize: 856 bytes/workgroup (compile time only)
; SGPRBlocks: 2
; VGPRBlocks: 26
; NumSGPRsForWavesPerEU: 20
; NumVGPRsForWavesPerEU: 212
; AccumOffset: 212
; Occupancy: 2
; WaveLimiterHint : 1
; COMPUTE_PGM_RSRC2:SCRATCH_EN: 1
; COMPUTE_PGM_RSRC2:USER_SGPR: 8
; COMPUTE_PGM_RSRC2:TRAP_HANDLER: 0
; COMPUTE_PGM_RSRC2:TGID_X_EN: 1
; COMPUTE_PGM_RSRC2:TGID_Y_EN: 0
; COMPUTE_PGM_RSRC2:TGID_Z_EN: 0
; COMPUTE_PGM_RSRC2:TIDIG_COMP_CNT: 0
; COMPUTE_PGM_RSRC3_GFX90A:ACCUM_OFFSET: 52
; COMPUTE_PGM_RSRC3_GFX90A:TG_SPLIT: 0
	.section	.text._ZN9rocsolver6v33100L18trti2_kernel_smallILi54EdPKPdEEv13rocblas_fill_17rocblas_diagonal_T1_iil,"axG",@progbits,_ZN9rocsolver6v33100L18trti2_kernel_smallILi54EdPKPdEEv13rocblas_fill_17rocblas_diagonal_T1_iil,comdat
	.globl	_ZN9rocsolver6v33100L18trti2_kernel_smallILi54EdPKPdEEv13rocblas_fill_17rocblas_diagonal_T1_iil ; -- Begin function _ZN9rocsolver6v33100L18trti2_kernel_smallILi54EdPKPdEEv13rocblas_fill_17rocblas_diagonal_T1_iil
	.p2align	8
	.type	_ZN9rocsolver6v33100L18trti2_kernel_smallILi54EdPKPdEEv13rocblas_fill_17rocblas_diagonal_T1_iil,@function
_ZN9rocsolver6v33100L18trti2_kernel_smallILi54EdPKPdEEv13rocblas_fill_17rocblas_diagonal_T1_iil: ; @_ZN9rocsolver6v33100L18trti2_kernel_smallILi54EdPKPdEEv13rocblas_fill_17rocblas_diagonal_T1_iil
; %bb.0:
	s_add_u32 s0, s0, s9
	s_addc_u32 s1, s1, 0
	v_cmp_gt_u32_e32 vcc, 54, v0
	s_and_saveexec_b64 s[6:7], vcc
	s_cbranch_execz .LBB117_1052
; %bb.1:
	s_load_dwordx2 s[6:7], s[4:5], 0x10
	s_load_dwordx4 s[12:15], s[4:5], 0x0
	s_ashr_i32 s9, s8, 31
	s_lshl_b64 s[4:5], s[8:9], 3
	s_waitcnt lgkmcnt(0)
	s_ashr_i32 s9, s6, 31
	s_add_u32 s4, s14, s4
	s_addc_u32 s5, s15, s5
	s_load_dwordx2 s[4:5], s[4:5], 0x0
	s_mov_b32 s8, s6
	s_lshl_b64 s[8:9], s[8:9], 3
	s_waitcnt lgkmcnt(0)
	s_add_u32 s4, s4, s8
	s_addc_u32 s5, s5, s9
	s_add_i32 s6, s7, s7
	v_add_u32_e32 v4, s6, v0
	v_ashrrev_i32_e32 v5, 31, v4
	v_lshlrev_b64 v[2:3], 3, v[4:5]
	v_add_u32_e32 v6, s7, v4
	v_mov_b32_e32 v1, s5
	v_add_co_u32_e32 v2, vcc, s4, v2
	v_ashrrev_i32_e32 v7, 31, v6
	v_addc_co_u32_e32 v3, vcc, v1, v3, vcc
	v_lshlrev_b64 v[4:5], 3, v[6:7]
	v_add_u32_e32 v8, s7, v6
	v_add_co_u32_e32 v4, vcc, s4, v4
	v_ashrrev_i32_e32 v9, 31, v8
	v_addc_co_u32_e32 v5, vcc, v1, v5, vcc
	v_lshlrev_b64 v[6:7], 3, v[8:9]
	v_add_u32_e32 v10, s7, v8
	;; [unrolled: 5-line block ×44, first 2 shown]
	v_add_co_u32_e32 v90, vcc, s4, v90
	v_ashrrev_i32_e32 v95, 31, v94
	v_addc_co_u32_e32 v91, vcc, v1, v91, vcc
	v_lshlrev_b64 v[92:93], 3, v[94:95]
	v_add_co_u32_e32 v92, vcc, s4, v92
	v_addc_co_u32_e32 v93, vcc, v1, v93, vcc
	v_lshlrev_b32_e32 v1, 3, v0
	global_load_dwordx2 v[110:111], v1, s[4:5]
	global_load_dwordx2 v[114:115], v[2:3], off
	global_load_dwordx2 v[116:117], v[4:5], off
	;; [unrolled: 1-line block ×3, first 2 shown]
	v_mov_b32_e32 v95, s5
	v_add_co_u32_e32 v100, vcc, s4, v1
	s_ashr_i32 s9, s7, 31
	s_mov_b32 s8, s7
	v_addc_co_u32_e32 v101, vcc, 0, v95, vcc
	s_lshl_b64 s[8:9], s[8:9], 3
	v_mov_b32_e32 v95, s9
	v_add_co_u32_e32 v102, vcc, s8, v100
	v_addc_co_u32_e32 v103, vcc, v101, v95, vcc
	global_load_dwordx2 v[112:113], v[102:103], off
	global_load_dwordx2 v[120:121], v[8:9], off
	;; [unrolled: 1-line block ×3, first 2 shown]
	v_add_u32_e32 v96, s7, v94
	v_ashrrev_i32_e32 v97, 31, v96
	v_lshlrev_b64 v[94:95], 3, v[96:97]
	v_mov_b32_e32 v98, s5
	v_add_co_u32_e32 v94, vcc, s4, v94
	global_load_dwordx2 v[124:125], v[12:13], off
	global_load_dwordx2 v[126:127], v[14:15], off
	;; [unrolled: 1-line block ×4, first 2 shown]
	v_addc_co_u32_e32 v95, vcc, v98, v95, vcc
	v_add_u32_e32 v98, s7, v96
	v_ashrrev_i32_e32 v99, 31, v98
	v_lshlrev_b64 v[96:97], 3, v[98:99]
	v_mov_b32_e32 v104, s5
	v_add_co_u32_e32 v96, vcc, s4, v96
	v_addc_co_u32_e32 v97, vcc, v104, v97, vcc
	v_add_u32_e32 v104, s7, v98
	v_ashrrev_i32_e32 v105, 31, v104
	v_lshlrev_b64 v[98:99], 3, v[104:105]
	v_mov_b32_e32 v106, s5
	v_add_co_u32_e32 v98, vcc, s4, v98
	;; [unrolled: 6-line block ×3, first 2 shown]
	v_addc_co_u32_e32 v105, vcc, v108, v105, vcc
	v_add_u32_e32 v108, s7, v106
	v_ashrrev_i32_e32 v109, 31, v108
	v_lshlrev_b64 v[106:107], 3, v[108:109]
	v_add_u32_e32 v108, s7, v108
	global_load_dwordx2 v[132:133], v[20:21], off
	global_load_dwordx2 v[134:135], v[22:23], off
	;; [unrolled: 1-line block ×3, first 2 shown]
	v_mov_b32_e32 v146, s5
	v_add_co_u32_e32 v106, vcc, s4, v106
	v_ashrrev_i32_e32 v109, 31, v108
	v_addc_co_u32_e32 v107, vcc, v146, v107, vcc
	v_lshlrev_b64 v[108:109], 3, v[108:109]
	v_mov_b32_e32 v162, s5
	v_add_co_u32_e32 v108, vcc, s4, v108
	global_load_dwordx2 v[138:139], v[26:27], off
	global_load_dwordx2 v[140:141], v[28:29], off
	;; [unrolled: 1-line block ×12, first 2 shown]
	v_addc_co_u32_e32 v109, vcc, v162, v109, vcc
	global_load_dwordx2 v[162:163], v[50:51], off
	global_load_dwordx2 v[164:165], v[108:109], off
	;; [unrolled: 1-line block ×16, first 2 shown]
	s_cmpk_lg_i32 s13, 0x84
	s_waitcnt vmcnt(41)
	buffer_store_dword v111, off, s[0:3], 0 offset:4
	buffer_store_dword v110, off, s[0:3], 0
	global_load_dwordx2 v[110:111], v[56:57], off
	s_cselect_b64 s[8:9], -1, 0
	s_waitcnt vmcnt(40)
	buffer_store_dword v113, off, s[0:3], 0 offset:12
	buffer_store_dword v112, off, s[0:3], 0 offset:8
	global_load_dwordx2 v[112:113], v[60:61], off
	s_cmpk_eq_i32 s13, 0x84
	buffer_store_dword v115, off, s[0:3], 0 offset:20
	buffer_store_dword v114, off, s[0:3], 0 offset:16
	global_load_dwordx2 v[114:115], v[64:65], off
	s_nop 0
	buffer_store_dword v117, off, s[0:3], 0 offset:28
	buffer_store_dword v116, off, s[0:3], 0 offset:24
	global_load_dwordx2 v[116:117], v[68:69], off
	s_nop 0
	buffer_store_dword v119, off, s[0:3], 0 offset:36
	buffer_store_dword v118, off, s[0:3], 0 offset:32
	global_load_dwordx2 v[118:119], v[72:73], off
	s_waitcnt vmcnt(51)
	buffer_store_dword v121, off, s[0:3], 0 offset:44
	buffer_store_dword v120, off, s[0:3], 0 offset:40
	global_load_dwordx2 v[120:121], v[76:77], off
	s_waitcnt vmcnt(53)
	;; [unrolled: 4-line block ×7, first 2 shown]
	buffer_store_dword v132, off, s[0:3], 0 offset:88
	buffer_store_dword v133, off, s[0:3], 0 offset:92
	global_load_dwordx2 v[132:133], v[104:105], off
	s_nop 0
	buffer_store_dword v134, off, s[0:3], 0 offset:96
	buffer_store_dword v135, off, s[0:3], 0 offset:100
	s_waitcnt vmcnt(62)
	buffer_store_dword v136, off, s[0:3], 0 offset:104
	buffer_store_dword v137, off, s[0:3], 0 offset:108
	;; [unrolled: 1-line block ×10, first 2 shown]
	s_waitcnt vmcnt(62)
	buffer_store_dword v146, off, s[0:3], 0 offset:144
	buffer_store_dword v147, off, s[0:3], 0 offset:148
	;; [unrolled: 1-line block ×18, first 2 shown]
	s_waitcnt vmcnt(62)
	buffer_store_dword v166, off, s[0:3], 0 offset:216
	buffer_store_dword v167, off, s[0:3], 0 offset:220
	;; [unrolled: 1-line block ×8, first 2 shown]
	s_waitcnt vmcnt(62)
	buffer_store_dword v113, off, s[0:3], 0 offset:252
	buffer_store_dword v112, off, s[0:3], 0 offset:248
	;; [unrolled: 1-line block ×12, first 2 shown]
	s_waitcnt vmcnt(62)
	buffer_store_dword v119, off, s[0:3], 0 offset:300
	buffer_store_dword v118, off, s[0:3], 0 offset:296
	;; [unrolled: 1-line block ×16, first 2 shown]
	s_waitcnt vmcnt(62)
	buffer_store_dword v126, off, s[0:3], 0 offset:360
	buffer_store_dword v127, off, s[0:3], 0 offset:364
	;; [unrolled: 1-line block ×18, first 2 shown]
	v_mov_b32_e32 v110, 0
	v_mov_b32_e32 v164, 0
	;; [unrolled: 1-line block ×3, first 2 shown]
	s_cbranch_scc1 .LBB117_3
; %bb.2:
	v_lshl_add_u32 v120, v0, 3, v164
	buffer_load_dword v110, v120, s[0:3], 0 offen
	buffer_load_dword v111, v120, s[0:3], 0 offen offset:4
	s_waitcnt vmcnt(0)
	v_div_scale_f64 v[112:113], s[4:5], v[110:111], v[110:111], 1.0
	v_rcp_f64_e32 v[114:115], v[112:113]
	v_div_scale_f64 v[116:117], vcc, 1.0, v[110:111], 1.0
	v_fma_f64 v[118:119], -v[112:113], v[114:115], 1.0
	v_fmac_f64_e32 v[114:115], v[114:115], v[118:119]
	v_fma_f64 v[118:119], -v[112:113], v[114:115], 1.0
	v_fmac_f64_e32 v[114:115], v[114:115], v[118:119]
	v_mul_f64 v[118:119], v[116:117], v[114:115]
	v_fma_f64 v[112:113], -v[112:113], v[118:119], v[116:117]
	v_div_fmas_f64 v[112:113], v[112:113], v[114:115], v[118:119]
	v_div_fixup_f64 v[110:111], v[112:113], v[110:111], 1.0
	buffer_store_dword v110, v120, s[0:3], 0 offen
	buffer_store_dword v111, v120, s[0:3], 0 offen offset:4
	v_xor_b32_e32 v111, 0x80000000, v111
.LBB117_3:
	s_cmpk_eq_i32 s12, 0x79
	v_add_u32_e32 v112, 0x1b0, v1
	v_add_u32_e32 v113, 0, v1
	s_mov_b64 s[4:5], -1
	ds_write_b64 v1, v[110:111]
	s_cbranch_scc1 .LBB117_527
; %bb.4:
	buffer_load_dword v110, off, s[0:3], 0 offset:416
	buffer_load_dword v111, off, s[0:3], 0 offset:420
	v_cmp_eq_u32_e64 s[4:5], 53, v0
	s_waitcnt vmcnt(0)
	ds_write_b64 v112, v[110:111]
	s_waitcnt lgkmcnt(0)
	; wave barrier
	s_waitcnt lgkmcnt(0)
	s_and_saveexec_b64 s[6:7], s[4:5]
	s_cbranch_execz .LBB117_10
; %bb.5:
	s_and_b64 vcc, exec, s[8:9]
	s_cbranch_vccz .LBB117_7
; %bb.6:
	buffer_load_dword v110, v113, s[0:3], 0 offen
	buffer_load_dword v111, v113, s[0:3], 0 offen offset:4
	ds_read_b64 v[114:115], v112
	s_waitcnt vmcnt(0) lgkmcnt(0)
	v_mul_f64 v[110:111], v[110:111], v[114:115]
	s_cbranch_execz .LBB117_8
	s_branch .LBB117_9
.LBB117_7:
                                        ; implicit-def: $vgpr110_vgpr111
.LBB117_8:
	ds_read_b64 v[110:111], v112
.LBB117_9:
	v_mov_b32_e32 v114, 0
	ds_read_b64 v[114:115], v114 offset:416
	s_waitcnt lgkmcnt(0)
	v_mul_f64 v[110:111], v[110:111], v[114:115]
	buffer_store_dword v111, off, s[0:3], 0 offset:420
	buffer_store_dword v110, off, s[0:3], 0 offset:416
.LBB117_10:
	s_or_b64 exec, exec, s[6:7]
	buffer_load_dword v110, off, s[0:3], 0 offset:408
	buffer_load_dword v111, off, s[0:3], 0 offset:412
	v_or_b32_e32 v114, 8, v164
	v_add_u32_e32 v115, 16, v164
	v_add_u32_e32 v116, 24, v164
	;; [unrolled: 1-line block ×50, first 2 shown]
	v_cmp_lt_u32_e64 s[6:7], 51, v0
	s_waitcnt vmcnt(0)
	ds_write_b64 v112, v[110:111]
	s_waitcnt lgkmcnt(0)
	; wave barrier
	s_waitcnt lgkmcnt(0)
	s_and_saveexec_b64 s[10:11], s[6:7]
	s_cbranch_execz .LBB117_16
; %bb.11:
	s_andn2_b64 vcc, exec, s[8:9]
	s_cbranch_vccnz .LBB117_13
; %bb.12:
	buffer_load_dword v110, v113, s[0:3], 0 offen
	buffer_load_dword v111, v113, s[0:3], 0 offen offset:4
	ds_read_b64 v[166:167], v112
	s_waitcnt vmcnt(0) lgkmcnt(0)
	v_mul_f64 v[110:111], v[110:111], v[166:167]
	s_cbranch_execz .LBB117_14
	s_branch .LBB117_15
.LBB117_13:
                                        ; implicit-def: $vgpr110_vgpr111
.LBB117_14:
	ds_read_b64 v[110:111], v112
.LBB117_15:
	buffer_load_dword v170, off, s[0:3], 0 offset:416
	buffer_load_dword v171, off, s[0:3], 0 offset:420
	v_mov_b32_e32 v165, 0
	ds_read2_b64 v[166:169], v165 offset0:51 offset1:106
	s_waitcnt vmcnt(0) lgkmcnt(0)
	v_fma_f64 v[168:169], v[170:171], v[168:169], v[110:111]
	v_cndmask_b32_e64 v111, v111, v169, s[4:5]
	v_cndmask_b32_e64 v110, v110, v168, s[4:5]
	v_mul_f64 v[110:111], v[110:111], v[166:167]
	buffer_store_dword v111, off, s[0:3], 0 offset:412
	buffer_store_dword v110, off, s[0:3], 0 offset:408
.LBB117_16:
	s_or_b64 exec, exec, s[10:11]
	buffer_load_dword v110, off, s[0:3], 0 offset:400
	buffer_load_dword v111, off, s[0:3], 0 offset:404
	v_cmp_lt_u32_e64 s[4:5], 50, v0
	s_waitcnt vmcnt(0)
	ds_write_b64 v112, v[110:111]
	s_waitcnt lgkmcnt(0)
	; wave barrier
	s_waitcnt lgkmcnt(0)
	s_and_saveexec_b64 s[10:11], s[4:5]
	s_cbranch_execz .LBB117_26
; %bb.17:
	s_andn2_b64 vcc, exec, s[8:9]
	s_cbranch_vccnz .LBB117_19
; %bb.18:
	buffer_load_dword v110, v113, s[0:3], 0 offen
	buffer_load_dword v111, v113, s[0:3], 0 offen offset:4
	ds_read_b64 v[166:167], v112
	s_waitcnt vmcnt(0) lgkmcnt(0)
	v_mul_f64 v[110:111], v[110:111], v[166:167]
	s_cbranch_execz .LBB117_20
	s_branch .LBB117_21
.LBB117_19:
                                        ; implicit-def: $vgpr110_vgpr111
.LBB117_20:
	ds_read_b64 v[110:111], v112
.LBB117_21:
	s_and_saveexec_b64 s[12:13], s[6:7]
	s_cbranch_execz .LBB117_25
; %bb.22:
	v_subrev_u32_e32 v165, 51, v0
	s_movk_i32 s14, 0x348
	s_mov_b64 s[6:7], 0
.LBB117_23:                             ; =>This Inner Loop Header: Depth=1
	buffer_load_dword v166, v164, s[0:3], 0 offen
	buffer_load_dword v167, v164, s[0:3], 0 offen offset:4
	v_mov_b32_e32 v168, s14
	ds_read_b64 v[168:169], v168
	v_add_u32_e32 v165, -1, v165
	s_add_i32 s14, s14, 8
	v_cmp_eq_u32_e32 vcc, 0, v165
	v_add_u32_e32 v164, 8, v164
	s_or_b64 s[6:7], vcc, s[6:7]
	s_waitcnt vmcnt(0) lgkmcnt(0)
	v_fmac_f64_e32 v[110:111], v[166:167], v[168:169]
	s_andn2_b64 exec, exec, s[6:7]
	s_cbranch_execnz .LBB117_23
; %bb.24:
	s_or_b64 exec, exec, s[6:7]
.LBB117_25:
	s_or_b64 exec, exec, s[12:13]
	v_mov_b32_e32 v164, 0
	ds_read_b64 v[164:165], v164 offset:400
	s_waitcnt lgkmcnt(0)
	v_mul_f64 v[110:111], v[110:111], v[164:165]
	buffer_store_dword v111, off, s[0:3], 0 offset:404
	buffer_store_dword v110, off, s[0:3], 0 offset:400
.LBB117_26:
	s_or_b64 exec, exec, s[10:11]
	buffer_load_dword v110, off, s[0:3], 0 offset:392
	buffer_load_dword v111, off, s[0:3], 0 offset:396
	v_cmp_lt_u32_e64 s[6:7], 49, v0
	s_waitcnt vmcnt(0)
	ds_write_b64 v112, v[110:111]
	s_waitcnt lgkmcnt(0)
	; wave barrier
	s_waitcnt lgkmcnt(0)
	s_and_saveexec_b64 s[10:11], s[6:7]
	s_cbranch_execz .LBB117_36
; %bb.27:
	s_andn2_b64 vcc, exec, s[8:9]
	s_cbranch_vccnz .LBB117_29
; %bb.28:
	buffer_load_dword v110, v113, s[0:3], 0 offen
	buffer_load_dword v111, v113, s[0:3], 0 offen offset:4
	ds_read_b64 v[164:165], v112
	s_waitcnt vmcnt(0) lgkmcnt(0)
	v_mul_f64 v[110:111], v[110:111], v[164:165]
	s_cbranch_execz .LBB117_30
	s_branch .LBB117_31
.LBB117_29:
                                        ; implicit-def: $vgpr110_vgpr111
.LBB117_30:
	ds_read_b64 v[110:111], v112
.LBB117_31:
	s_and_saveexec_b64 s[12:13], s[4:5]
	s_cbranch_execz .LBB117_35
; %bb.32:
	v_subrev_u32_e32 v164, 50, v0
	s_movk_i32 s14, 0x340
	s_mov_b64 s[4:5], 0
.LBB117_33:                             ; =>This Inner Loop Header: Depth=1
	buffer_load_dword v166, v163, s[0:3], 0 offen
	buffer_load_dword v167, v163, s[0:3], 0 offen offset:4
	v_mov_b32_e32 v165, s14
	ds_read_b64 v[168:169], v165
	v_add_u32_e32 v164, -1, v164
	s_add_i32 s14, s14, 8
	v_cmp_eq_u32_e32 vcc, 0, v164
	v_add_u32_e32 v163, 8, v163
	s_or_b64 s[4:5], vcc, s[4:5]
	s_waitcnt vmcnt(0) lgkmcnt(0)
	v_fmac_f64_e32 v[110:111], v[166:167], v[168:169]
	s_andn2_b64 exec, exec, s[4:5]
	s_cbranch_execnz .LBB117_33
; %bb.34:
	s_or_b64 exec, exec, s[4:5]
.LBB117_35:
	s_or_b64 exec, exec, s[12:13]
	v_mov_b32_e32 v163, 0
	ds_read_b64 v[164:165], v163 offset:392
	s_waitcnt lgkmcnt(0)
	v_mul_f64 v[110:111], v[110:111], v[164:165]
	buffer_store_dword v111, off, s[0:3], 0 offset:396
	buffer_store_dword v110, off, s[0:3], 0 offset:392
.LBB117_36:
	;; [unrolled: 58-line block ×8, first 2 shown]
	s_or_b64 exec, exec, s[10:11]
	buffer_load_dword v110, off, s[0:3], 0 offset:336
	buffer_load_dword v111, off, s[0:3], 0 offset:340
	v_cmp_lt_u32_e64 s[4:5], 42, v0
	s_waitcnt vmcnt(0)
	ds_write_b64 v112, v[110:111]
	s_waitcnt lgkmcnt(0)
	; wave barrier
	s_waitcnt lgkmcnt(0)
	s_and_saveexec_b64 s[10:11], s[4:5]
	s_cbranch_execz .LBB117_106
; %bb.97:
	s_andn2_b64 vcc, exec, s[8:9]
	s_cbranch_vccnz .LBB117_99
; %bb.98:
	buffer_load_dword v110, v113, s[0:3], 0 offen
	buffer_load_dword v111, v113, s[0:3], 0 offen offset:4
	ds_read_b64 v[158:159], v112
	s_waitcnt vmcnt(0) lgkmcnt(0)
	v_mul_f64 v[110:111], v[110:111], v[158:159]
	s_cbranch_execz .LBB117_100
	s_branch .LBB117_101
.LBB117_99:
                                        ; implicit-def: $vgpr110_vgpr111
.LBB117_100:
	ds_read_b64 v[110:111], v112
.LBB117_101:
	s_and_saveexec_b64 s[12:13], s[6:7]
	s_cbranch_execz .LBB117_105
; %bb.102:
	v_subrev_u32_e32 v157, 43, v0
	s_movk_i32 s14, 0x308
	s_mov_b64 s[6:7], 0
.LBB117_103:                            ; =>This Inner Loop Header: Depth=1
	buffer_load_dword v158, v156, s[0:3], 0 offen
	buffer_load_dword v159, v156, s[0:3], 0 offen offset:4
	v_mov_b32_e32 v160, s14
	ds_read_b64 v[160:161], v160
	v_add_u32_e32 v157, -1, v157
	s_add_i32 s14, s14, 8
	v_cmp_eq_u32_e32 vcc, 0, v157
	v_add_u32_e32 v156, 8, v156
	s_or_b64 s[6:7], vcc, s[6:7]
	s_waitcnt vmcnt(0) lgkmcnt(0)
	v_fmac_f64_e32 v[110:111], v[158:159], v[160:161]
	s_andn2_b64 exec, exec, s[6:7]
	s_cbranch_execnz .LBB117_103
; %bb.104:
	s_or_b64 exec, exec, s[6:7]
.LBB117_105:
	s_or_b64 exec, exec, s[12:13]
	v_mov_b32_e32 v156, 0
	ds_read_b64 v[156:157], v156 offset:336
	s_waitcnt lgkmcnt(0)
	v_mul_f64 v[110:111], v[110:111], v[156:157]
	buffer_store_dword v111, off, s[0:3], 0 offset:340
	buffer_store_dword v110, off, s[0:3], 0 offset:336
.LBB117_106:
	s_or_b64 exec, exec, s[10:11]
	buffer_load_dword v110, off, s[0:3], 0 offset:328
	buffer_load_dword v111, off, s[0:3], 0 offset:332
	v_cmp_lt_u32_e64 s[6:7], 41, v0
	s_waitcnt vmcnt(0)
	ds_write_b64 v112, v[110:111]
	s_waitcnt lgkmcnt(0)
	; wave barrier
	s_waitcnt lgkmcnt(0)
	s_and_saveexec_b64 s[10:11], s[6:7]
	s_cbranch_execz .LBB117_116
; %bb.107:
	s_andn2_b64 vcc, exec, s[8:9]
	s_cbranch_vccnz .LBB117_109
; %bb.108:
	buffer_load_dword v110, v113, s[0:3], 0 offen
	buffer_load_dword v111, v113, s[0:3], 0 offen offset:4
	ds_read_b64 v[156:157], v112
	s_waitcnt vmcnt(0) lgkmcnt(0)
	v_mul_f64 v[110:111], v[110:111], v[156:157]
	s_cbranch_execz .LBB117_110
	s_branch .LBB117_111
.LBB117_109:
                                        ; implicit-def: $vgpr110_vgpr111
.LBB117_110:
	ds_read_b64 v[110:111], v112
.LBB117_111:
	s_and_saveexec_b64 s[12:13], s[4:5]
	s_cbranch_execz .LBB117_115
; %bb.112:
	v_subrev_u32_e32 v156, 42, v0
	s_movk_i32 s14, 0x300
	s_mov_b64 s[4:5], 0
.LBB117_113:                            ; =>This Inner Loop Header: Depth=1
	buffer_load_dword v158, v155, s[0:3], 0 offen
	buffer_load_dword v159, v155, s[0:3], 0 offen offset:4
	v_mov_b32_e32 v157, s14
	ds_read_b64 v[160:161], v157
	v_add_u32_e32 v156, -1, v156
	s_add_i32 s14, s14, 8
	v_cmp_eq_u32_e32 vcc, 0, v156
	v_add_u32_e32 v155, 8, v155
	s_or_b64 s[4:5], vcc, s[4:5]
	s_waitcnt vmcnt(0) lgkmcnt(0)
	v_fmac_f64_e32 v[110:111], v[158:159], v[160:161]
	s_andn2_b64 exec, exec, s[4:5]
	s_cbranch_execnz .LBB117_113
; %bb.114:
	s_or_b64 exec, exec, s[4:5]
.LBB117_115:
	s_or_b64 exec, exec, s[12:13]
	v_mov_b32_e32 v155, 0
	ds_read_b64 v[156:157], v155 offset:328
	s_waitcnt lgkmcnt(0)
	v_mul_f64 v[110:111], v[110:111], v[156:157]
	buffer_store_dword v111, off, s[0:3], 0 offset:332
	buffer_store_dword v110, off, s[0:3], 0 offset:328
.LBB117_116:
	;; [unrolled: 58-line block ×27, first 2 shown]
	s_or_b64 exec, exec, s[10:11]
	buffer_load_dword v110, off, s[0:3], 0 offset:120
	buffer_load_dword v111, off, s[0:3], 0 offset:124
	v_cmp_lt_u32_e64 s[6:7], 15, v0
	s_waitcnt vmcnt(0)
	ds_write_b64 v112, v[110:111]
	s_waitcnt lgkmcnt(0)
	; wave barrier
	s_waitcnt lgkmcnt(0)
	s_and_saveexec_b64 s[10:11], s[6:7]
	s_cbranch_execz .LBB117_376
; %bb.367:
	s_andn2_b64 vcc, exec, s[8:9]
	s_cbranch_vccnz .LBB117_369
; %bb.368:
	buffer_load_dword v110, v113, s[0:3], 0 offen
	buffer_load_dword v111, v113, s[0:3], 0 offen offset:4
	ds_read_b64 v[130:131], v112
	s_waitcnt vmcnt(0) lgkmcnt(0)
	v_mul_f64 v[110:111], v[110:111], v[130:131]
	s_cbranch_execz .LBB117_370
	s_branch .LBB117_371
.LBB117_369:
                                        ; implicit-def: $vgpr110_vgpr111
.LBB117_370:
	ds_read_b64 v[110:111], v112
.LBB117_371:
	s_and_saveexec_b64 s[12:13], s[4:5]
	s_cbranch_execz .LBB117_375
; %bb.372:
	v_add_u32_e32 v130, -16, v0
	s_movk_i32 s14, 0x230
	s_mov_b64 s[4:5], 0
.LBB117_373:                            ; =>This Inner Loop Header: Depth=1
	buffer_load_dword v132, v129, s[0:3], 0 offen
	buffer_load_dword v133, v129, s[0:3], 0 offen offset:4
	v_mov_b32_e32 v131, s14
	ds_read_b64 v[134:135], v131
	v_add_u32_e32 v130, -1, v130
	s_add_i32 s14, s14, 8
	v_cmp_eq_u32_e32 vcc, 0, v130
	v_add_u32_e32 v129, 8, v129
	s_or_b64 s[4:5], vcc, s[4:5]
	s_waitcnt vmcnt(0) lgkmcnt(0)
	v_fmac_f64_e32 v[110:111], v[132:133], v[134:135]
	s_andn2_b64 exec, exec, s[4:5]
	s_cbranch_execnz .LBB117_373
; %bb.374:
	s_or_b64 exec, exec, s[4:5]
.LBB117_375:
	s_or_b64 exec, exec, s[12:13]
	v_mov_b32_e32 v129, 0
	ds_read_b64 v[130:131], v129 offset:120
	s_waitcnt lgkmcnt(0)
	v_mul_f64 v[110:111], v[110:111], v[130:131]
	buffer_store_dword v111, off, s[0:3], 0 offset:124
	buffer_store_dword v110, off, s[0:3], 0 offset:120
.LBB117_376:
	s_or_b64 exec, exec, s[10:11]
	buffer_load_dword v110, off, s[0:3], 0 offset:112
	buffer_load_dword v111, off, s[0:3], 0 offset:116
	v_cmp_lt_u32_e64 s[4:5], 14, v0
	s_waitcnt vmcnt(0)
	ds_write_b64 v112, v[110:111]
	s_waitcnt lgkmcnt(0)
	; wave barrier
	s_waitcnt lgkmcnt(0)
	s_and_saveexec_b64 s[10:11], s[4:5]
	s_cbranch_execz .LBB117_386
; %bb.377:
	s_andn2_b64 vcc, exec, s[8:9]
	s_cbranch_vccnz .LBB117_379
; %bb.378:
	buffer_load_dword v110, v113, s[0:3], 0 offen
	buffer_load_dword v111, v113, s[0:3], 0 offen offset:4
	ds_read_b64 v[130:131], v112
	s_waitcnt vmcnt(0) lgkmcnt(0)
	v_mul_f64 v[110:111], v[110:111], v[130:131]
	s_cbranch_execz .LBB117_380
	s_branch .LBB117_381
.LBB117_379:
                                        ; implicit-def: $vgpr110_vgpr111
.LBB117_380:
	ds_read_b64 v[110:111], v112
.LBB117_381:
	s_and_saveexec_b64 s[12:13], s[6:7]
	s_cbranch_execz .LBB117_385
; %bb.382:
	v_add_u32_e32 v129, -15, v0
	s_movk_i32 s14, 0x228
	s_mov_b64 s[6:7], 0
.LBB117_383:                            ; =>This Inner Loop Header: Depth=1
	buffer_load_dword v130, v128, s[0:3], 0 offen
	buffer_load_dword v131, v128, s[0:3], 0 offen offset:4
	v_mov_b32_e32 v132, s14
	ds_read_b64 v[132:133], v132
	v_add_u32_e32 v129, -1, v129
	s_add_i32 s14, s14, 8
	v_cmp_eq_u32_e32 vcc, 0, v129
	v_add_u32_e32 v128, 8, v128
	s_or_b64 s[6:7], vcc, s[6:7]
	s_waitcnt vmcnt(0) lgkmcnt(0)
	v_fmac_f64_e32 v[110:111], v[130:131], v[132:133]
	s_andn2_b64 exec, exec, s[6:7]
	s_cbranch_execnz .LBB117_383
; %bb.384:
	s_or_b64 exec, exec, s[6:7]
.LBB117_385:
	s_or_b64 exec, exec, s[12:13]
	v_mov_b32_e32 v128, 0
	ds_read_b64 v[128:129], v128 offset:112
	s_waitcnt lgkmcnt(0)
	v_mul_f64 v[110:111], v[110:111], v[128:129]
	buffer_store_dword v111, off, s[0:3], 0 offset:116
	buffer_store_dword v110, off, s[0:3], 0 offset:112
.LBB117_386:
	;; [unrolled: 58-line block ×15, first 2 shown]
	s_or_b64 exec, exec, s[10:11]
	buffer_load_dword v110, off, s[0:3], 0
	buffer_load_dword v111, off, s[0:3], 0 offset:4
	v_cmp_ne_u32_e32 vcc, 0, v0
	s_waitcnt vmcnt(0)
	ds_write_b64 v112, v[110:111]
	s_waitcnt lgkmcnt(0)
	; wave barrier
	s_waitcnt lgkmcnt(0)
	s_and_saveexec_b64 s[4:5], vcc
	s_cbranch_execz .LBB117_526
; %bb.517:
	s_andn2_b64 vcc, exec, s[8:9]
	s_cbranch_vccnz .LBB117_519
; %bb.518:
	buffer_load_dword v110, v113, s[0:3], 0 offen
	buffer_load_dword v111, v113, s[0:3], 0 offen offset:4
	ds_read_b64 v[116:117], v112
	s_waitcnt vmcnt(0) lgkmcnt(0)
	v_mul_f64 v[110:111], v[110:111], v[116:117]
	s_cbranch_execz .LBB117_520
	s_branch .LBB117_521
.LBB117_519:
                                        ; implicit-def: $vgpr110_vgpr111
.LBB117_520:
	ds_read_b64 v[110:111], v112
.LBB117_521:
	s_and_saveexec_b64 s[10:11], s[6:7]
	s_cbranch_execz .LBB117_525
; %bb.522:
	v_add_u32_e32 v115, -1, v0
	s_movk_i32 s12, 0x1b8
	s_mov_b64 s[6:7], 0
.LBB117_523:                            ; =>This Inner Loop Header: Depth=1
	buffer_load_dword v116, v114, s[0:3], 0 offen
	buffer_load_dword v117, v114, s[0:3], 0 offen offset:4
	v_mov_b32_e32 v118, s12
	ds_read_b64 v[118:119], v118
	v_add_u32_e32 v115, -1, v115
	s_add_i32 s12, s12, 8
	v_cmp_eq_u32_e32 vcc, 0, v115
	v_add_u32_e32 v114, 8, v114
	s_or_b64 s[6:7], vcc, s[6:7]
	s_waitcnt vmcnt(0) lgkmcnt(0)
	v_fmac_f64_e32 v[110:111], v[116:117], v[118:119]
	s_andn2_b64 exec, exec, s[6:7]
	s_cbranch_execnz .LBB117_523
; %bb.524:
	s_or_b64 exec, exec, s[6:7]
.LBB117_525:
	s_or_b64 exec, exec, s[10:11]
	v_mov_b32_e32 v114, 0
	ds_read_b64 v[114:115], v114
	s_waitcnt lgkmcnt(0)
	v_mul_f64 v[110:111], v[110:111], v[114:115]
	buffer_store_dword v111, off, s[0:3], 0 offset:4
	buffer_store_dword v110, off, s[0:3], 0
.LBB117_526:
	s_or_b64 exec, exec, s[4:5]
	s_mov_b64 s[4:5], 0
.LBB117_527:
	s_and_b64 vcc, exec, s[4:5]
	s_cbranch_vccz .LBB117_1051
; %bb.528:
	buffer_load_dword v110, off, s[0:3], 0 offset:8
	buffer_load_dword v111, off, s[0:3], 0 offset:12
	v_cmp_eq_u32_e64 s[6:7], 0, v0
	s_waitcnt vmcnt(0)
	ds_write_b64 v112, v[110:111]
	s_waitcnt lgkmcnt(0)
	; wave barrier
	s_waitcnt lgkmcnt(0)
	s_and_saveexec_b64 s[4:5], s[6:7]
	s_cbranch_execz .LBB117_534
; %bb.529:
	s_and_b64 vcc, exec, s[8:9]
	s_cbranch_vccz .LBB117_531
; %bb.530:
	buffer_load_dword v110, v113, s[0:3], 0 offen
	buffer_load_dword v111, v113, s[0:3], 0 offen offset:4
	ds_read_b64 v[114:115], v112
	s_waitcnt vmcnt(0) lgkmcnt(0)
	v_mul_f64 v[110:111], v[110:111], v[114:115]
	s_cbranch_execz .LBB117_532
	s_branch .LBB117_533
.LBB117_531:
                                        ; implicit-def: $vgpr110_vgpr111
.LBB117_532:
	ds_read_b64 v[110:111], v112
.LBB117_533:
	v_mov_b32_e32 v114, 0
	ds_read_b64 v[114:115], v114 offset:8
	s_waitcnt lgkmcnt(0)
	v_mul_f64 v[110:111], v[110:111], v[114:115]
	buffer_store_dword v111, off, s[0:3], 0 offset:12
	buffer_store_dword v110, off, s[0:3], 0 offset:8
.LBB117_534:
	s_or_b64 exec, exec, s[4:5]
	buffer_load_dword v110, off, s[0:3], 0 offset:16
	buffer_load_dword v111, off, s[0:3], 0 offset:20
	v_cndmask_b32_e64 v114, 0, 1, s[8:9]
	v_cmp_gt_u32_e32 vcc, 2, v0
	v_cmp_ne_u32_e64 s[4:5], 1, v114
	s_waitcnt vmcnt(0)
	ds_write_b64 v112, v[110:111]
	s_waitcnt lgkmcnt(0)
	; wave barrier
	s_waitcnt lgkmcnt(0)
	s_and_saveexec_b64 s[8:9], vcc
	s_cbranch_execz .LBB117_542
; %bb.535:
	s_and_b64 vcc, exec, s[4:5]
	s_cbranch_vccnz .LBB117_537
; %bb.536:
	buffer_load_dword v110, v113, s[0:3], 0 offen
	buffer_load_dword v111, v113, s[0:3], 0 offen offset:4
	ds_read_b64 v[114:115], v112
	s_waitcnt vmcnt(0) lgkmcnt(0)
	v_mul_f64 v[110:111], v[110:111], v[114:115]
	s_cbranch_execz .LBB117_538
	s_branch .LBB117_539
.LBB117_537:
                                        ; implicit-def: $vgpr110_vgpr111
.LBB117_538:
	ds_read_b64 v[110:111], v112
.LBB117_539:
	s_and_saveexec_b64 s[10:11], s[6:7]
	s_cbranch_execz .LBB117_541
; %bb.540:
	buffer_load_dword v114, v113, s[0:3], 0 offen offset:8
	buffer_load_dword v115, v113, s[0:3], 0 offen offset:12
	ds_read_b64 v[116:117], v112 offset:8
	s_waitcnt vmcnt(0) lgkmcnt(0)
	v_fmac_f64_e32 v[110:111], v[114:115], v[116:117]
.LBB117_541:
	s_or_b64 exec, exec, s[10:11]
	v_mov_b32_e32 v114, 0
	ds_read_b64 v[114:115], v114 offset:16
	s_waitcnt lgkmcnt(0)
	v_mul_f64 v[110:111], v[110:111], v[114:115]
	buffer_store_dword v111, off, s[0:3], 0 offset:20
	buffer_store_dword v110, off, s[0:3], 0 offset:16
.LBB117_542:
	s_or_b64 exec, exec, s[8:9]
	buffer_load_dword v110, off, s[0:3], 0 offset:24
	buffer_load_dword v111, off, s[0:3], 0 offset:28
	v_cmp_gt_u32_e32 vcc, 3, v0
	s_waitcnt vmcnt(0)
	ds_write_b64 v112, v[110:111]
	s_waitcnt lgkmcnt(0)
	; wave barrier
	s_waitcnt lgkmcnt(0)
	s_and_saveexec_b64 s[8:9], vcc
	s_cbranch_execz .LBB117_550
; %bb.543:
	s_and_b64 vcc, exec, s[4:5]
	s_cbranch_vccnz .LBB117_545
; %bb.544:
	buffer_load_dword v110, v113, s[0:3], 0 offen
	buffer_load_dword v111, v113, s[0:3], 0 offen offset:4
	ds_read_b64 v[114:115], v112
	s_waitcnt vmcnt(0) lgkmcnt(0)
	v_mul_f64 v[110:111], v[110:111], v[114:115]
	s_cbranch_execz .LBB117_546
	s_branch .LBB117_547
.LBB117_545:
                                        ; implicit-def: $vgpr110_vgpr111
.LBB117_546:
	ds_read_b64 v[110:111], v112
.LBB117_547:
	v_cmp_ne_u32_e32 vcc, 2, v0
	s_and_saveexec_b64 s[10:11], vcc
	s_cbranch_execz .LBB117_549
; %bb.548:
	buffer_load_dword v115, v113, s[0:3], 0 offen offset:12
	buffer_load_dword v116, off, s[0:3], 0 offset:16
	buffer_load_dword v114, v113, s[0:3], 0 offen offset:8
	buffer_load_dword v117, off, s[0:3], 0 offset:20
	v_mov_b32_e32 v120, 0
	ds_read_b64 v[118:119], v112 offset:8
	ds_read_b64 v[120:121], v120 offset:448
	s_waitcnt vmcnt(1) lgkmcnt(1)
	v_fmac_f64_e32 v[110:111], v[114:115], v[118:119]
	s_waitcnt vmcnt(0) lgkmcnt(0)
	v_fma_f64 v[114:115], v[116:117], v[120:121], v[110:111]
	v_cndmask_b32_e64 v111, v111, v115, s[6:7]
	v_cndmask_b32_e64 v110, v110, v114, s[6:7]
.LBB117_549:
	s_or_b64 exec, exec, s[10:11]
	v_mov_b32_e32 v114, 0
	ds_read_b64 v[114:115], v114 offset:24
	s_waitcnt lgkmcnt(0)
	v_mul_f64 v[110:111], v[110:111], v[114:115]
	buffer_store_dword v111, off, s[0:3], 0 offset:28
	buffer_store_dword v110, off, s[0:3], 0 offset:24
.LBB117_550:
	s_or_b64 exec, exec, s[8:9]
	buffer_load_dword v110, off, s[0:3], 0 offset:32
	buffer_load_dword v111, off, s[0:3], 0 offset:36
	v_cmp_gt_u32_e32 vcc, 4, v0
	s_waitcnt vmcnt(0)
	ds_write_b64 v112, v[110:111]
	s_waitcnt lgkmcnt(0)
	; wave barrier
	s_waitcnt lgkmcnt(0)
	s_and_saveexec_b64 s[6:7], vcc
	s_cbranch_execz .LBB117_560
; %bb.551:
	s_and_b64 vcc, exec, s[4:5]
	s_cbranch_vccnz .LBB117_553
; %bb.552:
	buffer_load_dword v110, v113, s[0:3], 0 offen
	buffer_load_dword v111, v113, s[0:3], 0 offen offset:4
	ds_read_b64 v[114:115], v112
	s_waitcnt vmcnt(0) lgkmcnt(0)
	v_mul_f64 v[110:111], v[110:111], v[114:115]
	s_cbranch_execz .LBB117_554
	s_branch .LBB117_555
.LBB117_553:
                                        ; implicit-def: $vgpr110_vgpr111
.LBB117_554:
	ds_read_b64 v[110:111], v112
.LBB117_555:
	v_cmp_ne_u32_e32 vcc, 3, v0
	s_and_saveexec_b64 s[8:9], vcc
	s_cbranch_execz .LBB117_559
; %bb.556:
	v_mov_b32_e32 v115, 0
	v_add_u32_e32 v114, 0x1b8, v1
	v_add3_u32 v115, v1, v115, 8
	s_mov_b64 s[10:11], 0
	v_mov_b32_e32 v116, v0
.LBB117_557:                            ; =>This Inner Loop Header: Depth=1
	buffer_load_dword v118, v115, s[0:3], 0 offen
	buffer_load_dword v119, v115, s[0:3], 0 offen offset:4
	ds_read_b64 v[120:121], v114
	v_add_u32_e32 v116, 1, v116
	v_cmp_lt_u32_e32 vcc, 2, v116
	v_add_u32_e32 v114, 8, v114
	v_add_u32_e32 v115, 8, v115
	s_or_b64 s[10:11], vcc, s[10:11]
	s_waitcnt vmcnt(0) lgkmcnt(0)
	v_fmac_f64_e32 v[110:111], v[118:119], v[120:121]
	s_andn2_b64 exec, exec, s[10:11]
	s_cbranch_execnz .LBB117_557
; %bb.558:
	s_or_b64 exec, exec, s[10:11]
.LBB117_559:
	s_or_b64 exec, exec, s[8:9]
	v_mov_b32_e32 v114, 0
	ds_read_b64 v[114:115], v114 offset:32
	s_waitcnt lgkmcnt(0)
	v_mul_f64 v[110:111], v[110:111], v[114:115]
	buffer_store_dword v111, off, s[0:3], 0 offset:36
	buffer_store_dword v110, off, s[0:3], 0 offset:32
.LBB117_560:
	s_or_b64 exec, exec, s[6:7]
	buffer_load_dword v110, off, s[0:3], 0 offset:40
	buffer_load_dword v111, off, s[0:3], 0 offset:44
	v_cmp_gt_u32_e32 vcc, 5, v0
	s_waitcnt vmcnt(0)
	ds_write_b64 v112, v[110:111]
	s_waitcnt lgkmcnt(0)
	; wave barrier
	s_waitcnt lgkmcnt(0)
	s_and_saveexec_b64 s[6:7], vcc
	s_cbranch_execz .LBB117_570
; %bb.561:
	s_and_b64 vcc, exec, s[4:5]
	s_cbranch_vccnz .LBB117_563
; %bb.562:
	buffer_load_dword v110, v113, s[0:3], 0 offen
	buffer_load_dword v111, v113, s[0:3], 0 offen offset:4
	ds_read_b64 v[114:115], v112
	s_waitcnt vmcnt(0) lgkmcnt(0)
	v_mul_f64 v[110:111], v[110:111], v[114:115]
	s_cbranch_execz .LBB117_564
	s_branch .LBB117_565
.LBB117_563:
                                        ; implicit-def: $vgpr110_vgpr111
.LBB117_564:
	ds_read_b64 v[110:111], v112
.LBB117_565:
	v_cmp_ne_u32_e32 vcc, 4, v0
	s_and_saveexec_b64 s[8:9], vcc
	s_cbranch_execz .LBB117_569
; %bb.566:
	v_mov_b32_e32 v115, 0
	v_add_u32_e32 v114, 0x1b8, v1
	v_add3_u32 v115, v1, v115, 8
	s_mov_b64 s[10:11], 0
	v_mov_b32_e32 v116, v0
.LBB117_567:                            ; =>This Inner Loop Header: Depth=1
	buffer_load_dword v118, v115, s[0:3], 0 offen
	buffer_load_dword v119, v115, s[0:3], 0 offen offset:4
	ds_read_b64 v[120:121], v114
	v_add_u32_e32 v116, 1, v116
	v_cmp_lt_u32_e32 vcc, 3, v116
	v_add_u32_e32 v114, 8, v114
	v_add_u32_e32 v115, 8, v115
	s_or_b64 s[10:11], vcc, s[10:11]
	s_waitcnt vmcnt(0) lgkmcnt(0)
	v_fmac_f64_e32 v[110:111], v[118:119], v[120:121]
	s_andn2_b64 exec, exec, s[10:11]
	s_cbranch_execnz .LBB117_567
; %bb.568:
	s_or_b64 exec, exec, s[10:11]
.LBB117_569:
	s_or_b64 exec, exec, s[8:9]
	v_mov_b32_e32 v114, 0
	ds_read_b64 v[114:115], v114 offset:40
	s_waitcnt lgkmcnt(0)
	v_mul_f64 v[110:111], v[110:111], v[114:115]
	buffer_store_dword v111, off, s[0:3], 0 offset:44
	buffer_store_dword v110, off, s[0:3], 0 offset:40
.LBB117_570:
	;; [unrolled: 60-line block ×45, first 2 shown]
	s_or_b64 exec, exec, s[6:7]
	buffer_load_dword v110, off, s[0:3], 0 offset:392
	buffer_load_dword v111, off, s[0:3], 0 offset:396
	v_cmp_gt_u32_e32 vcc, 49, v0
	s_waitcnt vmcnt(0)
	ds_write_b64 v112, v[110:111]
	s_waitcnt lgkmcnt(0)
	; wave barrier
	s_waitcnt lgkmcnt(0)
	s_and_saveexec_b64 s[6:7], vcc
	s_cbranch_execz .LBB117_1010
; %bb.1001:
	s_and_b64 vcc, exec, s[4:5]
	s_cbranch_vccnz .LBB117_1003
; %bb.1002:
	buffer_load_dword v110, v113, s[0:3], 0 offen
	buffer_load_dword v111, v113, s[0:3], 0 offen offset:4
	ds_read_b64 v[114:115], v112
	s_waitcnt vmcnt(0) lgkmcnt(0)
	v_mul_f64 v[110:111], v[110:111], v[114:115]
	s_cbranch_execz .LBB117_1004
	s_branch .LBB117_1005
.LBB117_1003:
                                        ; implicit-def: $vgpr110_vgpr111
.LBB117_1004:
	ds_read_b64 v[110:111], v112
.LBB117_1005:
	v_cmp_ne_u32_e32 vcc, 48, v0
	s_and_saveexec_b64 s[8:9], vcc
	s_cbranch_execz .LBB117_1009
; %bb.1006:
	v_mov_b32_e32 v115, 0
	v_add_u32_e32 v114, 0x1b8, v1
	v_add3_u32 v115, v1, v115, 8
	s_mov_b64 s[10:11], 0
	v_mov_b32_e32 v116, v0
.LBB117_1007:                           ; =>This Inner Loop Header: Depth=1
	buffer_load_dword v118, v115, s[0:3], 0 offen
	buffer_load_dword v119, v115, s[0:3], 0 offen offset:4
	ds_read_b64 v[120:121], v114
	v_add_u32_e32 v116, 1, v116
	v_cmp_lt_u32_e32 vcc, 47, v116
	v_add_u32_e32 v114, 8, v114
	v_add_u32_e32 v115, 8, v115
	s_or_b64 s[10:11], vcc, s[10:11]
	s_waitcnt vmcnt(0) lgkmcnt(0)
	v_fmac_f64_e32 v[110:111], v[118:119], v[120:121]
	s_andn2_b64 exec, exec, s[10:11]
	s_cbranch_execnz .LBB117_1007
; %bb.1008:
	s_or_b64 exec, exec, s[10:11]
.LBB117_1009:
	s_or_b64 exec, exec, s[8:9]
	v_mov_b32_e32 v114, 0
	ds_read_b64 v[114:115], v114 offset:392
	s_waitcnt lgkmcnt(0)
	v_mul_f64 v[110:111], v[110:111], v[114:115]
	buffer_store_dword v111, off, s[0:3], 0 offset:396
	buffer_store_dword v110, off, s[0:3], 0 offset:392
.LBB117_1010:
	s_or_b64 exec, exec, s[6:7]
	buffer_load_dword v110, off, s[0:3], 0 offset:400
	buffer_load_dword v111, off, s[0:3], 0 offset:404
	v_cmp_gt_u32_e32 vcc, 50, v0
	s_waitcnt vmcnt(0)
	ds_write_b64 v112, v[110:111]
	s_waitcnt lgkmcnt(0)
	; wave barrier
	s_waitcnt lgkmcnt(0)
	s_and_saveexec_b64 s[6:7], vcc
	s_cbranch_execz .LBB117_1020
; %bb.1011:
	s_and_b64 vcc, exec, s[4:5]
	s_cbranch_vccnz .LBB117_1013
; %bb.1012:
	buffer_load_dword v110, v113, s[0:3], 0 offen
	buffer_load_dword v111, v113, s[0:3], 0 offen offset:4
	ds_read_b64 v[114:115], v112
	s_waitcnt vmcnt(0) lgkmcnt(0)
	v_mul_f64 v[110:111], v[110:111], v[114:115]
	s_cbranch_execz .LBB117_1014
	s_branch .LBB117_1015
.LBB117_1013:
                                        ; implicit-def: $vgpr110_vgpr111
.LBB117_1014:
	ds_read_b64 v[110:111], v112
.LBB117_1015:
	v_cmp_ne_u32_e32 vcc, 49, v0
	s_and_saveexec_b64 s[8:9], vcc
	s_cbranch_execz .LBB117_1019
; %bb.1016:
	v_mov_b32_e32 v115, 0
	v_add_u32_e32 v114, 0x1b8, v1
	v_add3_u32 v115, v1, v115, 8
	s_mov_b64 s[10:11], 0
	v_mov_b32_e32 v116, v0
.LBB117_1017:                           ; =>This Inner Loop Header: Depth=1
	buffer_load_dword v118, v115, s[0:3], 0 offen
	buffer_load_dword v119, v115, s[0:3], 0 offen offset:4
	ds_read_b64 v[120:121], v114
	v_add_u32_e32 v116, 1, v116
	v_cmp_lt_u32_e32 vcc, 48, v116
	v_add_u32_e32 v114, 8, v114
	v_add_u32_e32 v115, 8, v115
	s_or_b64 s[10:11], vcc, s[10:11]
	s_waitcnt vmcnt(0) lgkmcnt(0)
	v_fmac_f64_e32 v[110:111], v[118:119], v[120:121]
	s_andn2_b64 exec, exec, s[10:11]
	s_cbranch_execnz .LBB117_1017
; %bb.1018:
	s_or_b64 exec, exec, s[10:11]
.LBB117_1019:
	s_or_b64 exec, exec, s[8:9]
	v_mov_b32_e32 v114, 0
	ds_read_b64 v[114:115], v114 offset:400
	s_waitcnt lgkmcnt(0)
	v_mul_f64 v[110:111], v[110:111], v[114:115]
	buffer_store_dword v111, off, s[0:3], 0 offset:404
	buffer_store_dword v110, off, s[0:3], 0 offset:400
.LBB117_1020:
	;; [unrolled: 60-line block ×3, first 2 shown]
	s_or_b64 exec, exec, s[6:7]
	buffer_load_dword v110, off, s[0:3], 0 offset:416
	buffer_load_dword v111, off, s[0:3], 0 offset:420
	v_cmp_gt_u32_e64 s[6:7], 52, v0
	s_waitcnt vmcnt(0)
	ds_write_b64 v112, v[110:111]
	s_waitcnt lgkmcnt(0)
	; wave barrier
	s_waitcnt lgkmcnt(0)
	s_and_saveexec_b64 s[8:9], s[6:7]
	s_cbranch_execz .LBB117_1040
; %bb.1031:
	s_and_b64 vcc, exec, s[4:5]
	s_cbranch_vccnz .LBB117_1033
; %bb.1032:
	buffer_load_dword v110, v113, s[0:3], 0 offen
	buffer_load_dword v111, v113, s[0:3], 0 offen offset:4
	ds_read_b64 v[114:115], v112
	s_waitcnt vmcnt(0) lgkmcnt(0)
	v_mul_f64 v[110:111], v[110:111], v[114:115]
	s_cbranch_execz .LBB117_1034
	s_branch .LBB117_1035
.LBB117_1033:
                                        ; implicit-def: $vgpr110_vgpr111
.LBB117_1034:
	ds_read_b64 v[110:111], v112
.LBB117_1035:
	v_cmp_ne_u32_e32 vcc, 51, v0
	s_and_saveexec_b64 s[10:11], vcc
	s_cbranch_execz .LBB117_1039
; %bb.1036:
	v_mov_b32_e32 v115, 0
	v_add_u32_e32 v114, 0x1b8, v1
	v_add3_u32 v115, v1, v115, 8
	s_mov_b64 s[12:13], 0
	v_mov_b32_e32 v116, v0
.LBB117_1037:                           ; =>This Inner Loop Header: Depth=1
	buffer_load_dword v118, v115, s[0:3], 0 offen
	buffer_load_dword v119, v115, s[0:3], 0 offen offset:4
	ds_read_b64 v[120:121], v114
	v_add_u32_e32 v116, 1, v116
	v_cmp_lt_u32_e32 vcc, 50, v116
	v_add_u32_e32 v114, 8, v114
	v_add_u32_e32 v115, 8, v115
	s_or_b64 s[12:13], vcc, s[12:13]
	s_waitcnt vmcnt(0) lgkmcnt(0)
	v_fmac_f64_e32 v[110:111], v[118:119], v[120:121]
	s_andn2_b64 exec, exec, s[12:13]
	s_cbranch_execnz .LBB117_1037
; %bb.1038:
	s_or_b64 exec, exec, s[12:13]
.LBB117_1039:
	s_or_b64 exec, exec, s[10:11]
	v_mov_b32_e32 v114, 0
	ds_read_b64 v[114:115], v114 offset:416
	s_waitcnt lgkmcnt(0)
	v_mul_f64 v[110:111], v[110:111], v[114:115]
	buffer_store_dword v111, off, s[0:3], 0 offset:420
	buffer_store_dword v110, off, s[0:3], 0 offset:416
.LBB117_1040:
	s_or_b64 exec, exec, s[8:9]
	buffer_load_dword v110, off, s[0:3], 0 offset:424
	buffer_load_dword v111, off, s[0:3], 0 offset:428
	v_cmp_ne_u32_e32 vcc, 53, v0
	s_waitcnt vmcnt(0)
	ds_write_b64 v112, v[110:111]
	s_waitcnt lgkmcnt(0)
	; wave barrier
	s_waitcnt lgkmcnt(0)
	s_and_saveexec_b64 s[8:9], vcc
	s_cbranch_execz .LBB117_1050
; %bb.1041:
	s_and_b64 vcc, exec, s[4:5]
	s_cbranch_vccnz .LBB117_1043
; %bb.1042:
	buffer_load_dword v110, v113, s[0:3], 0 offen
	buffer_load_dword v111, v113, s[0:3], 0 offen offset:4
	ds_read_b64 v[114:115], v112
	s_waitcnt vmcnt(0) lgkmcnt(0)
	v_mul_f64 v[110:111], v[110:111], v[114:115]
	s_cbranch_execz .LBB117_1044
	s_branch .LBB117_1045
.LBB117_1043:
                                        ; implicit-def: $vgpr110_vgpr111
.LBB117_1044:
	ds_read_b64 v[110:111], v112
.LBB117_1045:
	s_and_saveexec_b64 s[4:5], s[6:7]
	s_cbranch_execz .LBB117_1049
; %bb.1046:
	v_mov_b32_e32 v113, 0
	v_add_u32_e32 v112, 0x1b8, v1
	v_add3_u32 v1, v1, v113, 8
	s_mov_b64 s[6:7], 0
.LBB117_1047:                           ; =>This Inner Loop Header: Depth=1
	buffer_load_dword v114, v1, s[0:3], 0 offen
	buffer_load_dword v115, v1, s[0:3], 0 offen offset:4
	ds_read_b64 v[116:117], v112
	v_add_u32_e32 v0, 1, v0
	v_cmp_lt_u32_e32 vcc, 51, v0
	v_add_u32_e32 v112, 8, v112
	v_add_u32_e32 v1, 8, v1
	s_or_b64 s[6:7], vcc, s[6:7]
	s_waitcnt vmcnt(0) lgkmcnt(0)
	v_fmac_f64_e32 v[110:111], v[114:115], v[116:117]
	s_andn2_b64 exec, exec, s[6:7]
	s_cbranch_execnz .LBB117_1047
; %bb.1048:
	s_or_b64 exec, exec, s[6:7]
.LBB117_1049:
	s_or_b64 exec, exec, s[4:5]
	v_mov_b32_e32 v0, 0
	ds_read_b64 v[0:1], v0 offset:424
	s_waitcnt lgkmcnt(0)
	v_mul_f64 v[0:1], v[110:111], v[0:1]
	buffer_store_dword v1, off, s[0:3], 0 offset:428
	buffer_store_dword v0, off, s[0:3], 0 offset:424
.LBB117_1050:
	s_or_b64 exec, exec, s[8:9]
.LBB117_1051:
	buffer_load_dword v0, off, s[0:3], 0
	buffer_load_dword v1, off, s[0:3], 0 offset:4
	buffer_load_dword v110, off, s[0:3], 0 offset:8
	;; [unrolled: 1-line block ×107, first 2 shown]
	s_waitcnt vmcnt(62)
	global_store_dwordx2 v[100:101], v[0:1], off
	global_store_dwordx2 v[102:103], v[110:111], off
	;; [unrolled: 1-line block ×23, first 2 shown]
	s_waitcnt vmcnt(62)
	global_store_dwordx2 v[44:45], v[154:155], off
	global_store_dwordx2 v[46:47], v[156:157], off
	;; [unrolled: 1-line block ×11, first 2 shown]
	s_waitcnt vmcnt(62)
	global_store_dwordx2 v[66:67], v[176:177], off
	global_store_dwordx2 v[68:69], v[178:179], off
	;; [unrolled: 1-line block ×6, first 2 shown]
	s_waitcnt vmcnt(62)
	global_store_dwordx2 v[78:79], v[188:189], off
	global_store_dwordx2 v[80:81], v[190:191], off
	global_store_dwordx2 v[82:83], v[192:193], off
	s_waitcnt vmcnt(62)
	global_store_dwordx2 v[84:85], v[194:195], off
	s_waitcnt vmcnt(62)
	global_store_dwordx2 v[86:87], v[196:197], off
	;; [unrolled: 2-line block ×11, first 2 shown]
.LBB117_1052:
	s_endpgm
	.section	.rodata,"a",@progbits
	.p2align	6, 0x0
	.amdhsa_kernel _ZN9rocsolver6v33100L18trti2_kernel_smallILi54EdPKPdEEv13rocblas_fill_17rocblas_diagonal_T1_iil
		.amdhsa_group_segment_fixed_size 864
		.amdhsa_private_segment_fixed_size 448
		.amdhsa_kernarg_size 32
		.amdhsa_user_sgpr_count 8
		.amdhsa_user_sgpr_private_segment_buffer 1
		.amdhsa_user_sgpr_dispatch_ptr 0
		.amdhsa_user_sgpr_queue_ptr 0
		.amdhsa_user_sgpr_kernarg_segment_ptr 1
		.amdhsa_user_sgpr_dispatch_id 0
		.amdhsa_user_sgpr_flat_scratch_init 1
		.amdhsa_user_sgpr_kernarg_preload_length 0
		.amdhsa_user_sgpr_kernarg_preload_offset 0
		.amdhsa_user_sgpr_private_segment_size 0
		.amdhsa_uses_dynamic_stack 0
		.amdhsa_system_sgpr_private_segment_wavefront_offset 1
		.amdhsa_system_sgpr_workgroup_id_x 1
		.amdhsa_system_sgpr_workgroup_id_y 0
		.amdhsa_system_sgpr_workgroup_id_z 0
		.amdhsa_system_sgpr_workgroup_info 0
		.amdhsa_system_vgpr_workitem_id 0
		.amdhsa_next_free_vgpr 216
		.amdhsa_next_free_sgpr 16
		.amdhsa_accum_offset 216
		.amdhsa_reserve_vcc 1
		.amdhsa_reserve_flat_scratch 0
		.amdhsa_float_round_mode_32 0
		.amdhsa_float_round_mode_16_64 0
		.amdhsa_float_denorm_mode_32 3
		.amdhsa_float_denorm_mode_16_64 3
		.amdhsa_dx10_clamp 1
		.amdhsa_ieee_mode 1
		.amdhsa_fp16_overflow 0
		.amdhsa_tg_split 0
		.amdhsa_exception_fp_ieee_invalid_op 0
		.amdhsa_exception_fp_denorm_src 0
		.amdhsa_exception_fp_ieee_div_zero 0
		.amdhsa_exception_fp_ieee_overflow 0
		.amdhsa_exception_fp_ieee_underflow 0
		.amdhsa_exception_fp_ieee_inexact 0
		.amdhsa_exception_int_div_zero 0
	.end_amdhsa_kernel
	.section	.text._ZN9rocsolver6v33100L18trti2_kernel_smallILi54EdPKPdEEv13rocblas_fill_17rocblas_diagonal_T1_iil,"axG",@progbits,_ZN9rocsolver6v33100L18trti2_kernel_smallILi54EdPKPdEEv13rocblas_fill_17rocblas_diagonal_T1_iil,comdat
.Lfunc_end117:
	.size	_ZN9rocsolver6v33100L18trti2_kernel_smallILi54EdPKPdEEv13rocblas_fill_17rocblas_diagonal_T1_iil, .Lfunc_end117-_ZN9rocsolver6v33100L18trti2_kernel_smallILi54EdPKPdEEv13rocblas_fill_17rocblas_diagonal_T1_iil
                                        ; -- End function
	.section	.AMDGPU.csdata,"",@progbits
; Kernel info:
; codeLenInByte = 31332
; NumSgprs: 20
; NumVgprs: 216
; NumAgprs: 0
; TotalNumVgprs: 216
; ScratchSize: 448
; MemoryBound: 0
; FloatMode: 240
; IeeeMode: 1
; LDSByteSize: 864 bytes/workgroup (compile time only)
; SGPRBlocks: 2
; VGPRBlocks: 26
; NumSGPRsForWavesPerEU: 20
; NumVGPRsForWavesPerEU: 216
; AccumOffset: 216
; Occupancy: 2
; WaveLimiterHint : 1
; COMPUTE_PGM_RSRC2:SCRATCH_EN: 1
; COMPUTE_PGM_RSRC2:USER_SGPR: 8
; COMPUTE_PGM_RSRC2:TRAP_HANDLER: 0
; COMPUTE_PGM_RSRC2:TGID_X_EN: 1
; COMPUTE_PGM_RSRC2:TGID_Y_EN: 0
; COMPUTE_PGM_RSRC2:TGID_Z_EN: 0
; COMPUTE_PGM_RSRC2:TIDIG_COMP_CNT: 0
; COMPUTE_PGM_RSRC3_GFX90A:ACCUM_OFFSET: 53
; COMPUTE_PGM_RSRC3_GFX90A:TG_SPLIT: 0
	.section	.text._ZN9rocsolver6v33100L18trti2_kernel_smallILi55EdPKPdEEv13rocblas_fill_17rocblas_diagonal_T1_iil,"axG",@progbits,_ZN9rocsolver6v33100L18trti2_kernel_smallILi55EdPKPdEEv13rocblas_fill_17rocblas_diagonal_T1_iil,comdat
	.globl	_ZN9rocsolver6v33100L18trti2_kernel_smallILi55EdPKPdEEv13rocblas_fill_17rocblas_diagonal_T1_iil ; -- Begin function _ZN9rocsolver6v33100L18trti2_kernel_smallILi55EdPKPdEEv13rocblas_fill_17rocblas_diagonal_T1_iil
	.p2align	8
	.type	_ZN9rocsolver6v33100L18trti2_kernel_smallILi55EdPKPdEEv13rocblas_fill_17rocblas_diagonal_T1_iil,@function
_ZN9rocsolver6v33100L18trti2_kernel_smallILi55EdPKPdEEv13rocblas_fill_17rocblas_diagonal_T1_iil: ; @_ZN9rocsolver6v33100L18trti2_kernel_smallILi55EdPKPdEEv13rocblas_fill_17rocblas_diagonal_T1_iil
; %bb.0:
	s_add_u32 s0, s0, s9
	s_addc_u32 s1, s1, 0
	v_cmp_gt_u32_e32 vcc, 55, v0
	s_and_saveexec_b64 s[6:7], vcc
	s_cbranch_execz .LBB118_1072
; %bb.1:
	s_load_dwordx2 s[6:7], s[4:5], 0x10
	s_load_dwordx4 s[12:15], s[4:5], 0x0
	s_ashr_i32 s9, s8, 31
	s_lshl_b64 s[4:5], s[8:9], 3
	s_waitcnt lgkmcnt(0)
	s_ashr_i32 s9, s6, 31
	s_add_u32 s4, s14, s4
	s_addc_u32 s5, s15, s5
	s_load_dwordx2 s[4:5], s[4:5], 0x0
	s_mov_b32 s8, s6
	s_lshl_b64 s[8:9], s[8:9], 3
	s_waitcnt lgkmcnt(0)
	s_add_u32 s4, s4, s8
	s_addc_u32 s5, s5, s9
	s_add_i32 s6, s7, s7
	v_add_u32_e32 v4, s6, v0
	v_ashrrev_i32_e32 v5, 31, v4
	v_lshlrev_b64 v[2:3], 3, v[4:5]
	v_add_u32_e32 v6, s7, v4
	v_mov_b32_e32 v1, s5
	v_add_co_u32_e32 v2, vcc, s4, v2
	v_ashrrev_i32_e32 v7, 31, v6
	v_addc_co_u32_e32 v3, vcc, v1, v3, vcc
	v_lshlrev_b64 v[4:5], 3, v[6:7]
	v_add_u32_e32 v8, s7, v6
	v_add_co_u32_e32 v4, vcc, s4, v4
	v_ashrrev_i32_e32 v9, 31, v8
	v_addc_co_u32_e32 v5, vcc, v1, v5, vcc
	v_lshlrev_b64 v[6:7], 3, v[8:9]
	v_add_u32_e32 v10, s7, v8
	;; [unrolled: 5-line block ×44, first 2 shown]
	v_add_co_u32_e32 v90, vcc, s4, v90
	v_ashrrev_i32_e32 v95, 31, v94
	v_addc_co_u32_e32 v91, vcc, v1, v91, vcc
	v_lshlrev_b64 v[92:93], 3, v[94:95]
	v_add_co_u32_e32 v92, vcc, s4, v92
	v_add_u32_e32 v96, s7, v94
	v_addc_co_u32_e32 v93, vcc, v1, v93, vcc
	v_ashrrev_i32_e32 v97, 31, v96
	v_lshlrev_b32_e32 v1, 3, v0
	v_lshlrev_b64 v[94:95], 3, v[96:97]
	global_load_dwordx2 v[112:113], v1, s[4:5]
	global_load_dwordx2 v[116:117], v[2:3], off
	global_load_dwordx2 v[118:119], v[4:5], off
	;; [unrolled: 1-line block ×3, first 2 shown]
	v_mov_b32_e32 v97, s5
	v_add_co_u32_e32 v100, vcc, s4, v1
	s_ashr_i32 s9, s7, 31
	s_mov_b32 s8, s7
	v_addc_co_u32_e32 v101, vcc, 0, v97, vcc
	s_lshl_b64 s[8:9], s[8:9], 3
	v_mov_b32_e32 v97, s9
	v_add_co_u32_e32 v104, vcc, s8, v100
	v_addc_co_u32_e32 v105, vcc, v101, v97, vcc
	global_load_dwordx2 v[114:115], v[104:105], off
	global_load_dwordx2 v[126:127], v[12:13], off
	;; [unrolled: 1-line block ×4, first 2 shown]
	v_mov_b32_e32 v98, s5
	v_add_co_u32_e32 v94, vcc, s4, v94
	v_addc_co_u32_e32 v95, vcc, v98, v95, vcc
	v_add_u32_e32 v98, s7, v96
	v_ashrrev_i32_e32 v99, 31, v98
	v_lshlrev_b64 v[96:97], 3, v[98:99]
	v_mov_b32_e32 v102, s5
	v_add_co_u32_e32 v96, vcc, s4, v96
	v_addc_co_u32_e32 v97, vcc, v102, v97, vcc
	v_add_u32_e32 v102, s7, v98
	global_load_dwordx2 v[128:129], v[14:15], off
	global_load_dwordx2 v[130:131], v[16:17], off
	v_ashrrev_i32_e32 v103, 31, v102
	v_lshlrev_b64 v[98:99], 3, v[102:103]
	v_mov_b32_e32 v106, s5
	v_add_co_u32_e32 v98, vcc, s4, v98
	v_addc_co_u32_e32 v99, vcc, v106, v99, vcc
	v_add_u32_e32 v106, s7, v102
	v_ashrrev_i32_e32 v107, 31, v106
	v_lshlrev_b64 v[102:103], 3, v[106:107]
	v_mov_b32_e32 v108, s5
	v_add_co_u32_e32 v102, vcc, s4, v102
	global_load_dwordx2 v[132:133], v[18:19], off
	global_load_dwordx2 v[134:135], v[20:21], off
	;; [unrolled: 1-line block ×4, first 2 shown]
	v_addc_co_u32_e32 v103, vcc, v108, v103, vcc
	v_add_u32_e32 v108, s7, v106
	v_ashrrev_i32_e32 v109, 31, v108
	v_lshlrev_b64 v[106:107], 3, v[108:109]
	v_mov_b32_e32 v110, s5
	v_add_co_u32_e32 v106, vcc, s4, v106
	v_addc_co_u32_e32 v107, vcc, v110, v107, vcc
	v_add_u32_e32 v110, s7, v108
	v_ashrrev_i32_e32 v111, 31, v110
	v_lshlrev_b64 v[108:109], 3, v[110:111]
	v_add_u32_e32 v110, s7, v110
	v_mov_b32_e32 v146, s5
	v_add_co_u32_e32 v108, vcc, s4, v108
	v_ashrrev_i32_e32 v111, 31, v110
	v_addc_co_u32_e32 v109, vcc, v146, v109, vcc
	v_lshlrev_b64 v[110:111], 3, v[110:111]
	v_mov_b32_e32 v162, s5
	v_add_co_u32_e32 v110, vcc, s4, v110
	global_load_dwordx2 v[140:141], v[26:27], off
	global_load_dwordx2 v[142:143], v[28:29], off
	;; [unrolled: 1-line block ×11, first 2 shown]
	v_addc_co_u32_e32 v111, vcc, v162, v111, vcc
	global_load_dwordx2 v[162:163], v[48:49], off
	global_load_dwordx2 v[164:165], v[110:111], off
	;; [unrolled: 1-line block ×17, first 2 shown]
	s_cmpk_lg_i32 s13, 0x84
	s_waitcnt vmcnt(41)
	buffer_store_dword v113, off, s[0:3], 0 offset:4
	buffer_store_dword v112, off, s[0:3], 0
	global_load_dwordx2 v[112:113], v[54:55], off
	s_cselect_b64 s[8:9], -1, 0
	s_waitcnt vmcnt(40)
	buffer_store_dword v115, off, s[0:3], 0 offset:12
	buffer_store_dword v114, off, s[0:3], 0 offset:8
	global_load_dwordx2 v[114:115], v[58:59], off
	s_cmpk_eq_i32 s13, 0x84
	buffer_store_dword v117, off, s[0:3], 0 offset:20
	buffer_store_dword v116, off, s[0:3], 0 offset:16
	global_load_dwordx2 v[116:117], v[62:63], off
	s_nop 0
	buffer_store_dword v119, off, s[0:3], 0 offset:28
	buffer_store_dword v118, off, s[0:3], 0 offset:24
	global_load_dwordx2 v[118:119], v[66:67], off
	s_nop 0
	buffer_store_dword v121, off, s[0:3], 0 offset:36
	buffer_store_dword v120, off, s[0:3], 0 offset:32
	global_load_dwordx2 v[120:121], v[70:71], off
	s_waitcnt vmcnt(50)
	buffer_store_dword v123, off, s[0:3], 0 offset:44
	buffer_store_dword v122, off, s[0:3], 0 offset:40
	global_load_dwordx2 v[122:123], v[74:75], off
	s_waitcnt vmcnt(52)
	buffer_store_dword v125, off, s[0:3], 0 offset:52
	buffer_store_dword v124, off, s[0:3], 0 offset:48
	global_load_dwordx2 v[124:125], v[78:79], off
	s_nop 0
	buffer_store_dword v127, off, s[0:3], 0 offset:60
	buffer_store_dword v126, off, s[0:3], 0 offset:56
	global_load_dwordx2 v[126:127], v[82:83], off
	s_waitcnt vmcnt(57)
	buffer_store_dword v129, off, s[0:3], 0 offset:68
	buffer_store_dword v128, off, s[0:3], 0 offset:64
	global_load_dwordx2 v[128:129], v[86:87], off
	s_waitcnt vmcnt(59)
	;; [unrolled: 4-line block ×4, first 2 shown]
	buffer_store_dword v134, off, s[0:3], 0 offset:88
	buffer_store_dword v135, off, s[0:3], 0 offset:92
	global_load_dwordx2 v[134:135], v[98:99], off
	s_nop 0
	buffer_store_dword v136, off, s[0:3], 0 offset:96
	buffer_store_dword v137, off, s[0:3], 0 offset:100
	global_load_dwordx2 v[136:137], v[106:107], off
	s_waitcnt vmcnt(62)
	buffer_store_dword v138, off, s[0:3], 0 offset:104
	buffer_store_dword v139, off, s[0:3], 0 offset:108
	;; [unrolled: 1-line block ×12, first 2 shown]
	s_waitcnt vmcnt(62)
	buffer_store_dword v151, off, s[0:3], 0 offset:156
	buffer_store_dword v150, off, s[0:3], 0 offset:152
	;; [unrolled: 1-line block ×18, first 2 shown]
	s_waitcnt vmcnt(62)
	buffer_store_dword v112, off, s[0:3], 0 offset:224
	buffer_store_dword v113, off, s[0:3], 0 offset:228
	;; [unrolled: 1-line block ×8, first 2 shown]
	s_waitcnt vmcnt(62)
	buffer_store_dword v117, off, s[0:3], 0 offset:260
	buffer_store_dword v116, off, s[0:3], 0 offset:256
	;; [unrolled: 1-line block ×12, first 2 shown]
	s_waitcnt vmcnt(62)
	buffer_store_dword v123, off, s[0:3], 0 offset:308
	buffer_store_dword v122, off, s[0:3], 0 offset:304
	;; [unrolled: 1-line block ×16, first 2 shown]
	s_waitcnt vmcnt(62)
	buffer_store_dword v130, off, s[0:3], 0 offset:368
	buffer_store_dword v131, off, s[0:3], 0 offset:372
	buffer_store_dword v188, off, s[0:3], 0 offset:376
	buffer_store_dword v189, off, s[0:3], 0 offset:380
	buffer_store_dword v132, off, s[0:3], 0 offset:384
	buffer_store_dword v133, off, s[0:3], 0 offset:388
	buffer_store_dword v191, off, s[0:3], 0 offset:396
	buffer_store_dword v190, off, s[0:3], 0 offset:392
	buffer_store_dword v135, off, s[0:3], 0 offset:404
	buffer_store_dword v134, off, s[0:3], 0 offset:400
	buffer_store_dword v192, off, s[0:3], 0 offset:408
	buffer_store_dword v193, off, s[0:3], 0 offset:412
	buffer_store_dword v136, off, s[0:3], 0 offset:416
	buffer_store_dword v137, off, s[0:3], 0 offset:420
	buffer_store_dword v194, off, s[0:3], 0 offset:424
	buffer_store_dword v195, off, s[0:3], 0 offset:428
	buffer_store_dword v164, off, s[0:3], 0 offset:432
	buffer_store_dword v165, off, s[0:3], 0 offset:436
	v_mov_b32_e32 v112, 0
	v_mov_b32_e32 v167, 0
	;; [unrolled: 1-line block ×3, first 2 shown]
	s_cbranch_scc1 .LBB118_3
; %bb.2:
	v_lshl_add_u32 v122, v0, 3, v167
	buffer_load_dword v112, v122, s[0:3], 0 offen
	buffer_load_dword v113, v122, s[0:3], 0 offen offset:4
	s_waitcnt vmcnt(0)
	v_div_scale_f64 v[114:115], s[4:5], v[112:113], v[112:113], 1.0
	v_rcp_f64_e32 v[116:117], v[114:115]
	v_div_scale_f64 v[118:119], vcc, 1.0, v[112:113], 1.0
	v_fma_f64 v[120:121], -v[114:115], v[116:117], 1.0
	v_fmac_f64_e32 v[116:117], v[116:117], v[120:121]
	v_fma_f64 v[120:121], -v[114:115], v[116:117], 1.0
	v_fmac_f64_e32 v[116:117], v[116:117], v[120:121]
	v_mul_f64 v[120:121], v[118:119], v[116:117]
	v_fma_f64 v[114:115], -v[114:115], v[120:121], v[118:119]
	v_div_fmas_f64 v[114:115], v[114:115], v[116:117], v[120:121]
	v_div_fixup_f64 v[112:113], v[114:115], v[112:113], 1.0
	buffer_store_dword v112, v122, s[0:3], 0 offen
	buffer_store_dword v113, v122, s[0:3], 0 offen offset:4
	v_xor_b32_e32 v113, 0x80000000, v113
.LBB118_3:
	s_cmpk_eq_i32 s12, 0x79
	v_add_u32_e32 v114, 0x1c0, v1
	v_add_u32_e32 v115, 0, v1
	s_mov_b64 s[4:5], -1
	ds_write_b64 v1, v[112:113]
	s_cbranch_scc1 .LBB118_537
; %bb.4:
	buffer_load_dword v112, off, s[0:3], 0 offset:424
	buffer_load_dword v113, off, s[0:3], 0 offset:428
	v_cmp_eq_u32_e64 s[4:5], 54, v0
	s_waitcnt vmcnt(0)
	ds_write_b64 v114, v[112:113]
	s_waitcnt lgkmcnt(0)
	; wave barrier
	s_waitcnt lgkmcnt(0)
	s_and_saveexec_b64 s[6:7], s[4:5]
	s_cbranch_execz .LBB118_10
; %bb.5:
	s_and_b64 vcc, exec, s[8:9]
	s_cbranch_vccz .LBB118_7
; %bb.6:
	buffer_load_dword v112, v115, s[0:3], 0 offen
	buffer_load_dword v113, v115, s[0:3], 0 offen offset:4
	ds_read_b64 v[116:117], v114
	s_waitcnt vmcnt(0) lgkmcnt(0)
	v_mul_f64 v[112:113], v[112:113], v[116:117]
	s_cbranch_execz .LBB118_8
	s_branch .LBB118_9
.LBB118_7:
                                        ; implicit-def: $vgpr112_vgpr113
.LBB118_8:
	ds_read_b64 v[112:113], v114
.LBB118_9:
	v_mov_b32_e32 v116, 0
	ds_read_b64 v[116:117], v116 offset:424
	s_waitcnt lgkmcnt(0)
	v_mul_f64 v[112:113], v[112:113], v[116:117]
	buffer_store_dword v113, off, s[0:3], 0 offset:428
	buffer_store_dword v112, off, s[0:3], 0 offset:424
.LBB118_10:
	s_or_b64 exec, exec, s[6:7]
	buffer_load_dword v112, off, s[0:3], 0 offset:416
	buffer_load_dword v113, off, s[0:3], 0 offset:420
	v_or_b32_e32 v116, 8, v167
	v_add_u32_e32 v117, 16, v167
	v_add_u32_e32 v118, 24, v167
	;; [unrolled: 1-line block ×51, first 2 shown]
	v_cmp_lt_u32_e64 s[6:7], 52, v0
	s_waitcnt vmcnt(0)
	ds_write_b64 v114, v[112:113]
	s_waitcnt lgkmcnt(0)
	; wave barrier
	s_waitcnt lgkmcnt(0)
	s_and_saveexec_b64 s[10:11], s[6:7]
	s_cbranch_execz .LBB118_16
; %bb.11:
	s_andn2_b64 vcc, exec, s[8:9]
	s_cbranch_vccnz .LBB118_13
; %bb.12:
	buffer_load_dword v112, v115, s[0:3], 0 offen
	buffer_load_dword v113, v115, s[0:3], 0 offen offset:4
	ds_read_b64 v[168:169], v114
	s_waitcnt vmcnt(0) lgkmcnt(0)
	v_mul_f64 v[112:113], v[112:113], v[168:169]
	s_cbranch_execz .LBB118_14
	s_branch .LBB118_15
.LBB118_13:
                                        ; implicit-def: $vgpr112_vgpr113
.LBB118_14:
	ds_read_b64 v[112:113], v114
.LBB118_15:
	buffer_load_dword v172, off, s[0:3], 0 offset:424
	buffer_load_dword v173, off, s[0:3], 0 offset:428
	v_mov_b32_e32 v168, 0
	ds_read2_b64 v[168:171], v168 offset0:52 offset1:109
	s_waitcnt vmcnt(0) lgkmcnt(0)
	v_fma_f64 v[170:171], v[172:173], v[170:171], v[112:113]
	v_cndmask_b32_e64 v113, v113, v171, s[4:5]
	v_cndmask_b32_e64 v112, v112, v170, s[4:5]
	v_mul_f64 v[112:113], v[112:113], v[168:169]
	buffer_store_dword v113, off, s[0:3], 0 offset:420
	buffer_store_dword v112, off, s[0:3], 0 offset:416
.LBB118_16:
	s_or_b64 exec, exec, s[10:11]
	buffer_load_dword v112, off, s[0:3], 0 offset:408
	buffer_load_dword v113, off, s[0:3], 0 offset:412
	v_cmp_lt_u32_e64 s[4:5], 51, v0
	s_waitcnt vmcnt(0)
	ds_write_b64 v114, v[112:113]
	s_waitcnt lgkmcnt(0)
	; wave barrier
	s_waitcnt lgkmcnt(0)
	s_and_saveexec_b64 s[10:11], s[4:5]
	s_cbranch_execz .LBB118_26
; %bb.17:
	s_andn2_b64 vcc, exec, s[8:9]
	s_cbranch_vccnz .LBB118_19
; %bb.18:
	buffer_load_dword v112, v115, s[0:3], 0 offen
	buffer_load_dword v113, v115, s[0:3], 0 offen offset:4
	ds_read_b64 v[168:169], v114
	s_waitcnt vmcnt(0) lgkmcnt(0)
	v_mul_f64 v[112:113], v[112:113], v[168:169]
	s_cbranch_execz .LBB118_20
	s_branch .LBB118_21
.LBB118_19:
                                        ; implicit-def: $vgpr112_vgpr113
.LBB118_20:
	ds_read_b64 v[112:113], v114
.LBB118_21:
	s_and_saveexec_b64 s[12:13], s[6:7]
	s_cbranch_execz .LBB118_25
; %bb.22:
	v_subrev_u32_e32 v168, 52, v0
	s_movk_i32 s14, 0x360
	s_mov_b64 s[6:7], 0
.LBB118_23:                             ; =>This Inner Loop Header: Depth=1
	buffer_load_dword v170, v167, s[0:3], 0 offen
	buffer_load_dword v171, v167, s[0:3], 0 offen offset:4
	v_mov_b32_e32 v169, s14
	ds_read_b64 v[172:173], v169
	v_add_u32_e32 v168, -1, v168
	s_add_i32 s14, s14, 8
	v_cmp_eq_u32_e32 vcc, 0, v168
	v_add_u32_e32 v167, 8, v167
	s_or_b64 s[6:7], vcc, s[6:7]
	s_waitcnt vmcnt(0) lgkmcnt(0)
	v_fmac_f64_e32 v[112:113], v[170:171], v[172:173]
	s_andn2_b64 exec, exec, s[6:7]
	s_cbranch_execnz .LBB118_23
; %bb.24:
	s_or_b64 exec, exec, s[6:7]
.LBB118_25:
	s_or_b64 exec, exec, s[12:13]
	v_mov_b32_e32 v167, 0
	ds_read_b64 v[168:169], v167 offset:408
	s_waitcnt lgkmcnt(0)
	v_mul_f64 v[112:113], v[112:113], v[168:169]
	buffer_store_dword v113, off, s[0:3], 0 offset:412
	buffer_store_dword v112, off, s[0:3], 0 offset:408
.LBB118_26:
	s_or_b64 exec, exec, s[10:11]
	buffer_load_dword v112, off, s[0:3], 0 offset:400
	buffer_load_dword v113, off, s[0:3], 0 offset:404
	v_cmp_lt_u32_e64 s[6:7], 50, v0
	s_waitcnt vmcnt(0)
	ds_write_b64 v114, v[112:113]
	s_waitcnt lgkmcnt(0)
	; wave barrier
	s_waitcnt lgkmcnt(0)
	s_and_saveexec_b64 s[10:11], s[6:7]
	s_cbranch_execz .LBB118_36
; %bb.27:
	s_andn2_b64 vcc, exec, s[8:9]
	s_cbranch_vccnz .LBB118_29
; %bb.28:
	buffer_load_dword v112, v115, s[0:3], 0 offen
	buffer_load_dword v113, v115, s[0:3], 0 offen offset:4
	ds_read_b64 v[168:169], v114
	s_waitcnt vmcnt(0) lgkmcnt(0)
	v_mul_f64 v[112:113], v[112:113], v[168:169]
	s_cbranch_execz .LBB118_30
	s_branch .LBB118_31
.LBB118_29:
                                        ; implicit-def: $vgpr112_vgpr113
.LBB118_30:
	ds_read_b64 v[112:113], v114
.LBB118_31:
	s_and_saveexec_b64 s[12:13], s[4:5]
	s_cbranch_execz .LBB118_35
; %bb.32:
	v_subrev_u32_e32 v167, 51, v0
	s_movk_i32 s14, 0x358
	s_mov_b64 s[4:5], 0
.LBB118_33:                             ; =>This Inner Loop Header: Depth=1
	buffer_load_dword v168, v166, s[0:3], 0 offen
	buffer_load_dword v169, v166, s[0:3], 0 offen offset:4
	v_mov_b32_e32 v170, s14
	ds_read_b64 v[170:171], v170
	v_add_u32_e32 v167, -1, v167
	s_add_i32 s14, s14, 8
	v_cmp_eq_u32_e32 vcc, 0, v167
	v_add_u32_e32 v166, 8, v166
	s_or_b64 s[4:5], vcc, s[4:5]
	s_waitcnt vmcnt(0) lgkmcnt(0)
	v_fmac_f64_e32 v[112:113], v[168:169], v[170:171]
	s_andn2_b64 exec, exec, s[4:5]
	s_cbranch_execnz .LBB118_33
; %bb.34:
	s_or_b64 exec, exec, s[4:5]
.LBB118_35:
	s_or_b64 exec, exec, s[12:13]
	v_mov_b32_e32 v166, 0
	ds_read_b64 v[166:167], v166 offset:400
	s_waitcnt lgkmcnt(0)
	v_mul_f64 v[112:113], v[112:113], v[166:167]
	buffer_store_dword v113, off, s[0:3], 0 offset:404
	buffer_store_dword v112, off, s[0:3], 0 offset:400
.LBB118_36:
	;; [unrolled: 58-line block ×8, first 2 shown]
	s_or_b64 exec, exec, s[10:11]
	buffer_load_dword v112, off, s[0:3], 0 offset:344
	buffer_load_dword v113, off, s[0:3], 0 offset:348
	v_cmp_lt_u32_e64 s[4:5], 43, v0
	s_waitcnt vmcnt(0)
	ds_write_b64 v114, v[112:113]
	s_waitcnt lgkmcnt(0)
	; wave barrier
	s_waitcnt lgkmcnt(0)
	s_and_saveexec_b64 s[10:11], s[4:5]
	s_cbranch_execz .LBB118_106
; %bb.97:
	s_andn2_b64 vcc, exec, s[8:9]
	s_cbranch_vccnz .LBB118_99
; %bb.98:
	buffer_load_dword v112, v115, s[0:3], 0 offen
	buffer_load_dword v113, v115, s[0:3], 0 offen offset:4
	ds_read_b64 v[160:161], v114
	s_waitcnt vmcnt(0) lgkmcnt(0)
	v_mul_f64 v[112:113], v[112:113], v[160:161]
	s_cbranch_execz .LBB118_100
	s_branch .LBB118_101
.LBB118_99:
                                        ; implicit-def: $vgpr112_vgpr113
.LBB118_100:
	ds_read_b64 v[112:113], v114
.LBB118_101:
	s_and_saveexec_b64 s[12:13], s[6:7]
	s_cbranch_execz .LBB118_105
; %bb.102:
	v_subrev_u32_e32 v160, 44, v0
	s_movk_i32 s14, 0x320
	s_mov_b64 s[6:7], 0
.LBB118_103:                            ; =>This Inner Loop Header: Depth=1
	buffer_load_dword v162, v159, s[0:3], 0 offen
	buffer_load_dword v163, v159, s[0:3], 0 offen offset:4
	v_mov_b32_e32 v161, s14
	ds_read_b64 v[164:165], v161
	v_add_u32_e32 v160, -1, v160
	s_add_i32 s14, s14, 8
	v_cmp_eq_u32_e32 vcc, 0, v160
	v_add_u32_e32 v159, 8, v159
	s_or_b64 s[6:7], vcc, s[6:7]
	s_waitcnt vmcnt(0) lgkmcnt(0)
	v_fmac_f64_e32 v[112:113], v[162:163], v[164:165]
	s_andn2_b64 exec, exec, s[6:7]
	s_cbranch_execnz .LBB118_103
; %bb.104:
	s_or_b64 exec, exec, s[6:7]
.LBB118_105:
	s_or_b64 exec, exec, s[12:13]
	v_mov_b32_e32 v159, 0
	ds_read_b64 v[160:161], v159 offset:344
	s_waitcnt lgkmcnt(0)
	v_mul_f64 v[112:113], v[112:113], v[160:161]
	buffer_store_dword v113, off, s[0:3], 0 offset:348
	buffer_store_dword v112, off, s[0:3], 0 offset:344
.LBB118_106:
	s_or_b64 exec, exec, s[10:11]
	buffer_load_dword v112, off, s[0:3], 0 offset:336
	buffer_load_dword v113, off, s[0:3], 0 offset:340
	v_cmp_lt_u32_e64 s[6:7], 42, v0
	s_waitcnt vmcnt(0)
	ds_write_b64 v114, v[112:113]
	s_waitcnt lgkmcnt(0)
	; wave barrier
	s_waitcnt lgkmcnt(0)
	s_and_saveexec_b64 s[10:11], s[6:7]
	s_cbranch_execz .LBB118_116
; %bb.107:
	s_andn2_b64 vcc, exec, s[8:9]
	s_cbranch_vccnz .LBB118_109
; %bb.108:
	buffer_load_dword v112, v115, s[0:3], 0 offen
	buffer_load_dword v113, v115, s[0:3], 0 offen offset:4
	ds_read_b64 v[160:161], v114
	s_waitcnt vmcnt(0) lgkmcnt(0)
	v_mul_f64 v[112:113], v[112:113], v[160:161]
	s_cbranch_execz .LBB118_110
	s_branch .LBB118_111
.LBB118_109:
                                        ; implicit-def: $vgpr112_vgpr113
.LBB118_110:
	ds_read_b64 v[112:113], v114
.LBB118_111:
	s_and_saveexec_b64 s[12:13], s[4:5]
	s_cbranch_execz .LBB118_115
; %bb.112:
	v_subrev_u32_e32 v159, 43, v0
	s_movk_i32 s14, 0x318
	s_mov_b64 s[4:5], 0
.LBB118_113:                            ; =>This Inner Loop Header: Depth=1
	buffer_load_dword v160, v158, s[0:3], 0 offen
	buffer_load_dword v161, v158, s[0:3], 0 offen offset:4
	v_mov_b32_e32 v162, s14
	ds_read_b64 v[162:163], v162
	v_add_u32_e32 v159, -1, v159
	s_add_i32 s14, s14, 8
	v_cmp_eq_u32_e32 vcc, 0, v159
	v_add_u32_e32 v158, 8, v158
	s_or_b64 s[4:5], vcc, s[4:5]
	s_waitcnt vmcnt(0) lgkmcnt(0)
	v_fmac_f64_e32 v[112:113], v[160:161], v[162:163]
	s_andn2_b64 exec, exec, s[4:5]
	s_cbranch_execnz .LBB118_113
; %bb.114:
	s_or_b64 exec, exec, s[4:5]
.LBB118_115:
	s_or_b64 exec, exec, s[12:13]
	v_mov_b32_e32 v158, 0
	ds_read_b64 v[158:159], v158 offset:336
	s_waitcnt lgkmcnt(0)
	v_mul_f64 v[112:113], v[112:113], v[158:159]
	buffer_store_dword v113, off, s[0:3], 0 offset:340
	buffer_store_dword v112, off, s[0:3], 0 offset:336
.LBB118_116:
	;; [unrolled: 58-line block ×28, first 2 shown]
	s_or_b64 exec, exec, s[10:11]
	buffer_load_dword v112, off, s[0:3], 0 offset:120
	buffer_load_dword v113, off, s[0:3], 0 offset:124
	v_cmp_lt_u32_e64 s[4:5], 15, v0
	s_waitcnt vmcnt(0)
	ds_write_b64 v114, v[112:113]
	s_waitcnt lgkmcnt(0)
	; wave barrier
	s_waitcnt lgkmcnt(0)
	s_and_saveexec_b64 s[10:11], s[4:5]
	s_cbranch_execz .LBB118_386
; %bb.377:
	s_andn2_b64 vcc, exec, s[8:9]
	s_cbranch_vccnz .LBB118_379
; %bb.378:
	buffer_load_dword v112, v115, s[0:3], 0 offen
	buffer_load_dword v113, v115, s[0:3], 0 offen offset:4
	ds_read_b64 v[132:133], v114
	s_waitcnt vmcnt(0) lgkmcnt(0)
	v_mul_f64 v[112:113], v[112:113], v[132:133]
	s_cbranch_execz .LBB118_380
	s_branch .LBB118_381
.LBB118_379:
                                        ; implicit-def: $vgpr112_vgpr113
.LBB118_380:
	ds_read_b64 v[112:113], v114
.LBB118_381:
	s_and_saveexec_b64 s[12:13], s[6:7]
	s_cbranch_execz .LBB118_385
; %bb.382:
	v_add_u32_e32 v132, -16, v0
	s_movk_i32 s14, 0x240
	s_mov_b64 s[6:7], 0
.LBB118_383:                            ; =>This Inner Loop Header: Depth=1
	buffer_load_dword v134, v131, s[0:3], 0 offen
	buffer_load_dword v135, v131, s[0:3], 0 offen offset:4
	v_mov_b32_e32 v133, s14
	ds_read_b64 v[136:137], v133
	v_add_u32_e32 v132, -1, v132
	s_add_i32 s14, s14, 8
	v_cmp_eq_u32_e32 vcc, 0, v132
	v_add_u32_e32 v131, 8, v131
	s_or_b64 s[6:7], vcc, s[6:7]
	s_waitcnt vmcnt(0) lgkmcnt(0)
	v_fmac_f64_e32 v[112:113], v[134:135], v[136:137]
	s_andn2_b64 exec, exec, s[6:7]
	s_cbranch_execnz .LBB118_383
; %bb.384:
	s_or_b64 exec, exec, s[6:7]
.LBB118_385:
	s_or_b64 exec, exec, s[12:13]
	v_mov_b32_e32 v131, 0
	ds_read_b64 v[132:133], v131 offset:120
	s_waitcnt lgkmcnt(0)
	v_mul_f64 v[112:113], v[112:113], v[132:133]
	buffer_store_dword v113, off, s[0:3], 0 offset:124
	buffer_store_dword v112, off, s[0:3], 0 offset:120
.LBB118_386:
	s_or_b64 exec, exec, s[10:11]
	buffer_load_dword v112, off, s[0:3], 0 offset:112
	buffer_load_dword v113, off, s[0:3], 0 offset:116
	v_cmp_lt_u32_e64 s[6:7], 14, v0
	s_waitcnt vmcnt(0)
	ds_write_b64 v114, v[112:113]
	s_waitcnt lgkmcnt(0)
	; wave barrier
	s_waitcnt lgkmcnt(0)
	s_and_saveexec_b64 s[10:11], s[6:7]
	s_cbranch_execz .LBB118_396
; %bb.387:
	s_andn2_b64 vcc, exec, s[8:9]
	s_cbranch_vccnz .LBB118_389
; %bb.388:
	buffer_load_dword v112, v115, s[0:3], 0 offen
	buffer_load_dword v113, v115, s[0:3], 0 offen offset:4
	ds_read_b64 v[132:133], v114
	s_waitcnt vmcnt(0) lgkmcnt(0)
	v_mul_f64 v[112:113], v[112:113], v[132:133]
	s_cbranch_execz .LBB118_390
	s_branch .LBB118_391
.LBB118_389:
                                        ; implicit-def: $vgpr112_vgpr113
.LBB118_390:
	ds_read_b64 v[112:113], v114
.LBB118_391:
	s_and_saveexec_b64 s[12:13], s[4:5]
	s_cbranch_execz .LBB118_395
; %bb.392:
	v_add_u32_e32 v131, -15, v0
	s_movk_i32 s14, 0x238
	s_mov_b64 s[4:5], 0
.LBB118_393:                            ; =>This Inner Loop Header: Depth=1
	buffer_load_dword v132, v130, s[0:3], 0 offen
	buffer_load_dword v133, v130, s[0:3], 0 offen offset:4
	v_mov_b32_e32 v134, s14
	ds_read_b64 v[134:135], v134
	v_add_u32_e32 v131, -1, v131
	s_add_i32 s14, s14, 8
	v_cmp_eq_u32_e32 vcc, 0, v131
	v_add_u32_e32 v130, 8, v130
	s_or_b64 s[4:5], vcc, s[4:5]
	s_waitcnt vmcnt(0) lgkmcnt(0)
	v_fmac_f64_e32 v[112:113], v[132:133], v[134:135]
	s_andn2_b64 exec, exec, s[4:5]
	s_cbranch_execnz .LBB118_393
; %bb.394:
	s_or_b64 exec, exec, s[4:5]
.LBB118_395:
	s_or_b64 exec, exec, s[12:13]
	v_mov_b32_e32 v130, 0
	ds_read_b64 v[130:131], v130 offset:112
	s_waitcnt lgkmcnt(0)
	v_mul_f64 v[112:113], v[112:113], v[130:131]
	buffer_store_dword v113, off, s[0:3], 0 offset:116
	buffer_store_dword v112, off, s[0:3], 0 offset:112
.LBB118_396:
	;; [unrolled: 58-line block ×15, first 2 shown]
	s_or_b64 exec, exec, s[10:11]
	buffer_load_dword v112, off, s[0:3], 0
	buffer_load_dword v113, off, s[0:3], 0 offset:4
	v_cmp_ne_u32_e32 vcc, 0, v0
	s_waitcnt vmcnt(0)
	ds_write_b64 v114, v[112:113]
	s_waitcnt lgkmcnt(0)
	; wave barrier
	s_waitcnt lgkmcnt(0)
	s_and_saveexec_b64 s[6:7], vcc
	s_cbranch_execz .LBB118_536
; %bb.527:
	s_andn2_b64 vcc, exec, s[8:9]
	s_cbranch_vccnz .LBB118_529
; %bb.528:
	buffer_load_dword v112, v115, s[0:3], 0 offen
	buffer_load_dword v113, v115, s[0:3], 0 offen offset:4
	ds_read_b64 v[118:119], v114
	s_waitcnt vmcnt(0) lgkmcnt(0)
	v_mul_f64 v[112:113], v[112:113], v[118:119]
	s_cbranch_execz .LBB118_530
	s_branch .LBB118_531
.LBB118_529:
                                        ; implicit-def: $vgpr112_vgpr113
.LBB118_530:
	ds_read_b64 v[112:113], v114
.LBB118_531:
	s_and_saveexec_b64 s[10:11], s[4:5]
	s_cbranch_execz .LBB118_535
; %bb.532:
	v_add_u32_e32 v117, -1, v0
	s_movk_i32 s12, 0x1c8
	s_mov_b64 s[4:5], 0
.LBB118_533:                            ; =>This Inner Loop Header: Depth=1
	buffer_load_dword v118, v116, s[0:3], 0 offen
	buffer_load_dword v119, v116, s[0:3], 0 offen offset:4
	v_mov_b32_e32 v120, s12
	ds_read_b64 v[120:121], v120
	v_add_u32_e32 v117, -1, v117
	s_add_i32 s12, s12, 8
	v_cmp_eq_u32_e32 vcc, 0, v117
	v_add_u32_e32 v116, 8, v116
	s_or_b64 s[4:5], vcc, s[4:5]
	s_waitcnt vmcnt(0) lgkmcnt(0)
	v_fmac_f64_e32 v[112:113], v[118:119], v[120:121]
	s_andn2_b64 exec, exec, s[4:5]
	s_cbranch_execnz .LBB118_533
; %bb.534:
	s_or_b64 exec, exec, s[4:5]
.LBB118_535:
	s_or_b64 exec, exec, s[10:11]
	v_mov_b32_e32 v116, 0
	ds_read_b64 v[116:117], v116
	s_waitcnt lgkmcnt(0)
	v_mul_f64 v[112:113], v[112:113], v[116:117]
	buffer_store_dword v113, off, s[0:3], 0 offset:4
	buffer_store_dword v112, off, s[0:3], 0
.LBB118_536:
	s_or_b64 exec, exec, s[6:7]
	s_mov_b64 s[4:5], 0
.LBB118_537:
	s_and_b64 vcc, exec, s[4:5]
	s_cbranch_vccz .LBB118_1071
; %bb.538:
	buffer_load_dword v112, off, s[0:3], 0 offset:8
	buffer_load_dword v113, off, s[0:3], 0 offset:12
	v_cmp_eq_u32_e64 s[6:7], 0, v0
	s_waitcnt vmcnt(0)
	ds_write_b64 v114, v[112:113]
	s_waitcnt lgkmcnt(0)
	; wave barrier
	s_waitcnt lgkmcnt(0)
	s_and_saveexec_b64 s[4:5], s[6:7]
	s_cbranch_execz .LBB118_544
; %bb.539:
	s_and_b64 vcc, exec, s[8:9]
	s_cbranch_vccz .LBB118_541
; %bb.540:
	buffer_load_dword v112, v115, s[0:3], 0 offen
	buffer_load_dword v113, v115, s[0:3], 0 offen offset:4
	ds_read_b64 v[116:117], v114
	s_waitcnt vmcnt(0) lgkmcnt(0)
	v_mul_f64 v[112:113], v[112:113], v[116:117]
	s_cbranch_execz .LBB118_542
	s_branch .LBB118_543
.LBB118_541:
                                        ; implicit-def: $vgpr112_vgpr113
.LBB118_542:
	ds_read_b64 v[112:113], v114
.LBB118_543:
	v_mov_b32_e32 v116, 0
	ds_read_b64 v[116:117], v116 offset:8
	s_waitcnt lgkmcnt(0)
	v_mul_f64 v[112:113], v[112:113], v[116:117]
	buffer_store_dword v113, off, s[0:3], 0 offset:12
	buffer_store_dword v112, off, s[0:3], 0 offset:8
.LBB118_544:
	s_or_b64 exec, exec, s[4:5]
	buffer_load_dword v112, off, s[0:3], 0 offset:16
	buffer_load_dword v113, off, s[0:3], 0 offset:20
	v_cndmask_b32_e64 v116, 0, 1, s[8:9]
	v_cmp_gt_u32_e32 vcc, 2, v0
	v_cmp_ne_u32_e64 s[4:5], 1, v116
	s_waitcnt vmcnt(0)
	ds_write_b64 v114, v[112:113]
	s_waitcnt lgkmcnt(0)
	; wave barrier
	s_waitcnt lgkmcnt(0)
	s_and_saveexec_b64 s[8:9], vcc
	s_cbranch_execz .LBB118_552
; %bb.545:
	s_and_b64 vcc, exec, s[4:5]
	s_cbranch_vccnz .LBB118_547
; %bb.546:
	buffer_load_dword v112, v115, s[0:3], 0 offen
	buffer_load_dword v113, v115, s[0:3], 0 offen offset:4
	ds_read_b64 v[116:117], v114
	s_waitcnt vmcnt(0) lgkmcnt(0)
	v_mul_f64 v[112:113], v[112:113], v[116:117]
	s_cbranch_execz .LBB118_548
	s_branch .LBB118_549
.LBB118_547:
                                        ; implicit-def: $vgpr112_vgpr113
.LBB118_548:
	ds_read_b64 v[112:113], v114
.LBB118_549:
	s_and_saveexec_b64 s[10:11], s[6:7]
	s_cbranch_execz .LBB118_551
; %bb.550:
	buffer_load_dword v116, v115, s[0:3], 0 offen offset:8
	buffer_load_dword v117, v115, s[0:3], 0 offen offset:12
	ds_read_b64 v[118:119], v114 offset:8
	s_waitcnt vmcnt(0) lgkmcnt(0)
	v_fmac_f64_e32 v[112:113], v[116:117], v[118:119]
.LBB118_551:
	s_or_b64 exec, exec, s[10:11]
	v_mov_b32_e32 v116, 0
	ds_read_b64 v[116:117], v116 offset:16
	s_waitcnt lgkmcnt(0)
	v_mul_f64 v[112:113], v[112:113], v[116:117]
	buffer_store_dword v113, off, s[0:3], 0 offset:20
	buffer_store_dword v112, off, s[0:3], 0 offset:16
.LBB118_552:
	s_or_b64 exec, exec, s[8:9]
	buffer_load_dword v112, off, s[0:3], 0 offset:24
	buffer_load_dword v113, off, s[0:3], 0 offset:28
	v_cmp_gt_u32_e32 vcc, 3, v0
	s_waitcnt vmcnt(0)
	ds_write_b64 v114, v[112:113]
	s_waitcnt lgkmcnt(0)
	; wave barrier
	s_waitcnt lgkmcnt(0)
	s_and_saveexec_b64 s[8:9], vcc
	s_cbranch_execz .LBB118_560
; %bb.553:
	s_and_b64 vcc, exec, s[4:5]
	s_cbranch_vccnz .LBB118_555
; %bb.554:
	buffer_load_dword v112, v115, s[0:3], 0 offen
	buffer_load_dword v113, v115, s[0:3], 0 offen offset:4
	ds_read_b64 v[116:117], v114
	s_waitcnt vmcnt(0) lgkmcnt(0)
	v_mul_f64 v[112:113], v[112:113], v[116:117]
	s_cbranch_execz .LBB118_556
	s_branch .LBB118_557
.LBB118_555:
                                        ; implicit-def: $vgpr112_vgpr113
.LBB118_556:
	ds_read_b64 v[112:113], v114
.LBB118_557:
	v_cmp_ne_u32_e32 vcc, 2, v0
	s_and_saveexec_b64 s[10:11], vcc
	s_cbranch_execz .LBB118_559
; %bb.558:
	buffer_load_dword v117, v115, s[0:3], 0 offen offset:12
	buffer_load_dword v118, off, s[0:3], 0 offset:16
	buffer_load_dword v116, v115, s[0:3], 0 offen offset:8
	buffer_load_dword v119, off, s[0:3], 0 offset:20
	v_mov_b32_e32 v122, 0
	ds_read_b64 v[120:121], v114 offset:8
	ds_read_b64 v[122:123], v122 offset:464
	s_waitcnt vmcnt(1) lgkmcnt(1)
	v_fmac_f64_e32 v[112:113], v[116:117], v[120:121]
	s_waitcnt vmcnt(0) lgkmcnt(0)
	v_fma_f64 v[116:117], v[118:119], v[122:123], v[112:113]
	v_cndmask_b32_e64 v113, v113, v117, s[6:7]
	v_cndmask_b32_e64 v112, v112, v116, s[6:7]
.LBB118_559:
	s_or_b64 exec, exec, s[10:11]
	v_mov_b32_e32 v116, 0
	ds_read_b64 v[116:117], v116 offset:24
	s_waitcnt lgkmcnt(0)
	v_mul_f64 v[112:113], v[112:113], v[116:117]
	buffer_store_dword v113, off, s[0:3], 0 offset:28
	buffer_store_dword v112, off, s[0:3], 0 offset:24
.LBB118_560:
	s_or_b64 exec, exec, s[8:9]
	buffer_load_dword v112, off, s[0:3], 0 offset:32
	buffer_load_dword v113, off, s[0:3], 0 offset:36
	v_cmp_gt_u32_e32 vcc, 4, v0
	s_waitcnt vmcnt(0)
	ds_write_b64 v114, v[112:113]
	s_waitcnt lgkmcnt(0)
	; wave barrier
	s_waitcnt lgkmcnt(0)
	s_and_saveexec_b64 s[6:7], vcc
	s_cbranch_execz .LBB118_570
; %bb.561:
	s_and_b64 vcc, exec, s[4:5]
	s_cbranch_vccnz .LBB118_563
; %bb.562:
	buffer_load_dword v112, v115, s[0:3], 0 offen
	buffer_load_dword v113, v115, s[0:3], 0 offen offset:4
	ds_read_b64 v[116:117], v114
	s_waitcnt vmcnt(0) lgkmcnt(0)
	v_mul_f64 v[112:113], v[112:113], v[116:117]
	s_cbranch_execz .LBB118_564
	s_branch .LBB118_565
.LBB118_563:
                                        ; implicit-def: $vgpr112_vgpr113
.LBB118_564:
	ds_read_b64 v[112:113], v114
.LBB118_565:
	v_cmp_ne_u32_e32 vcc, 3, v0
	s_and_saveexec_b64 s[8:9], vcc
	s_cbranch_execz .LBB118_569
; %bb.566:
	v_mov_b32_e32 v117, 0
	v_add_u32_e32 v116, 0x1c8, v1
	v_add3_u32 v117, v1, v117, 8
	s_mov_b64 s[10:11], 0
	v_mov_b32_e32 v118, v0
.LBB118_567:                            ; =>This Inner Loop Header: Depth=1
	buffer_load_dword v120, v117, s[0:3], 0 offen
	buffer_load_dword v121, v117, s[0:3], 0 offen offset:4
	ds_read_b64 v[122:123], v116
	v_add_u32_e32 v118, 1, v118
	v_cmp_lt_u32_e32 vcc, 2, v118
	v_add_u32_e32 v116, 8, v116
	v_add_u32_e32 v117, 8, v117
	s_or_b64 s[10:11], vcc, s[10:11]
	s_waitcnt vmcnt(0) lgkmcnt(0)
	v_fmac_f64_e32 v[112:113], v[120:121], v[122:123]
	s_andn2_b64 exec, exec, s[10:11]
	s_cbranch_execnz .LBB118_567
; %bb.568:
	s_or_b64 exec, exec, s[10:11]
.LBB118_569:
	s_or_b64 exec, exec, s[8:9]
	v_mov_b32_e32 v116, 0
	ds_read_b64 v[116:117], v116 offset:32
	s_waitcnt lgkmcnt(0)
	v_mul_f64 v[112:113], v[112:113], v[116:117]
	buffer_store_dword v113, off, s[0:3], 0 offset:36
	buffer_store_dword v112, off, s[0:3], 0 offset:32
.LBB118_570:
	s_or_b64 exec, exec, s[6:7]
	buffer_load_dword v112, off, s[0:3], 0 offset:40
	buffer_load_dword v113, off, s[0:3], 0 offset:44
	v_cmp_gt_u32_e32 vcc, 5, v0
	s_waitcnt vmcnt(0)
	ds_write_b64 v114, v[112:113]
	s_waitcnt lgkmcnt(0)
	; wave barrier
	s_waitcnt lgkmcnt(0)
	s_and_saveexec_b64 s[6:7], vcc
	s_cbranch_execz .LBB118_580
; %bb.571:
	s_and_b64 vcc, exec, s[4:5]
	s_cbranch_vccnz .LBB118_573
; %bb.572:
	buffer_load_dword v112, v115, s[0:3], 0 offen
	buffer_load_dword v113, v115, s[0:3], 0 offen offset:4
	ds_read_b64 v[116:117], v114
	s_waitcnt vmcnt(0) lgkmcnt(0)
	v_mul_f64 v[112:113], v[112:113], v[116:117]
	s_cbranch_execz .LBB118_574
	s_branch .LBB118_575
.LBB118_573:
                                        ; implicit-def: $vgpr112_vgpr113
.LBB118_574:
	ds_read_b64 v[112:113], v114
.LBB118_575:
	v_cmp_ne_u32_e32 vcc, 4, v0
	s_and_saveexec_b64 s[8:9], vcc
	s_cbranch_execz .LBB118_579
; %bb.576:
	v_mov_b32_e32 v117, 0
	v_add_u32_e32 v116, 0x1c8, v1
	v_add3_u32 v117, v1, v117, 8
	s_mov_b64 s[10:11], 0
	v_mov_b32_e32 v118, v0
.LBB118_577:                            ; =>This Inner Loop Header: Depth=1
	buffer_load_dword v120, v117, s[0:3], 0 offen
	buffer_load_dword v121, v117, s[0:3], 0 offen offset:4
	ds_read_b64 v[122:123], v116
	v_add_u32_e32 v118, 1, v118
	v_cmp_lt_u32_e32 vcc, 3, v118
	v_add_u32_e32 v116, 8, v116
	v_add_u32_e32 v117, 8, v117
	s_or_b64 s[10:11], vcc, s[10:11]
	s_waitcnt vmcnt(0) lgkmcnt(0)
	v_fmac_f64_e32 v[112:113], v[120:121], v[122:123]
	s_andn2_b64 exec, exec, s[10:11]
	s_cbranch_execnz .LBB118_577
; %bb.578:
	s_or_b64 exec, exec, s[10:11]
.LBB118_579:
	s_or_b64 exec, exec, s[8:9]
	v_mov_b32_e32 v116, 0
	ds_read_b64 v[116:117], v116 offset:40
	s_waitcnt lgkmcnt(0)
	v_mul_f64 v[112:113], v[112:113], v[116:117]
	buffer_store_dword v113, off, s[0:3], 0 offset:44
	buffer_store_dword v112, off, s[0:3], 0 offset:40
.LBB118_580:
	;; [unrolled: 60-line block ×44, first 2 shown]
	s_or_b64 exec, exec, s[6:7]
	buffer_load_dword v112, off, s[0:3], 0 offset:384
	buffer_load_dword v113, off, s[0:3], 0 offset:388
	v_cmp_gt_u32_e32 vcc, 48, v0
	s_waitcnt vmcnt(0)
	ds_write_b64 v114, v[112:113]
	s_waitcnt lgkmcnt(0)
	; wave barrier
	s_waitcnt lgkmcnt(0)
	s_and_saveexec_b64 s[6:7], vcc
	s_cbranch_execz .LBB118_1010
; %bb.1001:
	s_and_b64 vcc, exec, s[4:5]
	s_cbranch_vccnz .LBB118_1003
; %bb.1002:
	buffer_load_dword v112, v115, s[0:3], 0 offen
	buffer_load_dword v113, v115, s[0:3], 0 offen offset:4
	ds_read_b64 v[116:117], v114
	s_waitcnt vmcnt(0) lgkmcnt(0)
	v_mul_f64 v[112:113], v[112:113], v[116:117]
	s_cbranch_execz .LBB118_1004
	s_branch .LBB118_1005
.LBB118_1003:
                                        ; implicit-def: $vgpr112_vgpr113
.LBB118_1004:
	ds_read_b64 v[112:113], v114
.LBB118_1005:
	v_cmp_ne_u32_e32 vcc, 47, v0
	s_and_saveexec_b64 s[8:9], vcc
	s_cbranch_execz .LBB118_1009
; %bb.1006:
	v_mov_b32_e32 v117, 0
	v_add_u32_e32 v116, 0x1c8, v1
	v_add3_u32 v117, v1, v117, 8
	s_mov_b64 s[10:11], 0
	v_mov_b32_e32 v118, v0
.LBB118_1007:                           ; =>This Inner Loop Header: Depth=1
	buffer_load_dword v120, v117, s[0:3], 0 offen
	buffer_load_dword v121, v117, s[0:3], 0 offen offset:4
	ds_read_b64 v[122:123], v116
	v_add_u32_e32 v118, 1, v118
	v_cmp_lt_u32_e32 vcc, 46, v118
	v_add_u32_e32 v116, 8, v116
	v_add_u32_e32 v117, 8, v117
	s_or_b64 s[10:11], vcc, s[10:11]
	s_waitcnt vmcnt(0) lgkmcnt(0)
	v_fmac_f64_e32 v[112:113], v[120:121], v[122:123]
	s_andn2_b64 exec, exec, s[10:11]
	s_cbranch_execnz .LBB118_1007
; %bb.1008:
	s_or_b64 exec, exec, s[10:11]
.LBB118_1009:
	s_or_b64 exec, exec, s[8:9]
	v_mov_b32_e32 v116, 0
	ds_read_b64 v[116:117], v116 offset:384
	s_waitcnt lgkmcnt(0)
	v_mul_f64 v[112:113], v[112:113], v[116:117]
	buffer_store_dword v113, off, s[0:3], 0 offset:388
	buffer_store_dword v112, off, s[0:3], 0 offset:384
.LBB118_1010:
	s_or_b64 exec, exec, s[6:7]
	buffer_load_dword v112, off, s[0:3], 0 offset:392
	buffer_load_dword v113, off, s[0:3], 0 offset:396
	v_cmp_gt_u32_e32 vcc, 49, v0
	s_waitcnt vmcnt(0)
	ds_write_b64 v114, v[112:113]
	s_waitcnt lgkmcnt(0)
	; wave barrier
	s_waitcnt lgkmcnt(0)
	s_and_saveexec_b64 s[6:7], vcc
	s_cbranch_execz .LBB118_1020
; %bb.1011:
	s_and_b64 vcc, exec, s[4:5]
	s_cbranch_vccnz .LBB118_1013
; %bb.1012:
	buffer_load_dword v112, v115, s[0:3], 0 offen
	buffer_load_dword v113, v115, s[0:3], 0 offen offset:4
	ds_read_b64 v[116:117], v114
	s_waitcnt vmcnt(0) lgkmcnt(0)
	v_mul_f64 v[112:113], v[112:113], v[116:117]
	s_cbranch_execz .LBB118_1014
	s_branch .LBB118_1015
.LBB118_1013:
                                        ; implicit-def: $vgpr112_vgpr113
.LBB118_1014:
	ds_read_b64 v[112:113], v114
.LBB118_1015:
	v_cmp_ne_u32_e32 vcc, 48, v0
	s_and_saveexec_b64 s[8:9], vcc
	s_cbranch_execz .LBB118_1019
; %bb.1016:
	v_mov_b32_e32 v117, 0
	v_add_u32_e32 v116, 0x1c8, v1
	v_add3_u32 v117, v1, v117, 8
	s_mov_b64 s[10:11], 0
	v_mov_b32_e32 v118, v0
.LBB118_1017:                           ; =>This Inner Loop Header: Depth=1
	buffer_load_dword v120, v117, s[0:3], 0 offen
	buffer_load_dword v121, v117, s[0:3], 0 offen offset:4
	ds_read_b64 v[122:123], v116
	v_add_u32_e32 v118, 1, v118
	v_cmp_lt_u32_e32 vcc, 47, v118
	v_add_u32_e32 v116, 8, v116
	v_add_u32_e32 v117, 8, v117
	s_or_b64 s[10:11], vcc, s[10:11]
	s_waitcnt vmcnt(0) lgkmcnt(0)
	v_fmac_f64_e32 v[112:113], v[120:121], v[122:123]
	s_andn2_b64 exec, exec, s[10:11]
	s_cbranch_execnz .LBB118_1017
; %bb.1018:
	s_or_b64 exec, exec, s[10:11]
.LBB118_1019:
	s_or_b64 exec, exec, s[8:9]
	v_mov_b32_e32 v116, 0
	ds_read_b64 v[116:117], v116 offset:392
	s_waitcnt lgkmcnt(0)
	v_mul_f64 v[112:113], v[112:113], v[116:117]
	buffer_store_dword v113, off, s[0:3], 0 offset:396
	buffer_store_dword v112, off, s[0:3], 0 offset:392
.LBB118_1020:
	;; [unrolled: 60-line block ×5, first 2 shown]
	s_or_b64 exec, exec, s[6:7]
	buffer_load_dword v112, off, s[0:3], 0 offset:424
	buffer_load_dword v113, off, s[0:3], 0 offset:428
	v_cmp_gt_u32_e64 s[6:7], 53, v0
	s_waitcnt vmcnt(0)
	ds_write_b64 v114, v[112:113]
	s_waitcnt lgkmcnt(0)
	; wave barrier
	s_waitcnt lgkmcnt(0)
	s_and_saveexec_b64 s[8:9], s[6:7]
	s_cbranch_execz .LBB118_1060
; %bb.1051:
	s_and_b64 vcc, exec, s[4:5]
	s_cbranch_vccnz .LBB118_1053
; %bb.1052:
	buffer_load_dword v112, v115, s[0:3], 0 offen
	buffer_load_dword v113, v115, s[0:3], 0 offen offset:4
	ds_read_b64 v[116:117], v114
	s_waitcnt vmcnt(0) lgkmcnt(0)
	v_mul_f64 v[112:113], v[112:113], v[116:117]
	s_cbranch_execz .LBB118_1054
	s_branch .LBB118_1055
.LBB118_1053:
                                        ; implicit-def: $vgpr112_vgpr113
.LBB118_1054:
	ds_read_b64 v[112:113], v114
.LBB118_1055:
	v_cmp_ne_u32_e32 vcc, 52, v0
	s_and_saveexec_b64 s[10:11], vcc
	s_cbranch_execz .LBB118_1059
; %bb.1056:
	v_mov_b32_e32 v117, 0
	v_add_u32_e32 v116, 0x1c8, v1
	v_add3_u32 v117, v1, v117, 8
	s_mov_b64 s[12:13], 0
	v_mov_b32_e32 v118, v0
.LBB118_1057:                           ; =>This Inner Loop Header: Depth=1
	buffer_load_dword v120, v117, s[0:3], 0 offen
	buffer_load_dword v121, v117, s[0:3], 0 offen offset:4
	ds_read_b64 v[122:123], v116
	v_add_u32_e32 v118, 1, v118
	v_cmp_lt_u32_e32 vcc, 51, v118
	v_add_u32_e32 v116, 8, v116
	v_add_u32_e32 v117, 8, v117
	s_or_b64 s[12:13], vcc, s[12:13]
	s_waitcnt vmcnt(0) lgkmcnt(0)
	v_fmac_f64_e32 v[112:113], v[120:121], v[122:123]
	s_andn2_b64 exec, exec, s[12:13]
	s_cbranch_execnz .LBB118_1057
; %bb.1058:
	s_or_b64 exec, exec, s[12:13]
.LBB118_1059:
	s_or_b64 exec, exec, s[10:11]
	v_mov_b32_e32 v116, 0
	ds_read_b64 v[116:117], v116 offset:424
	s_waitcnt lgkmcnt(0)
	v_mul_f64 v[112:113], v[112:113], v[116:117]
	buffer_store_dword v113, off, s[0:3], 0 offset:428
	buffer_store_dword v112, off, s[0:3], 0 offset:424
.LBB118_1060:
	s_or_b64 exec, exec, s[8:9]
	buffer_load_dword v112, off, s[0:3], 0 offset:432
	buffer_load_dword v113, off, s[0:3], 0 offset:436
	v_cmp_ne_u32_e32 vcc, 54, v0
	s_waitcnt vmcnt(0)
	ds_write_b64 v114, v[112:113]
	s_waitcnt lgkmcnt(0)
	; wave barrier
	s_waitcnt lgkmcnt(0)
	s_and_saveexec_b64 s[8:9], vcc
	s_cbranch_execz .LBB118_1070
; %bb.1061:
	s_and_b64 vcc, exec, s[4:5]
	s_cbranch_vccnz .LBB118_1063
; %bb.1062:
	buffer_load_dword v112, v115, s[0:3], 0 offen
	buffer_load_dword v113, v115, s[0:3], 0 offen offset:4
	ds_read_b64 v[116:117], v114
	s_waitcnt vmcnt(0) lgkmcnt(0)
	v_mul_f64 v[112:113], v[112:113], v[116:117]
	s_cbranch_execz .LBB118_1064
	s_branch .LBB118_1065
.LBB118_1063:
                                        ; implicit-def: $vgpr112_vgpr113
.LBB118_1064:
	ds_read_b64 v[112:113], v114
.LBB118_1065:
	s_and_saveexec_b64 s[4:5], s[6:7]
	s_cbranch_execz .LBB118_1069
; %bb.1066:
	v_mov_b32_e32 v115, 0
	v_add_u32_e32 v114, 0x1c8, v1
	v_add3_u32 v1, v1, v115, 8
	s_mov_b64 s[6:7], 0
.LBB118_1067:                           ; =>This Inner Loop Header: Depth=1
	buffer_load_dword v116, v1, s[0:3], 0 offen
	buffer_load_dword v117, v1, s[0:3], 0 offen offset:4
	ds_read_b64 v[118:119], v114
	v_add_u32_e32 v0, 1, v0
	v_cmp_lt_u32_e32 vcc, 52, v0
	v_add_u32_e32 v114, 8, v114
	v_add_u32_e32 v1, 8, v1
	s_or_b64 s[6:7], vcc, s[6:7]
	s_waitcnt vmcnt(0) lgkmcnt(0)
	v_fmac_f64_e32 v[112:113], v[116:117], v[118:119]
	s_andn2_b64 exec, exec, s[6:7]
	s_cbranch_execnz .LBB118_1067
; %bb.1068:
	s_or_b64 exec, exec, s[6:7]
.LBB118_1069:
	s_or_b64 exec, exec, s[4:5]
	v_mov_b32_e32 v0, 0
	ds_read_b64 v[0:1], v0 offset:432
	s_waitcnt lgkmcnt(0)
	v_mul_f64 v[0:1], v[112:113], v[0:1]
	buffer_store_dword v1, off, s[0:3], 0 offset:436
	buffer_store_dword v0, off, s[0:3], 0 offset:432
.LBB118_1070:
	s_or_b64 exec, exec, s[8:9]
.LBB118_1071:
	buffer_load_dword v0, off, s[0:3], 0
	buffer_load_dword v1, off, s[0:3], 0 offset:4
	buffer_load_dword v112, off, s[0:3], 0 offset:8
	;; [unrolled: 1-line block ×109, first 2 shown]
	s_waitcnt vmcnt(62)
	global_store_dwordx2 v[100:101], v[0:1], off
	global_store_dwordx2 v[104:105], v[112:113], off
	;; [unrolled: 1-line block ×24, first 2 shown]
	s_waitcnt vmcnt(62)
	global_store_dwordx2 v[46:47], v[158:159], off
	global_store_dwordx2 v[48:49], v[160:161], off
	;; [unrolled: 1-line block ×12, first 2 shown]
	s_waitcnt vmcnt(62)
	global_store_dwordx2 v[70:71], v[182:183], off
	global_store_dwordx2 v[72:73], v[184:185], off
	;; [unrolled: 1-line block ×6, first 2 shown]
	s_waitcnt vmcnt(62)
	global_store_dwordx2 v[82:83], v[194:195], off
	global_store_dwordx2 v[84:85], v[196:197], off
	;; [unrolled: 1-line block ×3, first 2 shown]
	s_waitcnt vmcnt(62)
	global_store_dwordx2 v[88:89], v[200:201], off
	s_waitcnt vmcnt(62)
	global_store_dwordx2 v[90:91], v[202:203], off
	;; [unrolled: 2-line block ×10, first 2 shown]
.LBB118_1072:
	s_endpgm
	.section	.rodata,"a",@progbits
	.p2align	6, 0x0
	.amdhsa_kernel _ZN9rocsolver6v33100L18trti2_kernel_smallILi55EdPKPdEEv13rocblas_fill_17rocblas_diagonal_T1_iil
		.amdhsa_group_segment_fixed_size 888
		.amdhsa_private_segment_fixed_size 448
		.amdhsa_kernarg_size 32
		.amdhsa_user_sgpr_count 8
		.amdhsa_user_sgpr_private_segment_buffer 1
		.amdhsa_user_sgpr_dispatch_ptr 0
		.amdhsa_user_sgpr_queue_ptr 0
		.amdhsa_user_sgpr_kernarg_segment_ptr 1
		.amdhsa_user_sgpr_dispatch_id 0
		.amdhsa_user_sgpr_flat_scratch_init 1
		.amdhsa_user_sgpr_kernarg_preload_length 0
		.amdhsa_user_sgpr_kernarg_preload_offset 0
		.amdhsa_user_sgpr_private_segment_size 0
		.amdhsa_uses_dynamic_stack 0
		.amdhsa_system_sgpr_private_segment_wavefront_offset 1
		.amdhsa_system_sgpr_workgroup_id_x 1
		.amdhsa_system_sgpr_workgroup_id_y 0
		.amdhsa_system_sgpr_workgroup_id_z 0
		.amdhsa_system_sgpr_workgroup_info 0
		.amdhsa_system_vgpr_workitem_id 0
		.amdhsa_next_free_vgpr 220
		.amdhsa_next_free_sgpr 16
		.amdhsa_accum_offset 220
		.amdhsa_reserve_vcc 1
		.amdhsa_reserve_flat_scratch 0
		.amdhsa_float_round_mode_32 0
		.amdhsa_float_round_mode_16_64 0
		.amdhsa_float_denorm_mode_32 3
		.amdhsa_float_denorm_mode_16_64 3
		.amdhsa_dx10_clamp 1
		.amdhsa_ieee_mode 1
		.amdhsa_fp16_overflow 0
		.amdhsa_tg_split 0
		.amdhsa_exception_fp_ieee_invalid_op 0
		.amdhsa_exception_fp_denorm_src 0
		.amdhsa_exception_fp_ieee_div_zero 0
		.amdhsa_exception_fp_ieee_overflow 0
		.amdhsa_exception_fp_ieee_underflow 0
		.amdhsa_exception_fp_ieee_inexact 0
		.amdhsa_exception_int_div_zero 0
	.end_amdhsa_kernel
	.section	.text._ZN9rocsolver6v33100L18trti2_kernel_smallILi55EdPKPdEEv13rocblas_fill_17rocblas_diagonal_T1_iil,"axG",@progbits,_ZN9rocsolver6v33100L18trti2_kernel_smallILi55EdPKPdEEv13rocblas_fill_17rocblas_diagonal_T1_iil,comdat
.Lfunc_end118:
	.size	_ZN9rocsolver6v33100L18trti2_kernel_smallILi55EdPKPdEEv13rocblas_fill_17rocblas_diagonal_T1_iil, .Lfunc_end118-_ZN9rocsolver6v33100L18trti2_kernel_smallILi55EdPKPdEEv13rocblas_fill_17rocblas_diagonal_T1_iil
                                        ; -- End function
	.section	.AMDGPU.csdata,"",@progbits
; Kernel info:
; codeLenInByte = 31920
; NumSgprs: 20
; NumVgprs: 220
; NumAgprs: 0
; TotalNumVgprs: 220
; ScratchSize: 448
; MemoryBound: 0
; FloatMode: 240
; IeeeMode: 1
; LDSByteSize: 888 bytes/workgroup (compile time only)
; SGPRBlocks: 2
; VGPRBlocks: 27
; NumSGPRsForWavesPerEU: 20
; NumVGPRsForWavesPerEU: 220
; AccumOffset: 220
; Occupancy: 2
; WaveLimiterHint : 1
; COMPUTE_PGM_RSRC2:SCRATCH_EN: 1
; COMPUTE_PGM_RSRC2:USER_SGPR: 8
; COMPUTE_PGM_RSRC2:TRAP_HANDLER: 0
; COMPUTE_PGM_RSRC2:TGID_X_EN: 1
; COMPUTE_PGM_RSRC2:TGID_Y_EN: 0
; COMPUTE_PGM_RSRC2:TGID_Z_EN: 0
; COMPUTE_PGM_RSRC2:TIDIG_COMP_CNT: 0
; COMPUTE_PGM_RSRC3_GFX90A:ACCUM_OFFSET: 54
; COMPUTE_PGM_RSRC3_GFX90A:TG_SPLIT: 0
	.section	.text._ZN9rocsolver6v33100L18trti2_kernel_smallILi56EdPKPdEEv13rocblas_fill_17rocblas_diagonal_T1_iil,"axG",@progbits,_ZN9rocsolver6v33100L18trti2_kernel_smallILi56EdPKPdEEv13rocblas_fill_17rocblas_diagonal_T1_iil,comdat
	.globl	_ZN9rocsolver6v33100L18trti2_kernel_smallILi56EdPKPdEEv13rocblas_fill_17rocblas_diagonal_T1_iil ; -- Begin function _ZN9rocsolver6v33100L18trti2_kernel_smallILi56EdPKPdEEv13rocblas_fill_17rocblas_diagonal_T1_iil
	.p2align	8
	.type	_ZN9rocsolver6v33100L18trti2_kernel_smallILi56EdPKPdEEv13rocblas_fill_17rocblas_diagonal_T1_iil,@function
_ZN9rocsolver6v33100L18trti2_kernel_smallILi56EdPKPdEEv13rocblas_fill_17rocblas_diagonal_T1_iil: ; @_ZN9rocsolver6v33100L18trti2_kernel_smallILi56EdPKPdEEv13rocblas_fill_17rocblas_diagonal_T1_iil
; %bb.0:
	s_add_u32 s0, s0, s9
	s_addc_u32 s1, s1, 0
	v_cmp_gt_u32_e32 vcc, 56, v0
	s_and_saveexec_b64 s[6:7], vcc
	s_cbranch_execz .LBB119_1092
; %bb.1:
	s_load_dwordx2 s[6:7], s[4:5], 0x10
	s_load_dwordx4 s[12:15], s[4:5], 0x0
	s_ashr_i32 s9, s8, 31
	s_lshl_b64 s[4:5], s[8:9], 3
	s_waitcnt lgkmcnt(0)
	s_ashr_i32 s9, s6, 31
	s_add_u32 s4, s14, s4
	s_addc_u32 s5, s15, s5
	s_load_dwordx2 s[4:5], s[4:5], 0x0
	s_mov_b32 s8, s6
	s_lshl_b64 s[8:9], s[8:9], 3
	s_waitcnt lgkmcnt(0)
	s_add_u32 s4, s4, s8
	s_addc_u32 s5, s5, s9
	s_add_i32 s6, s7, s7
	v_add_u32_e32 v4, s6, v0
	v_ashrrev_i32_e32 v5, 31, v4
	v_lshlrev_b64 v[2:3], 3, v[4:5]
	v_add_u32_e32 v6, s7, v4
	v_mov_b32_e32 v1, s5
	v_add_co_u32_e32 v2, vcc, s4, v2
	v_ashrrev_i32_e32 v7, 31, v6
	v_addc_co_u32_e32 v3, vcc, v1, v3, vcc
	v_lshlrev_b64 v[4:5], 3, v[6:7]
	v_add_u32_e32 v8, s7, v6
	v_add_co_u32_e32 v4, vcc, s4, v4
	v_ashrrev_i32_e32 v9, 31, v8
	v_addc_co_u32_e32 v5, vcc, v1, v5, vcc
	v_lshlrev_b64 v[6:7], 3, v[8:9]
	v_add_u32_e32 v10, s7, v8
	;; [unrolled: 5-line block ×45, first 2 shown]
	v_add_co_u32_e32 v92, vcc, s4, v92
	v_ashrrev_i32_e32 v97, 31, v96
	v_addc_co_u32_e32 v93, vcc, v1, v93, vcc
	v_lshlrev_b64 v[94:95], 3, v[96:97]
	v_add_co_u32_e32 v94, vcc, s4, v94
	v_add_u32_e32 v98, s7, v96
	v_addc_co_u32_e32 v95, vcc, v1, v95, vcc
	v_ashrrev_i32_e32 v99, 31, v98
	v_lshlrev_b32_e32 v1, 3, v0
	v_lshlrev_b64 v[96:97], 3, v[98:99]
	global_load_dwordx2 v[114:115], v1, s[4:5]
	global_load_dwordx2 v[118:119], v[2:3], off
	v_mov_b32_e32 v99, s5
	v_add_co_u32_e32 v104, vcc, s4, v1
	s_ashr_i32 s9, s7, 31
	s_mov_b32 s8, s7
	v_addc_co_u32_e32 v105, vcc, 0, v99, vcc
	s_lshl_b64 s[8:9], s[8:9], 3
	v_mov_b32_e32 v99, s9
	v_add_co_u32_e32 v106, vcc, s8, v104
	v_addc_co_u32_e32 v107, vcc, v105, v99, vcc
	global_load_dwordx2 v[116:117], v[106:107], off
	global_load_dwordx2 v[120:121], v[4:5], off
	;; [unrolled: 1-line block ×7, first 2 shown]
	v_mov_b32_e32 v100, s5
	v_add_co_u32_e32 v96, vcc, s4, v96
	v_addc_co_u32_e32 v97, vcc, v100, v97, vcc
	v_add_u32_e32 v100, s7, v98
	v_ashrrev_i32_e32 v101, 31, v100
	v_lshlrev_b64 v[98:99], 3, v[100:101]
	v_mov_b32_e32 v102, s5
	v_add_co_u32_e32 v98, vcc, s4, v98
	global_load_dwordx2 v[132:133], v[16:17], off
	global_load_dwordx2 v[134:135], v[18:19], off
	v_addc_co_u32_e32 v99, vcc, v102, v99, vcc
	v_add_u32_e32 v102, s7, v100
	v_ashrrev_i32_e32 v103, 31, v102
	v_lshlrev_b64 v[100:101], 3, v[102:103]
	v_mov_b32_e32 v108, s5
	v_add_co_u32_e32 v100, vcc, s4, v100
	v_addc_co_u32_e32 v101, vcc, v108, v101, vcc
	v_add_u32_e32 v108, s7, v102
	v_ashrrev_i32_e32 v109, 31, v108
	v_lshlrev_b64 v[102:103], 3, v[108:109]
	v_mov_b32_e32 v110, s5
	v_add_co_u32_e32 v102, vcc, s4, v102
	v_addc_co_u32_e32 v103, vcc, v110, v103, vcc
	v_add_u32_e32 v110, s7, v108
	global_load_dwordx2 v[136:137], v[20:21], off
	global_load_dwordx2 v[138:139], v[22:23], off
	v_ashrrev_i32_e32 v111, 31, v110
	v_lshlrev_b64 v[108:109], 3, v[110:111]
	v_mov_b32_e32 v112, s5
	v_add_co_u32_e32 v108, vcc, s4, v108
	v_addc_co_u32_e32 v109, vcc, v112, v109, vcc
	v_add_u32_e32 v112, s7, v110
	v_ashrrev_i32_e32 v113, 31, v112
	v_lshlrev_b64 v[110:111], 3, v[112:113]
	v_add_u32_e32 v112, s7, v112
	global_load_dwordx2 v[140:141], v[24:25], off
	v_mov_b32_e32 v146, s5
	v_add_co_u32_e32 v110, vcc, s4, v110
	v_ashrrev_i32_e32 v113, 31, v112
	v_addc_co_u32_e32 v111, vcc, v146, v111, vcc
	v_lshlrev_b64 v[112:113], 3, v[112:113]
	v_mov_b32_e32 v162, s5
	v_add_co_u32_e32 v112, vcc, s4, v112
	global_load_dwordx2 v[142:143], v[26:27], off
	global_load_dwordx2 v[144:145], v[28:29], off
	;; [unrolled: 1-line block ×10, first 2 shown]
	v_addc_co_u32_e32 v113, vcc, v162, v113, vcc
	global_load_dwordx2 v[162:163], v[46:47], off
	global_load_dwordx2 v[164:165], v[112:113], off
	;; [unrolled: 1-line block ×18, first 2 shown]
	s_cmpk_lg_i32 s13, 0x84
	s_waitcnt vmcnt(41)
	buffer_store_dword v115, off, s[0:3], 0 offset:4
	buffer_store_dword v114, off, s[0:3], 0
	global_load_dwordx2 v[114:115], v[52:53], off
	s_cselect_b64 s[8:9], -1, 0
	s_waitcnt vmcnt(42)
	buffer_store_dword v117, off, s[0:3], 0 offset:12
	buffer_store_dword v116, off, s[0:3], 0 offset:8
	global_load_dwordx2 v[116:117], v[56:57], off
	s_cmpk_eq_i32 s13, 0x84
	buffer_store_dword v119, off, s[0:3], 0 offset:20
	buffer_store_dword v118, off, s[0:3], 0 offset:16
	global_load_dwordx2 v[118:119], v[60:61], off
	s_waitcnt vmcnt(47)
	buffer_store_dword v121, off, s[0:3], 0 offset:28
	buffer_store_dword v120, off, s[0:3], 0 offset:24
	global_load_dwordx2 v[120:121], v[64:65], off
	s_waitcnt vmcnt(49)
	;; [unrolled: 4-line block ×9, first 2 shown]
	buffer_store_dword v136, off, s[0:3], 0 offset:88
	buffer_store_dword v137, off, s[0:3], 0 offset:92
	global_load_dwordx2 v[136:137], v[96:97], off
	s_nop 0
	buffer_store_dword v138, off, s[0:3], 0 offset:96
	buffer_store_dword v139, off, s[0:3], 0 offset:100
	global_load_dwordx2 v[138:139], v[100:101], off
	s_waitcnt vmcnt(62)
	buffer_store_dword v140, off, s[0:3], 0 offset:104
	buffer_store_dword v141, off, s[0:3], 0 offset:108
	global_load_dwordx2 v[140:141], v[108:109], off
	s_nop 0
	buffer_store_dword v143, off, s[0:3], 0 offset:116
	buffer_store_dword v142, off, s[0:3], 0 offset:112
	;; [unrolled: 1-line block ×10, first 2 shown]
	s_waitcnt vmcnt(62)
	buffer_store_dword v153, off, s[0:3], 0 offset:156
	buffer_store_dword v152, off, s[0:3], 0 offset:152
	;; [unrolled: 1-line block ×16, first 2 shown]
	s_waitcnt vmcnt(62)
	buffer_store_dword v114, off, s[0:3], 0 offset:216
	buffer_store_dword v115, off, s[0:3], 0 offset:220
	buffer_store_dword v170, off, s[0:3], 0 offset:224
	buffer_store_dword v171, off, s[0:3], 0 offset:228
	buffer_store_dword v116, off, s[0:3], 0 offset:232
	buffer_store_dword v117, off, s[0:3], 0 offset:236
	buffer_store_dword v172, off, s[0:3], 0 offset:240
	buffer_store_dword v173, off, s[0:3], 0 offset:244
	s_waitcnt vmcnt(62)
	buffer_store_dword v119, off, s[0:3], 0 offset:252
	buffer_store_dword v118, off, s[0:3], 0 offset:248
	buffer_store_dword v175, off, s[0:3], 0 offset:260
	buffer_store_dword v174, off, s[0:3], 0 offset:256
	buffer_store_dword v120, off, s[0:3], 0 offset:264
	buffer_store_dword v121, off, s[0:3], 0 offset:268
	buffer_store_dword v176, off, s[0:3], 0 offset:272
	buffer_store_dword v177, off, s[0:3], 0 offset:276
	;; [unrolled: 9-line block ×3, first 2 shown]
	buffer_store_dword v126, off, s[0:3], 0 offset:312
	buffer_store_dword v127, off, s[0:3], 0 offset:316
	;; [unrolled: 1-line block ×4, first 2 shown]
	s_waitcnt vmcnt(62)
	buffer_store_dword v128, off, s[0:3], 0 offset:328
	buffer_store_dword v129, off, s[0:3], 0 offset:332
	;; [unrolled: 1-line block ×16, first 2 shown]
	s_waitcnt vmcnt(62)
	buffer_store_dword v137, off, s[0:3], 0 offset:396
	buffer_store_dword v136, off, s[0:3], 0 offset:392
	;; [unrolled: 1-line block ×14, first 2 shown]
	v_mov_b32_e32 v114, 0
	v_mov_b32_e32 v170, 0
	;; [unrolled: 1-line block ×3, first 2 shown]
	s_cbranch_scc1 .LBB119_3
; %bb.2:
	v_lshl_add_u32 v124, v0, 3, v170
	buffer_load_dword v114, v124, s[0:3], 0 offen
	buffer_load_dword v115, v124, s[0:3], 0 offen offset:4
	s_waitcnt vmcnt(0)
	v_div_scale_f64 v[116:117], s[4:5], v[114:115], v[114:115], 1.0
	v_rcp_f64_e32 v[118:119], v[116:117]
	v_div_scale_f64 v[120:121], vcc, 1.0, v[114:115], 1.0
	v_fma_f64 v[122:123], -v[116:117], v[118:119], 1.0
	v_fmac_f64_e32 v[118:119], v[118:119], v[122:123]
	v_fma_f64 v[122:123], -v[116:117], v[118:119], 1.0
	v_fmac_f64_e32 v[118:119], v[118:119], v[122:123]
	v_mul_f64 v[122:123], v[120:121], v[118:119]
	v_fma_f64 v[116:117], -v[116:117], v[122:123], v[120:121]
	v_div_fmas_f64 v[116:117], v[116:117], v[118:119], v[122:123]
	v_div_fixup_f64 v[114:115], v[116:117], v[114:115], 1.0
	buffer_store_dword v114, v124, s[0:3], 0 offen
	buffer_store_dword v115, v124, s[0:3], 0 offen offset:4
	v_xor_b32_e32 v115, 0x80000000, v115
.LBB119_3:
	s_cmpk_eq_i32 s12, 0x79
	v_add_u32_e32 v116, 0x1c0, v1
	v_add_u32_e32 v117, 0, v1
	s_mov_b64 s[4:5], -1
	ds_write_b64 v1, v[114:115]
	s_cbranch_scc1 .LBB119_547
; %bb.4:
	buffer_load_dword v114, off, s[0:3], 0 offset:432
	buffer_load_dword v115, off, s[0:3], 0 offset:436
	v_cmp_eq_u32_e64 s[4:5], 55, v0
	s_waitcnt vmcnt(0)
	ds_write_b64 v116, v[114:115]
	s_waitcnt lgkmcnt(0)
	; wave barrier
	s_waitcnt lgkmcnt(0)
	s_and_saveexec_b64 s[6:7], s[4:5]
	s_cbranch_execz .LBB119_10
; %bb.5:
	s_and_b64 vcc, exec, s[8:9]
	s_cbranch_vccz .LBB119_7
; %bb.6:
	buffer_load_dword v114, v117, s[0:3], 0 offen
	buffer_load_dword v115, v117, s[0:3], 0 offen offset:4
	ds_read_b64 v[118:119], v116
	s_waitcnt vmcnt(0) lgkmcnt(0)
	v_mul_f64 v[114:115], v[114:115], v[118:119]
	s_cbranch_execz .LBB119_8
	s_branch .LBB119_9
.LBB119_7:
                                        ; implicit-def: $vgpr114_vgpr115
.LBB119_8:
	ds_read_b64 v[114:115], v116
.LBB119_9:
	v_mov_b32_e32 v118, 0
	ds_read_b64 v[118:119], v118 offset:432
	s_waitcnt lgkmcnt(0)
	v_mul_f64 v[114:115], v[114:115], v[118:119]
	buffer_store_dword v115, off, s[0:3], 0 offset:436
	buffer_store_dword v114, off, s[0:3], 0 offset:432
.LBB119_10:
	s_or_b64 exec, exec, s[6:7]
	buffer_load_dword v114, off, s[0:3], 0 offset:424
	buffer_load_dword v115, off, s[0:3], 0 offset:428
	v_or_b32_e32 v118, 8, v170
	v_add_u32_e32 v119, 16, v170
	v_add_u32_e32 v120, 24, v170
	;; [unrolled: 1-line block ×52, first 2 shown]
	v_cmp_lt_u32_e64 s[6:7], 53, v0
	s_waitcnt vmcnt(0)
	ds_write_b64 v116, v[114:115]
	s_waitcnt lgkmcnt(0)
	; wave barrier
	s_waitcnt lgkmcnt(0)
	s_and_saveexec_b64 s[10:11], s[6:7]
	s_cbranch_execz .LBB119_16
; %bb.11:
	s_andn2_b64 vcc, exec, s[8:9]
	s_cbranch_vccnz .LBB119_13
; %bb.12:
	buffer_load_dword v114, v117, s[0:3], 0 offen
	buffer_load_dword v115, v117, s[0:3], 0 offen offset:4
	ds_read_b64 v[172:173], v116
	s_waitcnt vmcnt(0) lgkmcnt(0)
	v_mul_f64 v[114:115], v[114:115], v[172:173]
	s_cbranch_execz .LBB119_14
	s_branch .LBB119_15
.LBB119_13:
                                        ; implicit-def: $vgpr114_vgpr115
.LBB119_14:
	ds_read_b64 v[114:115], v116
.LBB119_15:
	buffer_load_dword v176, off, s[0:3], 0 offset:432
	buffer_load_dword v177, off, s[0:3], 0 offset:436
	v_mov_b32_e32 v171, 0
	ds_read2_b64 v[172:175], v171 offset0:53 offset1:110
	s_waitcnt vmcnt(0) lgkmcnt(0)
	v_fma_f64 v[174:175], v[176:177], v[174:175], v[114:115]
	v_cndmask_b32_e64 v115, v115, v175, s[4:5]
	v_cndmask_b32_e64 v114, v114, v174, s[4:5]
	v_mul_f64 v[114:115], v[114:115], v[172:173]
	buffer_store_dword v115, off, s[0:3], 0 offset:428
	buffer_store_dword v114, off, s[0:3], 0 offset:424
.LBB119_16:
	s_or_b64 exec, exec, s[10:11]
	buffer_load_dword v114, off, s[0:3], 0 offset:416
	buffer_load_dword v115, off, s[0:3], 0 offset:420
	v_cmp_lt_u32_e64 s[4:5], 52, v0
	s_waitcnt vmcnt(0)
	ds_write_b64 v116, v[114:115]
	s_waitcnt lgkmcnt(0)
	; wave barrier
	s_waitcnt lgkmcnt(0)
	s_and_saveexec_b64 s[10:11], s[4:5]
	s_cbranch_execz .LBB119_26
; %bb.17:
	s_andn2_b64 vcc, exec, s[8:9]
	s_cbranch_vccnz .LBB119_19
; %bb.18:
	buffer_load_dword v114, v117, s[0:3], 0 offen
	buffer_load_dword v115, v117, s[0:3], 0 offen offset:4
	ds_read_b64 v[172:173], v116
	s_waitcnt vmcnt(0) lgkmcnt(0)
	v_mul_f64 v[114:115], v[114:115], v[172:173]
	s_cbranch_execz .LBB119_20
	s_branch .LBB119_21
.LBB119_19:
                                        ; implicit-def: $vgpr114_vgpr115
.LBB119_20:
	ds_read_b64 v[114:115], v116
.LBB119_21:
	s_and_saveexec_b64 s[12:13], s[6:7]
	s_cbranch_execz .LBB119_25
; %bb.22:
	v_subrev_u32_e32 v171, 53, v0
	s_movk_i32 s14, 0x368
	s_mov_b64 s[6:7], 0
.LBB119_23:                             ; =>This Inner Loop Header: Depth=1
	buffer_load_dword v172, v170, s[0:3], 0 offen
	buffer_load_dword v173, v170, s[0:3], 0 offen offset:4
	v_mov_b32_e32 v174, s14
	ds_read_b64 v[174:175], v174
	v_add_u32_e32 v171, -1, v171
	s_add_i32 s14, s14, 8
	v_cmp_eq_u32_e32 vcc, 0, v171
	v_add_u32_e32 v170, 8, v170
	s_or_b64 s[6:7], vcc, s[6:7]
	s_waitcnt vmcnt(0) lgkmcnt(0)
	v_fmac_f64_e32 v[114:115], v[172:173], v[174:175]
	s_andn2_b64 exec, exec, s[6:7]
	s_cbranch_execnz .LBB119_23
; %bb.24:
	s_or_b64 exec, exec, s[6:7]
.LBB119_25:
	s_or_b64 exec, exec, s[12:13]
	v_mov_b32_e32 v170, 0
	ds_read_b64 v[170:171], v170 offset:416
	s_waitcnt lgkmcnt(0)
	v_mul_f64 v[114:115], v[114:115], v[170:171]
	buffer_store_dword v115, off, s[0:3], 0 offset:420
	buffer_store_dword v114, off, s[0:3], 0 offset:416
.LBB119_26:
	s_or_b64 exec, exec, s[10:11]
	buffer_load_dword v114, off, s[0:3], 0 offset:408
	buffer_load_dword v115, off, s[0:3], 0 offset:412
	v_cmp_lt_u32_e64 s[6:7], 51, v0
	s_waitcnt vmcnt(0)
	ds_write_b64 v116, v[114:115]
	s_waitcnt lgkmcnt(0)
	; wave barrier
	s_waitcnt lgkmcnt(0)
	s_and_saveexec_b64 s[10:11], s[6:7]
	s_cbranch_execz .LBB119_36
; %bb.27:
	s_andn2_b64 vcc, exec, s[8:9]
	s_cbranch_vccnz .LBB119_29
; %bb.28:
	buffer_load_dword v114, v117, s[0:3], 0 offen
	buffer_load_dword v115, v117, s[0:3], 0 offen offset:4
	ds_read_b64 v[170:171], v116
	s_waitcnt vmcnt(0) lgkmcnt(0)
	v_mul_f64 v[114:115], v[114:115], v[170:171]
	s_cbranch_execz .LBB119_30
	s_branch .LBB119_31
.LBB119_29:
                                        ; implicit-def: $vgpr114_vgpr115
.LBB119_30:
	ds_read_b64 v[114:115], v116
.LBB119_31:
	s_and_saveexec_b64 s[12:13], s[4:5]
	s_cbranch_execz .LBB119_35
; %bb.32:
	v_subrev_u32_e32 v170, 52, v0
	s_movk_i32 s14, 0x360
	s_mov_b64 s[4:5], 0
.LBB119_33:                             ; =>This Inner Loop Header: Depth=1
	buffer_load_dword v172, v169, s[0:3], 0 offen
	buffer_load_dword v173, v169, s[0:3], 0 offen offset:4
	v_mov_b32_e32 v171, s14
	ds_read_b64 v[174:175], v171
	v_add_u32_e32 v170, -1, v170
	s_add_i32 s14, s14, 8
	v_cmp_eq_u32_e32 vcc, 0, v170
	v_add_u32_e32 v169, 8, v169
	s_or_b64 s[4:5], vcc, s[4:5]
	s_waitcnt vmcnt(0) lgkmcnt(0)
	v_fmac_f64_e32 v[114:115], v[172:173], v[174:175]
	s_andn2_b64 exec, exec, s[4:5]
	s_cbranch_execnz .LBB119_33
; %bb.34:
	s_or_b64 exec, exec, s[4:5]
.LBB119_35:
	s_or_b64 exec, exec, s[12:13]
	v_mov_b32_e32 v169, 0
	ds_read_b64 v[170:171], v169 offset:408
	s_waitcnt lgkmcnt(0)
	v_mul_f64 v[114:115], v[114:115], v[170:171]
	buffer_store_dword v115, off, s[0:3], 0 offset:412
	buffer_store_dword v114, off, s[0:3], 0 offset:408
.LBB119_36:
	;; [unrolled: 58-line block ×8, first 2 shown]
	s_or_b64 exec, exec, s[10:11]
	buffer_load_dword v114, off, s[0:3], 0 offset:352
	buffer_load_dword v115, off, s[0:3], 0 offset:356
	v_cmp_lt_u32_e64 s[4:5], 44, v0
	s_waitcnt vmcnt(0)
	ds_write_b64 v116, v[114:115]
	s_waitcnt lgkmcnt(0)
	; wave barrier
	s_waitcnt lgkmcnt(0)
	s_and_saveexec_b64 s[10:11], s[4:5]
	s_cbranch_execz .LBB119_106
; %bb.97:
	s_andn2_b64 vcc, exec, s[8:9]
	s_cbranch_vccnz .LBB119_99
; %bb.98:
	buffer_load_dword v114, v117, s[0:3], 0 offen
	buffer_load_dword v115, v117, s[0:3], 0 offen offset:4
	ds_read_b64 v[164:165], v116
	s_waitcnt vmcnt(0) lgkmcnt(0)
	v_mul_f64 v[114:115], v[114:115], v[164:165]
	s_cbranch_execz .LBB119_100
	s_branch .LBB119_101
.LBB119_99:
                                        ; implicit-def: $vgpr114_vgpr115
.LBB119_100:
	ds_read_b64 v[114:115], v116
.LBB119_101:
	s_and_saveexec_b64 s[12:13], s[6:7]
	s_cbranch_execz .LBB119_105
; %bb.102:
	v_subrev_u32_e32 v163, 45, v0
	s_movk_i32 s14, 0x328
	s_mov_b64 s[6:7], 0
.LBB119_103:                            ; =>This Inner Loop Header: Depth=1
	buffer_load_dword v164, v162, s[0:3], 0 offen
	buffer_load_dword v165, v162, s[0:3], 0 offen offset:4
	v_mov_b32_e32 v166, s14
	ds_read_b64 v[166:167], v166
	v_add_u32_e32 v163, -1, v163
	s_add_i32 s14, s14, 8
	v_cmp_eq_u32_e32 vcc, 0, v163
	v_add_u32_e32 v162, 8, v162
	s_or_b64 s[6:7], vcc, s[6:7]
	s_waitcnt vmcnt(0) lgkmcnt(0)
	v_fmac_f64_e32 v[114:115], v[164:165], v[166:167]
	s_andn2_b64 exec, exec, s[6:7]
	s_cbranch_execnz .LBB119_103
; %bb.104:
	s_or_b64 exec, exec, s[6:7]
.LBB119_105:
	s_or_b64 exec, exec, s[12:13]
	v_mov_b32_e32 v162, 0
	ds_read_b64 v[162:163], v162 offset:352
	s_waitcnt lgkmcnt(0)
	v_mul_f64 v[114:115], v[114:115], v[162:163]
	buffer_store_dword v115, off, s[0:3], 0 offset:356
	buffer_store_dword v114, off, s[0:3], 0 offset:352
.LBB119_106:
	s_or_b64 exec, exec, s[10:11]
	buffer_load_dword v114, off, s[0:3], 0 offset:344
	buffer_load_dword v115, off, s[0:3], 0 offset:348
	v_cmp_lt_u32_e64 s[6:7], 43, v0
	s_waitcnt vmcnt(0)
	ds_write_b64 v116, v[114:115]
	s_waitcnt lgkmcnt(0)
	; wave barrier
	s_waitcnt lgkmcnt(0)
	s_and_saveexec_b64 s[10:11], s[6:7]
	s_cbranch_execz .LBB119_116
; %bb.107:
	s_andn2_b64 vcc, exec, s[8:9]
	s_cbranch_vccnz .LBB119_109
; %bb.108:
	buffer_load_dword v114, v117, s[0:3], 0 offen
	buffer_load_dword v115, v117, s[0:3], 0 offen offset:4
	ds_read_b64 v[162:163], v116
	s_waitcnt vmcnt(0) lgkmcnt(0)
	v_mul_f64 v[114:115], v[114:115], v[162:163]
	s_cbranch_execz .LBB119_110
	s_branch .LBB119_111
.LBB119_109:
                                        ; implicit-def: $vgpr114_vgpr115
.LBB119_110:
	ds_read_b64 v[114:115], v116
.LBB119_111:
	s_and_saveexec_b64 s[12:13], s[4:5]
	s_cbranch_execz .LBB119_115
; %bb.112:
	v_subrev_u32_e32 v162, 44, v0
	s_movk_i32 s14, 0x320
	s_mov_b64 s[4:5], 0
.LBB119_113:                            ; =>This Inner Loop Header: Depth=1
	buffer_load_dword v164, v161, s[0:3], 0 offen
	buffer_load_dword v165, v161, s[0:3], 0 offen offset:4
	v_mov_b32_e32 v163, s14
	ds_read_b64 v[166:167], v163
	v_add_u32_e32 v162, -1, v162
	s_add_i32 s14, s14, 8
	v_cmp_eq_u32_e32 vcc, 0, v162
	v_add_u32_e32 v161, 8, v161
	s_or_b64 s[4:5], vcc, s[4:5]
	s_waitcnt vmcnt(0) lgkmcnt(0)
	v_fmac_f64_e32 v[114:115], v[164:165], v[166:167]
	s_andn2_b64 exec, exec, s[4:5]
	s_cbranch_execnz .LBB119_113
; %bb.114:
	s_or_b64 exec, exec, s[4:5]
.LBB119_115:
	s_or_b64 exec, exec, s[12:13]
	v_mov_b32_e32 v161, 0
	ds_read_b64 v[162:163], v161 offset:344
	s_waitcnt lgkmcnt(0)
	v_mul_f64 v[114:115], v[114:115], v[162:163]
	buffer_store_dword v115, off, s[0:3], 0 offset:348
	buffer_store_dword v114, off, s[0:3], 0 offset:344
.LBB119_116:
	;; [unrolled: 58-line block ×29, first 2 shown]
	s_or_b64 exec, exec, s[10:11]
	buffer_load_dword v114, off, s[0:3], 0 offset:120
	buffer_load_dword v115, off, s[0:3], 0 offset:124
	v_cmp_lt_u32_e64 s[6:7], 15, v0
	s_waitcnt vmcnt(0)
	ds_write_b64 v116, v[114:115]
	s_waitcnt lgkmcnt(0)
	; wave barrier
	s_waitcnt lgkmcnt(0)
	s_and_saveexec_b64 s[10:11], s[6:7]
	s_cbranch_execz .LBB119_396
; %bb.387:
	s_andn2_b64 vcc, exec, s[8:9]
	s_cbranch_vccnz .LBB119_389
; %bb.388:
	buffer_load_dword v114, v117, s[0:3], 0 offen
	buffer_load_dword v115, v117, s[0:3], 0 offen offset:4
	ds_read_b64 v[134:135], v116
	s_waitcnt vmcnt(0) lgkmcnt(0)
	v_mul_f64 v[114:115], v[114:115], v[134:135]
	s_cbranch_execz .LBB119_390
	s_branch .LBB119_391
.LBB119_389:
                                        ; implicit-def: $vgpr114_vgpr115
.LBB119_390:
	ds_read_b64 v[114:115], v116
.LBB119_391:
	s_and_saveexec_b64 s[12:13], s[4:5]
	s_cbranch_execz .LBB119_395
; %bb.392:
	v_add_u32_e32 v134, -16, v0
	s_movk_i32 s14, 0x240
	s_mov_b64 s[4:5], 0
.LBB119_393:                            ; =>This Inner Loop Header: Depth=1
	buffer_load_dword v136, v133, s[0:3], 0 offen
	buffer_load_dword v137, v133, s[0:3], 0 offen offset:4
	v_mov_b32_e32 v135, s14
	ds_read_b64 v[138:139], v135
	v_add_u32_e32 v134, -1, v134
	s_add_i32 s14, s14, 8
	v_cmp_eq_u32_e32 vcc, 0, v134
	v_add_u32_e32 v133, 8, v133
	s_or_b64 s[4:5], vcc, s[4:5]
	s_waitcnt vmcnt(0) lgkmcnt(0)
	v_fmac_f64_e32 v[114:115], v[136:137], v[138:139]
	s_andn2_b64 exec, exec, s[4:5]
	s_cbranch_execnz .LBB119_393
; %bb.394:
	s_or_b64 exec, exec, s[4:5]
.LBB119_395:
	s_or_b64 exec, exec, s[12:13]
	v_mov_b32_e32 v133, 0
	ds_read_b64 v[134:135], v133 offset:120
	s_waitcnt lgkmcnt(0)
	v_mul_f64 v[114:115], v[114:115], v[134:135]
	buffer_store_dword v115, off, s[0:3], 0 offset:124
	buffer_store_dword v114, off, s[0:3], 0 offset:120
.LBB119_396:
	s_or_b64 exec, exec, s[10:11]
	buffer_load_dword v114, off, s[0:3], 0 offset:112
	buffer_load_dword v115, off, s[0:3], 0 offset:116
	v_cmp_lt_u32_e64 s[4:5], 14, v0
	s_waitcnt vmcnt(0)
	ds_write_b64 v116, v[114:115]
	s_waitcnt lgkmcnt(0)
	; wave barrier
	s_waitcnt lgkmcnt(0)
	s_and_saveexec_b64 s[10:11], s[4:5]
	s_cbranch_execz .LBB119_406
; %bb.397:
	s_andn2_b64 vcc, exec, s[8:9]
	s_cbranch_vccnz .LBB119_399
; %bb.398:
	buffer_load_dword v114, v117, s[0:3], 0 offen
	buffer_load_dword v115, v117, s[0:3], 0 offen offset:4
	ds_read_b64 v[134:135], v116
	s_waitcnt vmcnt(0) lgkmcnt(0)
	v_mul_f64 v[114:115], v[114:115], v[134:135]
	s_cbranch_execz .LBB119_400
	s_branch .LBB119_401
.LBB119_399:
                                        ; implicit-def: $vgpr114_vgpr115
.LBB119_400:
	ds_read_b64 v[114:115], v116
.LBB119_401:
	s_and_saveexec_b64 s[12:13], s[6:7]
	s_cbranch_execz .LBB119_405
; %bb.402:
	v_add_u32_e32 v133, -15, v0
	s_movk_i32 s14, 0x238
	s_mov_b64 s[6:7], 0
.LBB119_403:                            ; =>This Inner Loop Header: Depth=1
	buffer_load_dword v134, v132, s[0:3], 0 offen
	buffer_load_dword v135, v132, s[0:3], 0 offen offset:4
	v_mov_b32_e32 v136, s14
	ds_read_b64 v[136:137], v136
	v_add_u32_e32 v133, -1, v133
	s_add_i32 s14, s14, 8
	v_cmp_eq_u32_e32 vcc, 0, v133
	v_add_u32_e32 v132, 8, v132
	s_or_b64 s[6:7], vcc, s[6:7]
	s_waitcnt vmcnt(0) lgkmcnt(0)
	v_fmac_f64_e32 v[114:115], v[134:135], v[136:137]
	s_andn2_b64 exec, exec, s[6:7]
	s_cbranch_execnz .LBB119_403
; %bb.404:
	s_or_b64 exec, exec, s[6:7]
.LBB119_405:
	s_or_b64 exec, exec, s[12:13]
	v_mov_b32_e32 v132, 0
	ds_read_b64 v[132:133], v132 offset:112
	s_waitcnt lgkmcnt(0)
	v_mul_f64 v[114:115], v[114:115], v[132:133]
	buffer_store_dword v115, off, s[0:3], 0 offset:116
	buffer_store_dword v114, off, s[0:3], 0 offset:112
.LBB119_406:
	;; [unrolled: 58-line block ×15, first 2 shown]
	s_or_b64 exec, exec, s[10:11]
	buffer_load_dword v114, off, s[0:3], 0
	buffer_load_dword v115, off, s[0:3], 0 offset:4
	v_cmp_ne_u32_e32 vcc, 0, v0
	s_waitcnt vmcnt(0)
	ds_write_b64 v116, v[114:115]
	s_waitcnt lgkmcnt(0)
	; wave barrier
	s_waitcnt lgkmcnt(0)
	s_and_saveexec_b64 s[4:5], vcc
	s_cbranch_execz .LBB119_546
; %bb.537:
	s_andn2_b64 vcc, exec, s[8:9]
	s_cbranch_vccnz .LBB119_539
; %bb.538:
	buffer_load_dword v114, v117, s[0:3], 0 offen
	buffer_load_dword v115, v117, s[0:3], 0 offen offset:4
	ds_read_b64 v[120:121], v116
	s_waitcnt vmcnt(0) lgkmcnt(0)
	v_mul_f64 v[114:115], v[114:115], v[120:121]
	s_cbranch_execz .LBB119_540
	s_branch .LBB119_541
.LBB119_539:
                                        ; implicit-def: $vgpr114_vgpr115
.LBB119_540:
	ds_read_b64 v[114:115], v116
.LBB119_541:
	s_and_saveexec_b64 s[10:11], s[6:7]
	s_cbranch_execz .LBB119_545
; %bb.542:
	v_add_u32_e32 v119, -1, v0
	s_movk_i32 s12, 0x1c8
	s_mov_b64 s[6:7], 0
.LBB119_543:                            ; =>This Inner Loop Header: Depth=1
	buffer_load_dword v120, v118, s[0:3], 0 offen
	buffer_load_dword v121, v118, s[0:3], 0 offen offset:4
	v_mov_b32_e32 v122, s12
	ds_read_b64 v[122:123], v122
	v_add_u32_e32 v119, -1, v119
	s_add_i32 s12, s12, 8
	v_cmp_eq_u32_e32 vcc, 0, v119
	v_add_u32_e32 v118, 8, v118
	s_or_b64 s[6:7], vcc, s[6:7]
	s_waitcnt vmcnt(0) lgkmcnt(0)
	v_fmac_f64_e32 v[114:115], v[120:121], v[122:123]
	s_andn2_b64 exec, exec, s[6:7]
	s_cbranch_execnz .LBB119_543
; %bb.544:
	s_or_b64 exec, exec, s[6:7]
.LBB119_545:
	s_or_b64 exec, exec, s[10:11]
	v_mov_b32_e32 v118, 0
	ds_read_b64 v[118:119], v118
	s_waitcnt lgkmcnt(0)
	v_mul_f64 v[114:115], v[114:115], v[118:119]
	buffer_store_dword v115, off, s[0:3], 0 offset:4
	buffer_store_dword v114, off, s[0:3], 0
.LBB119_546:
	s_or_b64 exec, exec, s[4:5]
	s_mov_b64 s[4:5], 0
.LBB119_547:
	s_and_b64 vcc, exec, s[4:5]
	s_cbranch_vccz .LBB119_1091
; %bb.548:
	buffer_load_dword v114, off, s[0:3], 0 offset:8
	buffer_load_dword v115, off, s[0:3], 0 offset:12
	v_cmp_eq_u32_e64 s[6:7], 0, v0
	s_waitcnt vmcnt(0)
	ds_write_b64 v116, v[114:115]
	s_waitcnt lgkmcnt(0)
	; wave barrier
	s_waitcnt lgkmcnt(0)
	s_and_saveexec_b64 s[4:5], s[6:7]
	s_cbranch_execz .LBB119_554
; %bb.549:
	s_and_b64 vcc, exec, s[8:9]
	s_cbranch_vccz .LBB119_551
; %bb.550:
	buffer_load_dword v114, v117, s[0:3], 0 offen
	buffer_load_dword v115, v117, s[0:3], 0 offen offset:4
	ds_read_b64 v[118:119], v116
	s_waitcnt vmcnt(0) lgkmcnt(0)
	v_mul_f64 v[114:115], v[114:115], v[118:119]
	s_cbranch_execz .LBB119_552
	s_branch .LBB119_553
.LBB119_551:
                                        ; implicit-def: $vgpr114_vgpr115
.LBB119_552:
	ds_read_b64 v[114:115], v116
.LBB119_553:
	v_mov_b32_e32 v118, 0
	ds_read_b64 v[118:119], v118 offset:8
	s_waitcnt lgkmcnt(0)
	v_mul_f64 v[114:115], v[114:115], v[118:119]
	buffer_store_dword v115, off, s[0:3], 0 offset:12
	buffer_store_dword v114, off, s[0:3], 0 offset:8
.LBB119_554:
	s_or_b64 exec, exec, s[4:5]
	buffer_load_dword v114, off, s[0:3], 0 offset:16
	buffer_load_dword v115, off, s[0:3], 0 offset:20
	v_cndmask_b32_e64 v118, 0, 1, s[8:9]
	v_cmp_gt_u32_e32 vcc, 2, v0
	v_cmp_ne_u32_e64 s[4:5], 1, v118
	s_waitcnt vmcnt(0)
	ds_write_b64 v116, v[114:115]
	s_waitcnt lgkmcnt(0)
	; wave barrier
	s_waitcnt lgkmcnt(0)
	s_and_saveexec_b64 s[8:9], vcc
	s_cbranch_execz .LBB119_562
; %bb.555:
	s_and_b64 vcc, exec, s[4:5]
	s_cbranch_vccnz .LBB119_557
; %bb.556:
	buffer_load_dword v114, v117, s[0:3], 0 offen
	buffer_load_dword v115, v117, s[0:3], 0 offen offset:4
	ds_read_b64 v[118:119], v116
	s_waitcnt vmcnt(0) lgkmcnt(0)
	v_mul_f64 v[114:115], v[114:115], v[118:119]
	s_cbranch_execz .LBB119_558
	s_branch .LBB119_559
.LBB119_557:
                                        ; implicit-def: $vgpr114_vgpr115
.LBB119_558:
	ds_read_b64 v[114:115], v116
.LBB119_559:
	s_and_saveexec_b64 s[10:11], s[6:7]
	s_cbranch_execz .LBB119_561
; %bb.560:
	buffer_load_dword v118, v117, s[0:3], 0 offen offset:8
	buffer_load_dword v119, v117, s[0:3], 0 offen offset:12
	ds_read_b64 v[120:121], v116 offset:8
	s_waitcnt vmcnt(0) lgkmcnt(0)
	v_fmac_f64_e32 v[114:115], v[118:119], v[120:121]
.LBB119_561:
	s_or_b64 exec, exec, s[10:11]
	v_mov_b32_e32 v118, 0
	ds_read_b64 v[118:119], v118 offset:16
	s_waitcnt lgkmcnt(0)
	v_mul_f64 v[114:115], v[114:115], v[118:119]
	buffer_store_dword v115, off, s[0:3], 0 offset:20
	buffer_store_dword v114, off, s[0:3], 0 offset:16
.LBB119_562:
	s_or_b64 exec, exec, s[8:9]
	buffer_load_dword v114, off, s[0:3], 0 offset:24
	buffer_load_dword v115, off, s[0:3], 0 offset:28
	v_cmp_gt_u32_e32 vcc, 3, v0
	s_waitcnt vmcnt(0)
	ds_write_b64 v116, v[114:115]
	s_waitcnt lgkmcnt(0)
	; wave barrier
	s_waitcnt lgkmcnt(0)
	s_and_saveexec_b64 s[8:9], vcc
	s_cbranch_execz .LBB119_570
; %bb.563:
	s_and_b64 vcc, exec, s[4:5]
	s_cbranch_vccnz .LBB119_565
; %bb.564:
	buffer_load_dword v114, v117, s[0:3], 0 offen
	buffer_load_dword v115, v117, s[0:3], 0 offen offset:4
	ds_read_b64 v[118:119], v116
	s_waitcnt vmcnt(0) lgkmcnt(0)
	v_mul_f64 v[114:115], v[114:115], v[118:119]
	s_cbranch_execz .LBB119_566
	s_branch .LBB119_567
.LBB119_565:
                                        ; implicit-def: $vgpr114_vgpr115
.LBB119_566:
	ds_read_b64 v[114:115], v116
.LBB119_567:
	v_cmp_ne_u32_e32 vcc, 2, v0
	s_and_saveexec_b64 s[10:11], vcc
	s_cbranch_execz .LBB119_569
; %bb.568:
	buffer_load_dword v119, v117, s[0:3], 0 offen offset:12
	buffer_load_dword v120, off, s[0:3], 0 offset:16
	buffer_load_dword v118, v117, s[0:3], 0 offen offset:8
	buffer_load_dword v121, off, s[0:3], 0 offset:20
	v_mov_b32_e32 v124, 0
	ds_read_b64 v[122:123], v116 offset:8
	ds_read_b64 v[124:125], v124 offset:464
	s_waitcnt vmcnt(1) lgkmcnt(1)
	v_fmac_f64_e32 v[114:115], v[118:119], v[122:123]
	s_waitcnt vmcnt(0) lgkmcnt(0)
	v_fma_f64 v[118:119], v[120:121], v[124:125], v[114:115]
	v_cndmask_b32_e64 v115, v115, v119, s[6:7]
	v_cndmask_b32_e64 v114, v114, v118, s[6:7]
.LBB119_569:
	s_or_b64 exec, exec, s[10:11]
	v_mov_b32_e32 v118, 0
	ds_read_b64 v[118:119], v118 offset:24
	s_waitcnt lgkmcnt(0)
	v_mul_f64 v[114:115], v[114:115], v[118:119]
	buffer_store_dword v115, off, s[0:3], 0 offset:28
	buffer_store_dword v114, off, s[0:3], 0 offset:24
.LBB119_570:
	s_or_b64 exec, exec, s[8:9]
	buffer_load_dword v114, off, s[0:3], 0 offset:32
	buffer_load_dword v115, off, s[0:3], 0 offset:36
	v_cmp_gt_u32_e32 vcc, 4, v0
	s_waitcnt vmcnt(0)
	ds_write_b64 v116, v[114:115]
	s_waitcnt lgkmcnt(0)
	; wave barrier
	s_waitcnt lgkmcnt(0)
	s_and_saveexec_b64 s[6:7], vcc
	s_cbranch_execz .LBB119_580
; %bb.571:
	s_and_b64 vcc, exec, s[4:5]
	s_cbranch_vccnz .LBB119_573
; %bb.572:
	buffer_load_dword v114, v117, s[0:3], 0 offen
	buffer_load_dword v115, v117, s[0:3], 0 offen offset:4
	ds_read_b64 v[118:119], v116
	s_waitcnt vmcnt(0) lgkmcnt(0)
	v_mul_f64 v[114:115], v[114:115], v[118:119]
	s_cbranch_execz .LBB119_574
	s_branch .LBB119_575
.LBB119_573:
                                        ; implicit-def: $vgpr114_vgpr115
.LBB119_574:
	ds_read_b64 v[114:115], v116
.LBB119_575:
	v_cmp_ne_u32_e32 vcc, 3, v0
	s_and_saveexec_b64 s[8:9], vcc
	s_cbranch_execz .LBB119_579
; %bb.576:
	v_mov_b32_e32 v119, 0
	v_add_u32_e32 v118, 0x1c8, v1
	v_add3_u32 v119, v1, v119, 8
	s_mov_b64 s[10:11], 0
	v_mov_b32_e32 v120, v0
.LBB119_577:                            ; =>This Inner Loop Header: Depth=1
	buffer_load_dword v122, v119, s[0:3], 0 offen
	buffer_load_dword v123, v119, s[0:3], 0 offen offset:4
	ds_read_b64 v[124:125], v118
	v_add_u32_e32 v120, 1, v120
	v_cmp_lt_u32_e32 vcc, 2, v120
	v_add_u32_e32 v118, 8, v118
	v_add_u32_e32 v119, 8, v119
	s_or_b64 s[10:11], vcc, s[10:11]
	s_waitcnt vmcnt(0) lgkmcnt(0)
	v_fmac_f64_e32 v[114:115], v[122:123], v[124:125]
	s_andn2_b64 exec, exec, s[10:11]
	s_cbranch_execnz .LBB119_577
; %bb.578:
	s_or_b64 exec, exec, s[10:11]
.LBB119_579:
	s_or_b64 exec, exec, s[8:9]
	v_mov_b32_e32 v118, 0
	ds_read_b64 v[118:119], v118 offset:32
	s_waitcnt lgkmcnt(0)
	v_mul_f64 v[114:115], v[114:115], v[118:119]
	buffer_store_dword v115, off, s[0:3], 0 offset:36
	buffer_store_dword v114, off, s[0:3], 0 offset:32
.LBB119_580:
	s_or_b64 exec, exec, s[6:7]
	buffer_load_dword v114, off, s[0:3], 0 offset:40
	buffer_load_dword v115, off, s[0:3], 0 offset:44
	v_cmp_gt_u32_e32 vcc, 5, v0
	s_waitcnt vmcnt(0)
	ds_write_b64 v116, v[114:115]
	s_waitcnt lgkmcnt(0)
	; wave barrier
	s_waitcnt lgkmcnt(0)
	s_and_saveexec_b64 s[6:7], vcc
	s_cbranch_execz .LBB119_590
; %bb.581:
	s_and_b64 vcc, exec, s[4:5]
	s_cbranch_vccnz .LBB119_583
; %bb.582:
	buffer_load_dword v114, v117, s[0:3], 0 offen
	buffer_load_dword v115, v117, s[0:3], 0 offen offset:4
	ds_read_b64 v[118:119], v116
	s_waitcnt vmcnt(0) lgkmcnt(0)
	v_mul_f64 v[114:115], v[114:115], v[118:119]
	s_cbranch_execz .LBB119_584
	s_branch .LBB119_585
.LBB119_583:
                                        ; implicit-def: $vgpr114_vgpr115
.LBB119_584:
	ds_read_b64 v[114:115], v116
.LBB119_585:
	v_cmp_ne_u32_e32 vcc, 4, v0
	s_and_saveexec_b64 s[8:9], vcc
	s_cbranch_execz .LBB119_589
; %bb.586:
	v_mov_b32_e32 v119, 0
	v_add_u32_e32 v118, 0x1c8, v1
	v_add3_u32 v119, v1, v119, 8
	s_mov_b64 s[10:11], 0
	v_mov_b32_e32 v120, v0
.LBB119_587:                            ; =>This Inner Loop Header: Depth=1
	buffer_load_dword v122, v119, s[0:3], 0 offen
	buffer_load_dword v123, v119, s[0:3], 0 offen offset:4
	ds_read_b64 v[124:125], v118
	v_add_u32_e32 v120, 1, v120
	v_cmp_lt_u32_e32 vcc, 3, v120
	v_add_u32_e32 v118, 8, v118
	v_add_u32_e32 v119, 8, v119
	s_or_b64 s[10:11], vcc, s[10:11]
	s_waitcnt vmcnt(0) lgkmcnt(0)
	v_fmac_f64_e32 v[114:115], v[122:123], v[124:125]
	s_andn2_b64 exec, exec, s[10:11]
	s_cbranch_execnz .LBB119_587
; %bb.588:
	s_or_b64 exec, exec, s[10:11]
.LBB119_589:
	s_or_b64 exec, exec, s[8:9]
	v_mov_b32_e32 v118, 0
	ds_read_b64 v[118:119], v118 offset:40
	s_waitcnt lgkmcnt(0)
	v_mul_f64 v[114:115], v[114:115], v[118:119]
	buffer_store_dword v115, off, s[0:3], 0 offset:44
	buffer_store_dword v114, off, s[0:3], 0 offset:40
.LBB119_590:
	;; [unrolled: 60-line block ×43, first 2 shown]
	s_or_b64 exec, exec, s[6:7]
	buffer_load_dword v114, off, s[0:3], 0 offset:376
	buffer_load_dword v115, off, s[0:3], 0 offset:380
	v_cmp_gt_u32_e32 vcc, 47, v0
	s_waitcnt vmcnt(0)
	ds_write_b64 v116, v[114:115]
	s_waitcnt lgkmcnt(0)
	; wave barrier
	s_waitcnt lgkmcnt(0)
	s_and_saveexec_b64 s[6:7], vcc
	s_cbranch_execz .LBB119_1010
; %bb.1001:
	s_and_b64 vcc, exec, s[4:5]
	s_cbranch_vccnz .LBB119_1003
; %bb.1002:
	buffer_load_dword v114, v117, s[0:3], 0 offen
	buffer_load_dword v115, v117, s[0:3], 0 offen offset:4
	ds_read_b64 v[118:119], v116
	s_waitcnt vmcnt(0) lgkmcnt(0)
	v_mul_f64 v[114:115], v[114:115], v[118:119]
	s_cbranch_execz .LBB119_1004
	s_branch .LBB119_1005
.LBB119_1003:
                                        ; implicit-def: $vgpr114_vgpr115
.LBB119_1004:
	ds_read_b64 v[114:115], v116
.LBB119_1005:
	v_cmp_ne_u32_e32 vcc, 46, v0
	s_and_saveexec_b64 s[8:9], vcc
	s_cbranch_execz .LBB119_1009
; %bb.1006:
	v_mov_b32_e32 v119, 0
	v_add_u32_e32 v118, 0x1c8, v1
	v_add3_u32 v119, v1, v119, 8
	s_mov_b64 s[10:11], 0
	v_mov_b32_e32 v120, v0
.LBB119_1007:                           ; =>This Inner Loop Header: Depth=1
	buffer_load_dword v122, v119, s[0:3], 0 offen
	buffer_load_dword v123, v119, s[0:3], 0 offen offset:4
	ds_read_b64 v[124:125], v118
	v_add_u32_e32 v120, 1, v120
	v_cmp_lt_u32_e32 vcc, 45, v120
	v_add_u32_e32 v118, 8, v118
	v_add_u32_e32 v119, 8, v119
	s_or_b64 s[10:11], vcc, s[10:11]
	s_waitcnt vmcnt(0) lgkmcnt(0)
	v_fmac_f64_e32 v[114:115], v[122:123], v[124:125]
	s_andn2_b64 exec, exec, s[10:11]
	s_cbranch_execnz .LBB119_1007
; %bb.1008:
	s_or_b64 exec, exec, s[10:11]
.LBB119_1009:
	s_or_b64 exec, exec, s[8:9]
	v_mov_b32_e32 v118, 0
	ds_read_b64 v[118:119], v118 offset:376
	s_waitcnt lgkmcnt(0)
	v_mul_f64 v[114:115], v[114:115], v[118:119]
	buffer_store_dword v115, off, s[0:3], 0 offset:380
	buffer_store_dword v114, off, s[0:3], 0 offset:376
.LBB119_1010:
	s_or_b64 exec, exec, s[6:7]
	buffer_load_dword v114, off, s[0:3], 0 offset:384
	buffer_load_dword v115, off, s[0:3], 0 offset:388
	v_cmp_gt_u32_e32 vcc, 48, v0
	s_waitcnt vmcnt(0)
	ds_write_b64 v116, v[114:115]
	s_waitcnt lgkmcnt(0)
	; wave barrier
	s_waitcnt lgkmcnt(0)
	s_and_saveexec_b64 s[6:7], vcc
	s_cbranch_execz .LBB119_1020
; %bb.1011:
	s_and_b64 vcc, exec, s[4:5]
	s_cbranch_vccnz .LBB119_1013
; %bb.1012:
	buffer_load_dword v114, v117, s[0:3], 0 offen
	buffer_load_dword v115, v117, s[0:3], 0 offen offset:4
	ds_read_b64 v[118:119], v116
	s_waitcnt vmcnt(0) lgkmcnt(0)
	v_mul_f64 v[114:115], v[114:115], v[118:119]
	s_cbranch_execz .LBB119_1014
	s_branch .LBB119_1015
.LBB119_1013:
                                        ; implicit-def: $vgpr114_vgpr115
.LBB119_1014:
	ds_read_b64 v[114:115], v116
.LBB119_1015:
	v_cmp_ne_u32_e32 vcc, 47, v0
	s_and_saveexec_b64 s[8:9], vcc
	s_cbranch_execz .LBB119_1019
; %bb.1016:
	v_mov_b32_e32 v119, 0
	v_add_u32_e32 v118, 0x1c8, v1
	v_add3_u32 v119, v1, v119, 8
	s_mov_b64 s[10:11], 0
	v_mov_b32_e32 v120, v0
.LBB119_1017:                           ; =>This Inner Loop Header: Depth=1
	buffer_load_dword v122, v119, s[0:3], 0 offen
	buffer_load_dword v123, v119, s[0:3], 0 offen offset:4
	ds_read_b64 v[124:125], v118
	v_add_u32_e32 v120, 1, v120
	v_cmp_lt_u32_e32 vcc, 46, v120
	v_add_u32_e32 v118, 8, v118
	v_add_u32_e32 v119, 8, v119
	s_or_b64 s[10:11], vcc, s[10:11]
	s_waitcnt vmcnt(0) lgkmcnt(0)
	v_fmac_f64_e32 v[114:115], v[122:123], v[124:125]
	s_andn2_b64 exec, exec, s[10:11]
	s_cbranch_execnz .LBB119_1017
; %bb.1018:
	s_or_b64 exec, exec, s[10:11]
.LBB119_1019:
	s_or_b64 exec, exec, s[8:9]
	v_mov_b32_e32 v118, 0
	ds_read_b64 v[118:119], v118 offset:384
	s_waitcnt lgkmcnt(0)
	v_mul_f64 v[114:115], v[114:115], v[118:119]
	buffer_store_dword v115, off, s[0:3], 0 offset:388
	buffer_store_dword v114, off, s[0:3], 0 offset:384
.LBB119_1020:
	;; [unrolled: 60-line block ×7, first 2 shown]
	s_or_b64 exec, exec, s[6:7]
	buffer_load_dword v114, off, s[0:3], 0 offset:432
	buffer_load_dword v115, off, s[0:3], 0 offset:436
	v_cmp_gt_u32_e64 s[6:7], 54, v0
	s_waitcnt vmcnt(0)
	ds_write_b64 v116, v[114:115]
	s_waitcnt lgkmcnt(0)
	; wave barrier
	s_waitcnt lgkmcnt(0)
	s_and_saveexec_b64 s[8:9], s[6:7]
	s_cbranch_execz .LBB119_1080
; %bb.1071:
	s_and_b64 vcc, exec, s[4:5]
	s_cbranch_vccnz .LBB119_1073
; %bb.1072:
	buffer_load_dword v114, v117, s[0:3], 0 offen
	buffer_load_dword v115, v117, s[0:3], 0 offen offset:4
	ds_read_b64 v[118:119], v116
	s_waitcnt vmcnt(0) lgkmcnt(0)
	v_mul_f64 v[114:115], v[114:115], v[118:119]
	s_cbranch_execz .LBB119_1074
	s_branch .LBB119_1075
.LBB119_1073:
                                        ; implicit-def: $vgpr114_vgpr115
.LBB119_1074:
	ds_read_b64 v[114:115], v116
.LBB119_1075:
	v_cmp_ne_u32_e32 vcc, 53, v0
	s_and_saveexec_b64 s[10:11], vcc
	s_cbranch_execz .LBB119_1079
; %bb.1076:
	v_mov_b32_e32 v119, 0
	v_add_u32_e32 v118, 0x1c8, v1
	v_add3_u32 v119, v1, v119, 8
	s_mov_b64 s[12:13], 0
	v_mov_b32_e32 v120, v0
.LBB119_1077:                           ; =>This Inner Loop Header: Depth=1
	buffer_load_dword v122, v119, s[0:3], 0 offen
	buffer_load_dword v123, v119, s[0:3], 0 offen offset:4
	ds_read_b64 v[124:125], v118
	v_add_u32_e32 v120, 1, v120
	v_cmp_lt_u32_e32 vcc, 52, v120
	v_add_u32_e32 v118, 8, v118
	v_add_u32_e32 v119, 8, v119
	s_or_b64 s[12:13], vcc, s[12:13]
	s_waitcnt vmcnt(0) lgkmcnt(0)
	v_fmac_f64_e32 v[114:115], v[122:123], v[124:125]
	s_andn2_b64 exec, exec, s[12:13]
	s_cbranch_execnz .LBB119_1077
; %bb.1078:
	s_or_b64 exec, exec, s[12:13]
.LBB119_1079:
	s_or_b64 exec, exec, s[10:11]
	v_mov_b32_e32 v118, 0
	ds_read_b64 v[118:119], v118 offset:432
	s_waitcnt lgkmcnt(0)
	v_mul_f64 v[114:115], v[114:115], v[118:119]
	buffer_store_dword v115, off, s[0:3], 0 offset:436
	buffer_store_dword v114, off, s[0:3], 0 offset:432
.LBB119_1080:
	s_or_b64 exec, exec, s[8:9]
	buffer_load_dword v114, off, s[0:3], 0 offset:440
	buffer_load_dword v115, off, s[0:3], 0 offset:444
	v_cmp_ne_u32_e32 vcc, 55, v0
	s_waitcnt vmcnt(0)
	ds_write_b64 v116, v[114:115]
	s_waitcnt lgkmcnt(0)
	; wave barrier
	s_waitcnt lgkmcnt(0)
	s_and_saveexec_b64 s[8:9], vcc
	s_cbranch_execz .LBB119_1090
; %bb.1081:
	s_and_b64 vcc, exec, s[4:5]
	s_cbranch_vccnz .LBB119_1083
; %bb.1082:
	buffer_load_dword v114, v117, s[0:3], 0 offen
	buffer_load_dword v115, v117, s[0:3], 0 offen offset:4
	ds_read_b64 v[118:119], v116
	s_waitcnt vmcnt(0) lgkmcnt(0)
	v_mul_f64 v[114:115], v[114:115], v[118:119]
	s_cbranch_execz .LBB119_1084
	s_branch .LBB119_1085
.LBB119_1083:
                                        ; implicit-def: $vgpr114_vgpr115
.LBB119_1084:
	ds_read_b64 v[114:115], v116
.LBB119_1085:
	s_and_saveexec_b64 s[4:5], s[6:7]
	s_cbranch_execz .LBB119_1089
; %bb.1086:
	v_mov_b32_e32 v117, 0
	v_add_u32_e32 v116, 0x1c8, v1
	v_add3_u32 v1, v1, v117, 8
	s_mov_b64 s[6:7], 0
.LBB119_1087:                           ; =>This Inner Loop Header: Depth=1
	buffer_load_dword v118, v1, s[0:3], 0 offen
	buffer_load_dword v119, v1, s[0:3], 0 offen offset:4
	ds_read_b64 v[120:121], v116
	v_add_u32_e32 v0, 1, v0
	v_cmp_lt_u32_e32 vcc, 53, v0
	v_add_u32_e32 v116, 8, v116
	v_add_u32_e32 v1, 8, v1
	s_or_b64 s[6:7], vcc, s[6:7]
	s_waitcnt vmcnt(0) lgkmcnt(0)
	v_fmac_f64_e32 v[114:115], v[118:119], v[120:121]
	s_andn2_b64 exec, exec, s[6:7]
	s_cbranch_execnz .LBB119_1087
; %bb.1088:
	s_or_b64 exec, exec, s[6:7]
.LBB119_1089:
	s_or_b64 exec, exec, s[4:5]
	v_mov_b32_e32 v0, 0
	ds_read_b64 v[0:1], v0 offset:440
	s_waitcnt lgkmcnt(0)
	v_mul_f64 v[0:1], v[114:115], v[0:1]
	buffer_store_dword v1, off, s[0:3], 0 offset:444
	buffer_store_dword v0, off, s[0:3], 0 offset:440
.LBB119_1090:
	s_or_b64 exec, exec, s[8:9]
.LBB119_1091:
	buffer_load_dword v0, off, s[0:3], 0
	buffer_load_dword v1, off, s[0:3], 0 offset:4
	buffer_load_dword v114, off, s[0:3], 0 offset:8
	;; [unrolled: 1-line block ×111, first 2 shown]
	s_waitcnt vmcnt(62)
	global_store_dwordx2 v[104:105], v[0:1], off
	global_store_dwordx2 v[106:107], v[114:115], off
	;; [unrolled: 1-line block ×25, first 2 shown]
	s_waitcnt vmcnt(62)
	global_store_dwordx2 v[48:49], v[162:163], off
	global_store_dwordx2 v[50:51], v[164:165], off
	;; [unrolled: 1-line block ×12, first 2 shown]
	s_waitcnt vmcnt(62)
	global_store_dwordx2 v[72:73], v[186:187], off
	global_store_dwordx2 v[74:75], v[188:189], off
	;; [unrolled: 1-line block ×6, first 2 shown]
	s_waitcnt vmcnt(62)
	global_store_dwordx2 v[84:85], v[198:199], off
	global_store_dwordx2 v[86:87], v[200:201], off
	global_store_dwordx2 v[88:89], v[202:203], off
	s_waitcnt vmcnt(62)
	global_store_dwordx2 v[90:91], v[204:205], off
	global_store_dwordx2 v[92:93], v[206:207], off
	s_waitcnt vmcnt(62)
	global_store_dwordx2 v[94:95], v[208:209], off
	s_waitcnt vmcnt(61)
	;; [unrolled: 2-line block ×8, first 2 shown]
	global_store_dwordx2 v[112:113], v[222:223], off
.LBB119_1092:
	s_endpgm
	.section	.rodata,"a",@progbits
	.p2align	6, 0x0
	.amdhsa_kernel _ZN9rocsolver6v33100L18trti2_kernel_smallILi56EdPKPdEEv13rocblas_fill_17rocblas_diagonal_T1_iil
		.amdhsa_group_segment_fixed_size 896
		.amdhsa_private_segment_fixed_size 464
		.amdhsa_kernarg_size 32
		.amdhsa_user_sgpr_count 8
		.amdhsa_user_sgpr_private_segment_buffer 1
		.amdhsa_user_sgpr_dispatch_ptr 0
		.amdhsa_user_sgpr_queue_ptr 0
		.amdhsa_user_sgpr_kernarg_segment_ptr 1
		.amdhsa_user_sgpr_dispatch_id 0
		.amdhsa_user_sgpr_flat_scratch_init 1
		.amdhsa_user_sgpr_kernarg_preload_length 0
		.amdhsa_user_sgpr_kernarg_preload_offset 0
		.amdhsa_user_sgpr_private_segment_size 0
		.amdhsa_uses_dynamic_stack 0
		.amdhsa_system_sgpr_private_segment_wavefront_offset 1
		.amdhsa_system_sgpr_workgroup_id_x 1
		.amdhsa_system_sgpr_workgroup_id_y 0
		.amdhsa_system_sgpr_workgroup_id_z 0
		.amdhsa_system_sgpr_workgroup_info 0
		.amdhsa_system_vgpr_workitem_id 0
		.amdhsa_next_free_vgpr 224
		.amdhsa_next_free_sgpr 16
		.amdhsa_accum_offset 224
		.amdhsa_reserve_vcc 1
		.amdhsa_reserve_flat_scratch 0
		.amdhsa_float_round_mode_32 0
		.amdhsa_float_round_mode_16_64 0
		.amdhsa_float_denorm_mode_32 3
		.amdhsa_float_denorm_mode_16_64 3
		.amdhsa_dx10_clamp 1
		.amdhsa_ieee_mode 1
		.amdhsa_fp16_overflow 0
		.amdhsa_tg_split 0
		.amdhsa_exception_fp_ieee_invalid_op 0
		.amdhsa_exception_fp_denorm_src 0
		.amdhsa_exception_fp_ieee_div_zero 0
		.amdhsa_exception_fp_ieee_overflow 0
		.amdhsa_exception_fp_ieee_underflow 0
		.amdhsa_exception_fp_ieee_inexact 0
		.amdhsa_exception_int_div_zero 0
	.end_amdhsa_kernel
	.section	.text._ZN9rocsolver6v33100L18trti2_kernel_smallILi56EdPKPdEEv13rocblas_fill_17rocblas_diagonal_T1_iil,"axG",@progbits,_ZN9rocsolver6v33100L18trti2_kernel_smallILi56EdPKPdEEv13rocblas_fill_17rocblas_diagonal_T1_iil,comdat
.Lfunc_end119:
	.size	_ZN9rocsolver6v33100L18trti2_kernel_smallILi56EdPKPdEEv13rocblas_fill_17rocblas_diagonal_T1_iil, .Lfunc_end119-_ZN9rocsolver6v33100L18trti2_kernel_smallILi56EdPKPdEEv13rocblas_fill_17rocblas_diagonal_T1_iil
                                        ; -- End function
	.section	.AMDGPU.csdata,"",@progbits
; Kernel info:
; codeLenInByte = 32512
; NumSgprs: 20
; NumVgprs: 224
; NumAgprs: 0
; TotalNumVgprs: 224
; ScratchSize: 464
; MemoryBound: 0
; FloatMode: 240
; IeeeMode: 1
; LDSByteSize: 896 bytes/workgroup (compile time only)
; SGPRBlocks: 2
; VGPRBlocks: 27
; NumSGPRsForWavesPerEU: 20
; NumVGPRsForWavesPerEU: 224
; AccumOffset: 224
; Occupancy: 2
; WaveLimiterHint : 1
; COMPUTE_PGM_RSRC2:SCRATCH_EN: 1
; COMPUTE_PGM_RSRC2:USER_SGPR: 8
; COMPUTE_PGM_RSRC2:TRAP_HANDLER: 0
; COMPUTE_PGM_RSRC2:TGID_X_EN: 1
; COMPUTE_PGM_RSRC2:TGID_Y_EN: 0
; COMPUTE_PGM_RSRC2:TGID_Z_EN: 0
; COMPUTE_PGM_RSRC2:TIDIG_COMP_CNT: 0
; COMPUTE_PGM_RSRC3_GFX90A:ACCUM_OFFSET: 55
; COMPUTE_PGM_RSRC3_GFX90A:TG_SPLIT: 0
	.section	.text._ZN9rocsolver6v33100L18trti2_kernel_smallILi57EdPKPdEEv13rocblas_fill_17rocblas_diagonal_T1_iil,"axG",@progbits,_ZN9rocsolver6v33100L18trti2_kernel_smallILi57EdPKPdEEv13rocblas_fill_17rocblas_diagonal_T1_iil,comdat
	.globl	_ZN9rocsolver6v33100L18trti2_kernel_smallILi57EdPKPdEEv13rocblas_fill_17rocblas_diagonal_T1_iil ; -- Begin function _ZN9rocsolver6v33100L18trti2_kernel_smallILi57EdPKPdEEv13rocblas_fill_17rocblas_diagonal_T1_iil
	.p2align	8
	.type	_ZN9rocsolver6v33100L18trti2_kernel_smallILi57EdPKPdEEv13rocblas_fill_17rocblas_diagonal_T1_iil,@function
_ZN9rocsolver6v33100L18trti2_kernel_smallILi57EdPKPdEEv13rocblas_fill_17rocblas_diagonal_T1_iil: ; @_ZN9rocsolver6v33100L18trti2_kernel_smallILi57EdPKPdEEv13rocblas_fill_17rocblas_diagonal_T1_iil
; %bb.0:
	s_add_u32 s0, s0, s9
	s_addc_u32 s1, s1, 0
	v_cmp_gt_u32_e32 vcc, 57, v0
	s_and_saveexec_b64 s[6:7], vcc
	s_cbranch_execz .LBB120_1112
; %bb.1:
	s_load_dwordx2 s[6:7], s[4:5], 0x10
	s_load_dwordx4 s[12:15], s[4:5], 0x0
	s_ashr_i32 s9, s8, 31
	s_lshl_b64 s[4:5], s[8:9], 3
	s_waitcnt lgkmcnt(0)
	s_ashr_i32 s9, s6, 31
	s_add_u32 s4, s14, s4
	s_addc_u32 s5, s15, s5
	s_load_dwordx2 s[4:5], s[4:5], 0x0
	s_mov_b32 s8, s6
	s_lshl_b64 s[8:9], s[8:9], 3
	s_waitcnt lgkmcnt(0)
	s_add_u32 s4, s4, s8
	s_addc_u32 s5, s5, s9
	s_add_i32 s6, s7, s7
	v_add_u32_e32 v4, s6, v0
	v_ashrrev_i32_e32 v5, 31, v4
	v_lshlrev_b64 v[2:3], 3, v[4:5]
	v_add_u32_e32 v6, s7, v4
	v_mov_b32_e32 v1, s5
	v_add_co_u32_e32 v2, vcc, s4, v2
	v_ashrrev_i32_e32 v7, 31, v6
	v_addc_co_u32_e32 v3, vcc, v1, v3, vcc
	v_lshlrev_b64 v[4:5], 3, v[6:7]
	v_add_u32_e32 v8, s7, v6
	v_add_co_u32_e32 v4, vcc, s4, v4
	v_ashrrev_i32_e32 v9, 31, v8
	v_addc_co_u32_e32 v5, vcc, v1, v5, vcc
	v_lshlrev_b64 v[6:7], 3, v[8:9]
	v_add_u32_e32 v10, s7, v8
	;; [unrolled: 5-line block ×46, first 2 shown]
	v_add_co_u32_e32 v94, vcc, s4, v94
	v_ashrrev_i32_e32 v99, 31, v98
	v_addc_co_u32_e32 v95, vcc, v1, v95, vcc
	v_lshlrev_b64 v[96:97], 3, v[98:99]
	v_add_co_u32_e32 v96, vcc, s4, v96
	v_addc_co_u32_e32 v97, vcc, v1, v97, vcc
	v_lshlrev_b32_e32 v1, 3, v0
	v_add_u32_e32 v100, s7, v98
	global_load_dwordx2 v[116:117], v1, s[4:5]
	global_load_dwordx2 v[120:121], v[2:3], off
	global_load_dwordx2 v[122:123], v[4:5], off
	v_mov_b32_e32 v98, s5
	v_add_co_u32_e32 v104, vcc, s4, v1
	s_ashr_i32 s9, s7, 31
	s_mov_b32 s8, s7
	v_addc_co_u32_e32 v105, vcc, 0, v98, vcc
	s_lshl_b64 s[8:9], s[8:9], 3
	v_mov_b32_e32 v98, s9
	v_add_co_u32_e32 v108, vcc, s8, v104
	v_addc_co_u32_e32 v109, vcc, v105, v98, vcc
	global_load_dwordx2 v[118:119], v[108:109], off
	global_load_dwordx2 v[124:125], v[6:7], off
	global_load_dwordx2 v[126:127], v[8:9], off
	global_load_dwordx2 v[128:129], v[10:11], off
	global_load_dwordx2 v[130:131], v[12:13], off
	global_load_dwordx2 v[132:133], v[14:15], off
	global_load_dwordx2 v[134:135], v[16:17], off
	v_ashrrev_i32_e32 v101, 31, v100
	global_load_dwordx2 v[136:137], v[18:19], off
	global_load_dwordx2 v[138:139], v[20:21], off
	v_lshlrev_b64 v[98:99], 3, v[100:101]
	v_mov_b32_e32 v102, s5
	v_add_co_u32_e32 v98, vcc, s4, v98
	v_addc_co_u32_e32 v99, vcc, v102, v99, vcc
	v_add_u32_e32 v102, s7, v100
	v_ashrrev_i32_e32 v103, 31, v102
	v_lshlrev_b64 v[100:101], 3, v[102:103]
	v_mov_b32_e32 v106, s5
	v_add_co_u32_e32 v100, vcc, s4, v100
	v_addc_co_u32_e32 v101, vcc, v106, v101, vcc
	v_add_u32_e32 v106, s7, v102
	v_ashrrev_i32_e32 v107, 31, v106
	v_lshlrev_b64 v[102:103], 3, v[106:107]
	global_load_dwordx2 v[140:141], v[22:23], off
	global_load_dwordx2 v[142:143], v[24:25], off
	v_mov_b32_e32 v110, s5
	v_add_co_u32_e32 v102, vcc, s4, v102
	v_addc_co_u32_e32 v103, vcc, v110, v103, vcc
	v_add_u32_e32 v110, s7, v106
	v_ashrrev_i32_e32 v111, 31, v110
	v_lshlrev_b64 v[106:107], 3, v[110:111]
	v_mov_b32_e32 v112, s5
	v_add_co_u32_e32 v106, vcc, s4, v106
	v_addc_co_u32_e32 v107, vcc, v112, v107, vcc
	v_add_u32_e32 v112, s7, v110
	v_ashrrev_i32_e32 v113, 31, v112
	global_load_dwordx2 v[144:145], v[26:27], off
	global_load_dwordx2 v[146:147], v[28:29], off
	v_lshlrev_b64 v[110:111], 3, v[112:113]
	v_mov_b32_e32 v114, s5
	v_add_co_u32_e32 v110, vcc, s4, v110
	v_addc_co_u32_e32 v111, vcc, v114, v111, vcc
	v_add_u32_e32 v114, s7, v112
	v_ashrrev_i32_e32 v115, 31, v114
	v_lshlrev_b64 v[112:113], 3, v[114:115]
	v_mov_b32_e32 v148, s5
	v_add_co_u32_e32 v112, vcc, s4, v112
	v_addc_co_u32_e32 v113, vcc, v148, v113, vcc
	global_load_dwordx2 v[148:149], v[30:31], off
	global_load_dwordx2 v[150:151], v[32:33], off
	;; [unrolled: 1-line block ×7, first 2 shown]
	v_add_u32_e32 v114, s7, v114
	v_ashrrev_i32_e32 v115, 31, v114
	v_lshlrev_b64 v[114:115], 3, v[114:115]
	v_mov_b32_e32 v162, s5
	v_add_co_u32_e32 v114, vcc, s4, v114
	v_addc_co_u32_e32 v115, vcc, v162, v115, vcc
	global_load_dwordx2 v[162:163], v[44:45], off
	global_load_dwordx2 v[164:165], v[46:47], off
	;; [unrolled: 1-line block ×18, first 2 shown]
	s_cmpk_lg_i32 s13, 0x84
	s_waitcnt vmcnt(40)
	buffer_store_dword v117, off, s[0:3], 0 offset:4
	buffer_store_dword v116, off, s[0:3], 0
	global_load_dwordx2 v[116:117], v[48:49], off
	s_cselect_b64 s[8:9], -1, 0
	s_waitcnt vmcnt(40)
	buffer_store_dword v119, off, s[0:3], 0 offset:12
	buffer_store_dword v118, off, s[0:3], 0 offset:8
	global_load_dwordx2 v[118:119], v[52:53], off
	s_cmpk_eq_i32 s13, 0x84
	buffer_store_dword v121, off, s[0:3], 0 offset:20
	buffer_store_dword v120, off, s[0:3], 0 offset:16
	global_load_dwordx2 v[120:121], v[56:57], off
	s_nop 0
	buffer_store_dword v123, off, s[0:3], 0 offset:28
	buffer_store_dword v122, off, s[0:3], 0 offset:24
	global_load_dwordx2 v[122:123], v[60:61], off
	s_waitcnt vmcnt(48)
	buffer_store_dword v125, off, s[0:3], 0 offset:36
	buffer_store_dword v124, off, s[0:3], 0 offset:32
	global_load_dwordx2 v[124:125], v[64:65], off
	s_waitcnt vmcnt(50)
	buffer_store_dword v127, off, s[0:3], 0 offset:44
	buffer_store_dword v126, off, s[0:3], 0 offset:40
	global_load_dwordx2 v[126:127], v[68:69], off
	s_waitcnt vmcnt(52)
	buffer_store_dword v129, off, s[0:3], 0 offset:52
	buffer_store_dword v128, off, s[0:3], 0 offset:48
	global_load_dwordx2 v[128:129], v[72:73], off
	s_waitcnt vmcnt(54)
	buffer_store_dword v131, off, s[0:3], 0 offset:60
	buffer_store_dword v130, off, s[0:3], 0 offset:56
	global_load_dwordx2 v[130:131], v[76:77], off
	s_waitcnt vmcnt(56)
	buffer_store_dword v133, off, s[0:3], 0 offset:68
	buffer_store_dword v132, off, s[0:3], 0 offset:64
	global_load_dwordx2 v[132:133], v[80:81], off
	s_waitcnt vmcnt(58)
	buffer_store_dword v134, off, s[0:3], 0 offset:72
	buffer_store_dword v135, off, s[0:3], 0 offset:76
	global_load_dwordx2 v[134:135], v[84:85], off
	s_waitcnt vmcnt(60)
	buffer_store_dword v136, off, s[0:3], 0 offset:80
	buffer_store_dword v137, off, s[0:3], 0 offset:84
	global_load_dwordx2 v[136:137], v[88:89], off
	s_waitcnt vmcnt(62)
	buffer_store_dword v138, off, s[0:3], 0 offset:88
	buffer_store_dword v139, off, s[0:3], 0 offset:92
	global_load_dwordx2 v[138:139], v[92:93], off
	s_waitcnt vmcnt(62)
	buffer_store_dword v140, off, s[0:3], 0 offset:96
	buffer_store_dword v141, off, s[0:3], 0 offset:100
	global_load_dwordx2 v[140:141], v[96:97], off
	s_nop 0
	buffer_store_dword v142, off, s[0:3], 0 offset:104
	buffer_store_dword v143, off, s[0:3], 0 offset:108
	global_load_dwordx2 v[142:143], v[100:101], off
	s_nop 0
	buffer_store_dword v145, off, s[0:3], 0 offset:116
	buffer_store_dword v144, off, s[0:3], 0 offset:112
	global_load_dwordx2 v[144:145], v[106:107], off
	s_waitcnt vmcnt(62)
	buffer_store_dword v146, off, s[0:3], 0 offset:120
	buffer_store_dword v147, off, s[0:3], 0 offset:124
	global_load_dwordx2 v[146:147], v[112:113], off
	s_nop 0
	buffer_store_dword v148, off, s[0:3], 0 offset:128
	buffer_store_dword v149, off, s[0:3], 0 offset:132
	;; [unrolled: 1-line block ×16, first 2 shown]
	s_waitcnt vmcnt(62)
	buffer_store_dword v164, off, s[0:3], 0 offset:192
	buffer_store_dword v165, off, s[0:3], 0 offset:196
	s_waitcnt vmcnt(62)
	buffer_store_dword v117, off, s[0:3], 0 offset:204
	buffer_store_dword v116, off, s[0:3], 0 offset:200
	buffer_store_dword v167, off, s[0:3], 0 offset:212
	buffer_store_dword v166, off, s[0:3], 0 offset:208
	s_waitcnt vmcnt(62)
	buffer_store_dword v118, off, s[0:3], 0 offset:216
	buffer_store_dword v119, off, s[0:3], 0 offset:220
	;; [unrolled: 5-line block ×3, first 2 shown]
	buffer_store_dword v170, off, s[0:3], 0 offset:240
	buffer_store_dword v171, off, s[0:3], 0 offset:244
	;; [unrolled: 1-line block ×6, first 2 shown]
	s_waitcnt vmcnt(62)
	buffer_store_dword v124, off, s[0:3], 0 offset:264
	buffer_store_dword v125, off, s[0:3], 0 offset:268
	buffer_store_dword v174, off, s[0:3], 0 offset:272
	buffer_store_dword v175, off, s[0:3], 0 offset:276
	buffer_store_dword v126, off, s[0:3], 0 offset:280
	buffer_store_dword v127, off, s[0:3], 0 offset:284
	buffer_store_dword v176, off, s[0:3], 0 offset:288
	buffer_store_dword v177, off, s[0:3], 0 offset:292
	s_waitcnt vmcnt(62)
	buffer_store_dword v129, off, s[0:3], 0 offset:300
	buffer_store_dword v128, off, s[0:3], 0 offset:296
	buffer_store_dword v179, off, s[0:3], 0 offset:308
	buffer_store_dword v178, off, s[0:3], 0 offset:304
	buffer_store_dword v130, off, s[0:3], 0 offset:312
	buffer_store_dword v131, off, s[0:3], 0 offset:316
	buffer_store_dword v180, off, s[0:3], 0 offset:320
	buffer_store_dword v181, off, s[0:3], 0 offset:324
	buffer_store_dword v132, off, s[0:3], 0 offset:328
	buffer_store_dword v133, off, s[0:3], 0 offset:332
	buffer_store_dword v182, off, s[0:3], 0 offset:336
	buffer_store_dword v183, off, s[0:3], 0 offset:340
	s_waitcnt vmcnt(62)
	buffer_store_dword v135, off, s[0:3], 0 offset:348
	buffer_store_dword v134, off, s[0:3], 0 offset:344
	;; [unrolled: 1-line block ×16, first 2 shown]
	s_waitcnt vmcnt(62)
	buffer_store_dword v142, off, s[0:3], 0 offset:408
	buffer_store_dword v143, off, s[0:3], 0 offset:412
	;; [unrolled: 1-line block ×12, first 2 shown]
	v_mov_b32_e32 v116, 0
	v_mov_b32_e32 v173, 0
	;; [unrolled: 1-line block ×3, first 2 shown]
	s_cbranch_scc1 .LBB120_3
; %bb.2:
	v_lshl_add_u32 v126, v0, 3, v173
	buffer_load_dword v116, v126, s[0:3], 0 offen
	buffer_load_dword v117, v126, s[0:3], 0 offen offset:4
	s_waitcnt vmcnt(0)
	v_div_scale_f64 v[118:119], s[4:5], v[116:117], v[116:117], 1.0
	v_rcp_f64_e32 v[120:121], v[118:119]
	v_div_scale_f64 v[122:123], vcc, 1.0, v[116:117], 1.0
	v_fma_f64 v[124:125], -v[118:119], v[120:121], 1.0
	v_fmac_f64_e32 v[120:121], v[120:121], v[124:125]
	v_fma_f64 v[124:125], -v[118:119], v[120:121], 1.0
	v_fmac_f64_e32 v[120:121], v[120:121], v[124:125]
	v_mul_f64 v[124:125], v[122:123], v[120:121]
	v_fma_f64 v[118:119], -v[118:119], v[124:125], v[122:123]
	v_div_fmas_f64 v[118:119], v[118:119], v[120:121], v[124:125]
	v_div_fixup_f64 v[116:117], v[118:119], v[116:117], 1.0
	buffer_store_dword v116, v126, s[0:3], 0 offen
	buffer_store_dword v117, v126, s[0:3], 0 offen offset:4
	v_xor_b32_e32 v117, 0x80000000, v117
.LBB120_3:
	s_cmpk_eq_i32 s12, 0x79
	v_add_u32_e32 v118, 0x1d0, v1
	v_add_u32_e32 v119, 0, v1
	s_mov_b64 s[4:5], -1
	ds_write_b64 v1, v[116:117]
	s_cbranch_scc1 .LBB120_557
; %bb.4:
	buffer_load_dword v116, off, s[0:3], 0 offset:440
	buffer_load_dword v117, off, s[0:3], 0 offset:444
	v_cmp_eq_u32_e64 s[4:5], 56, v0
	s_waitcnt vmcnt(0)
	ds_write_b64 v118, v[116:117]
	s_waitcnt lgkmcnt(0)
	; wave barrier
	s_waitcnt lgkmcnt(0)
	s_and_saveexec_b64 s[6:7], s[4:5]
	s_cbranch_execz .LBB120_10
; %bb.5:
	s_and_b64 vcc, exec, s[8:9]
	s_cbranch_vccz .LBB120_7
; %bb.6:
	buffer_load_dword v116, v119, s[0:3], 0 offen
	buffer_load_dword v117, v119, s[0:3], 0 offen offset:4
	ds_read_b64 v[120:121], v118
	s_waitcnt vmcnt(0) lgkmcnt(0)
	v_mul_f64 v[116:117], v[116:117], v[120:121]
	s_cbranch_execz .LBB120_8
	s_branch .LBB120_9
.LBB120_7:
                                        ; implicit-def: $vgpr116_vgpr117
.LBB120_8:
	ds_read_b64 v[116:117], v118
.LBB120_9:
	v_mov_b32_e32 v120, 0
	ds_read_b64 v[120:121], v120 offset:440
	s_waitcnt lgkmcnt(0)
	v_mul_f64 v[116:117], v[116:117], v[120:121]
	buffer_store_dword v117, off, s[0:3], 0 offset:444
	buffer_store_dword v116, off, s[0:3], 0 offset:440
.LBB120_10:
	s_or_b64 exec, exec, s[6:7]
	buffer_load_dword v116, off, s[0:3], 0 offset:432
	buffer_load_dword v117, off, s[0:3], 0 offset:436
	v_or_b32_e32 v120, 8, v173
	v_add_u32_e32 v121, 16, v173
	v_add_u32_e32 v122, 24, v173
	v_add_u32_e32 v123, 32, v173
	v_add_u32_e32 v124, 40, v173
	v_add_u32_e32 v125, 48, v173
	v_add_u32_e32 v126, 56, v173
	v_add_u32_e32 v127, 64, v173
	v_add_u32_e32 v128, 0x48, v173
	v_add_u32_e32 v129, 0x50, v173
	v_add_u32_e32 v130, 0x58, v173
	v_add_u32_e32 v131, 0x60, v173
	v_add_u32_e32 v132, 0x68, v173
	v_add_u32_e32 v133, 0x70, v173
	v_add_u32_e32 v134, 0x78, v173
	v_add_u32_e32 v135, 0x80, v173
	v_add_u32_e32 v136, 0x88, v173
	v_add_u32_e32 v137, 0x90, v173
	v_add_u32_e32 v138, 0x98, v173
	v_add_u32_e32 v139, 0xa0, v173
	v_add_u32_e32 v140, 0xa8, v173
	v_add_u32_e32 v141, 0xb0, v173
	v_add_u32_e32 v142, 0xb8, v173
	v_add_u32_e32 v143, 0xc0, v173
	v_add_u32_e32 v144, 0xc8, v173
	v_add_u32_e32 v145, 0xd0, v173
	v_add_u32_e32 v146, 0xd8, v173
	v_add_u32_e32 v147, 0xe0, v173
	v_add_u32_e32 v148, 0xe8, v173
	v_add_u32_e32 v149, 0xf0, v173
	v_add_u32_e32 v150, 0xf8, v173
	v_add_u32_e32 v151, 0x100, v173
	v_add_u32_e32 v152, 0x108, v173
	v_add_u32_e32 v153, 0x110, v173
	v_add_u32_e32 v154, 0x118, v173
	v_add_u32_e32 v155, 0x120, v173
	v_add_u32_e32 v156, 0x128, v173
	v_add_u32_e32 v157, 0x130, v173
	v_add_u32_e32 v158, 0x138, v173
	v_add_u32_e32 v159, 0x140, v173
	v_add_u32_e32 v160, 0x148, v173
	v_add_u32_e32 v161, 0x150, v173
	v_add_u32_e32 v162, 0x158, v173
	v_add_u32_e32 v163, 0x160, v173
	v_add_u32_e32 v164, 0x168, v173
	v_add_u32_e32 v165, 0x170, v173
	v_add_u32_e32 v166, 0x178, v173
	v_add_u32_e32 v167, 0x180, v173
	v_add_u32_e32 v168, 0x188, v173
	v_add_u32_e32 v169, 0x190, v173
	v_add_u32_e32 v170, 0x198, v173
	v_add_u32_e32 v171, 0x1a0, v173
	v_add_u32_e32 v172, 0x1a8, v173
	v_add_u32_e32 v173, 0x1b0, v173
	v_cmp_lt_u32_e64 s[6:7], 54, v0
	s_waitcnt vmcnt(0)
	ds_write_b64 v118, v[116:117]
	s_waitcnt lgkmcnt(0)
	; wave barrier
	s_waitcnt lgkmcnt(0)
	s_and_saveexec_b64 s[10:11], s[6:7]
	s_cbranch_execz .LBB120_16
; %bb.11:
	s_andn2_b64 vcc, exec, s[8:9]
	s_cbranch_vccnz .LBB120_13
; %bb.12:
	buffer_load_dword v116, v119, s[0:3], 0 offen
	buffer_load_dword v117, v119, s[0:3], 0 offen offset:4
	ds_read_b64 v[174:175], v118
	s_waitcnt vmcnt(0) lgkmcnt(0)
	v_mul_f64 v[116:117], v[116:117], v[174:175]
	s_cbranch_execz .LBB120_14
	s_branch .LBB120_15
.LBB120_13:
                                        ; implicit-def: $vgpr116_vgpr117
.LBB120_14:
	ds_read_b64 v[116:117], v118
.LBB120_15:
	buffer_load_dword v178, off, s[0:3], 0 offset:440
	buffer_load_dword v179, off, s[0:3], 0 offset:444
	v_mov_b32_e32 v174, 0
	ds_read2_b64 v[174:177], v174 offset0:54 offset1:113
	s_waitcnt vmcnt(0) lgkmcnt(0)
	v_fma_f64 v[176:177], v[178:179], v[176:177], v[116:117]
	v_cndmask_b32_e64 v117, v117, v177, s[4:5]
	v_cndmask_b32_e64 v116, v116, v176, s[4:5]
	v_mul_f64 v[116:117], v[116:117], v[174:175]
	buffer_store_dword v117, off, s[0:3], 0 offset:436
	buffer_store_dword v116, off, s[0:3], 0 offset:432
.LBB120_16:
	s_or_b64 exec, exec, s[10:11]
	buffer_load_dword v116, off, s[0:3], 0 offset:424
	buffer_load_dword v117, off, s[0:3], 0 offset:428
	v_cmp_lt_u32_e64 s[4:5], 53, v0
	s_waitcnt vmcnt(0)
	ds_write_b64 v118, v[116:117]
	s_waitcnt lgkmcnt(0)
	; wave barrier
	s_waitcnt lgkmcnt(0)
	s_and_saveexec_b64 s[10:11], s[4:5]
	s_cbranch_execz .LBB120_26
; %bb.17:
	s_andn2_b64 vcc, exec, s[8:9]
	s_cbranch_vccnz .LBB120_19
; %bb.18:
	buffer_load_dword v116, v119, s[0:3], 0 offen
	buffer_load_dword v117, v119, s[0:3], 0 offen offset:4
	ds_read_b64 v[174:175], v118
	s_waitcnt vmcnt(0) lgkmcnt(0)
	v_mul_f64 v[116:117], v[116:117], v[174:175]
	s_cbranch_execz .LBB120_20
	s_branch .LBB120_21
.LBB120_19:
                                        ; implicit-def: $vgpr116_vgpr117
.LBB120_20:
	ds_read_b64 v[116:117], v118
.LBB120_21:
	s_and_saveexec_b64 s[12:13], s[6:7]
	s_cbranch_execz .LBB120_25
; %bb.22:
	v_subrev_u32_e32 v174, 54, v0
	s_movk_i32 s14, 0x380
	s_mov_b64 s[6:7], 0
.LBB120_23:                             ; =>This Inner Loop Header: Depth=1
	buffer_load_dword v176, v173, s[0:3], 0 offen
	buffer_load_dword v177, v173, s[0:3], 0 offen offset:4
	v_mov_b32_e32 v175, s14
	ds_read_b64 v[178:179], v175
	v_add_u32_e32 v174, -1, v174
	s_add_i32 s14, s14, 8
	v_cmp_eq_u32_e32 vcc, 0, v174
	v_add_u32_e32 v173, 8, v173
	s_or_b64 s[6:7], vcc, s[6:7]
	s_waitcnt vmcnt(0) lgkmcnt(0)
	v_fmac_f64_e32 v[116:117], v[176:177], v[178:179]
	s_andn2_b64 exec, exec, s[6:7]
	s_cbranch_execnz .LBB120_23
; %bb.24:
	s_or_b64 exec, exec, s[6:7]
.LBB120_25:
	s_or_b64 exec, exec, s[12:13]
	v_mov_b32_e32 v173, 0
	ds_read_b64 v[174:175], v173 offset:424
	s_waitcnt lgkmcnt(0)
	v_mul_f64 v[116:117], v[116:117], v[174:175]
	buffer_store_dword v117, off, s[0:3], 0 offset:428
	buffer_store_dword v116, off, s[0:3], 0 offset:424
.LBB120_26:
	s_or_b64 exec, exec, s[10:11]
	buffer_load_dword v116, off, s[0:3], 0 offset:416
	buffer_load_dword v117, off, s[0:3], 0 offset:420
	v_cmp_lt_u32_e64 s[6:7], 52, v0
	s_waitcnt vmcnt(0)
	ds_write_b64 v118, v[116:117]
	s_waitcnt lgkmcnt(0)
	; wave barrier
	s_waitcnt lgkmcnt(0)
	s_and_saveexec_b64 s[10:11], s[6:7]
	s_cbranch_execz .LBB120_36
; %bb.27:
	s_andn2_b64 vcc, exec, s[8:9]
	s_cbranch_vccnz .LBB120_29
; %bb.28:
	buffer_load_dword v116, v119, s[0:3], 0 offen
	buffer_load_dword v117, v119, s[0:3], 0 offen offset:4
	ds_read_b64 v[174:175], v118
	s_waitcnt vmcnt(0) lgkmcnt(0)
	v_mul_f64 v[116:117], v[116:117], v[174:175]
	s_cbranch_execz .LBB120_30
	s_branch .LBB120_31
.LBB120_29:
                                        ; implicit-def: $vgpr116_vgpr117
.LBB120_30:
	ds_read_b64 v[116:117], v118
.LBB120_31:
	s_and_saveexec_b64 s[12:13], s[4:5]
	s_cbranch_execz .LBB120_35
; %bb.32:
	v_subrev_u32_e32 v173, 53, v0
	s_movk_i32 s14, 0x378
	s_mov_b64 s[4:5], 0
.LBB120_33:                             ; =>This Inner Loop Header: Depth=1
	buffer_load_dword v174, v172, s[0:3], 0 offen
	buffer_load_dword v175, v172, s[0:3], 0 offen offset:4
	v_mov_b32_e32 v176, s14
	ds_read_b64 v[176:177], v176
	v_add_u32_e32 v173, -1, v173
	s_add_i32 s14, s14, 8
	v_cmp_eq_u32_e32 vcc, 0, v173
	v_add_u32_e32 v172, 8, v172
	s_or_b64 s[4:5], vcc, s[4:5]
	s_waitcnt vmcnt(0) lgkmcnt(0)
	v_fmac_f64_e32 v[116:117], v[174:175], v[176:177]
	s_andn2_b64 exec, exec, s[4:5]
	s_cbranch_execnz .LBB120_33
; %bb.34:
	s_or_b64 exec, exec, s[4:5]
.LBB120_35:
	s_or_b64 exec, exec, s[12:13]
	v_mov_b32_e32 v172, 0
	ds_read_b64 v[172:173], v172 offset:416
	s_waitcnt lgkmcnt(0)
	v_mul_f64 v[116:117], v[116:117], v[172:173]
	buffer_store_dword v117, off, s[0:3], 0 offset:420
	buffer_store_dword v116, off, s[0:3], 0 offset:416
.LBB120_36:
	;; [unrolled: 58-line block ×8, first 2 shown]
	s_or_b64 exec, exec, s[10:11]
	buffer_load_dword v116, off, s[0:3], 0 offset:360
	buffer_load_dword v117, off, s[0:3], 0 offset:364
	v_cmp_lt_u32_e64 s[4:5], 45, v0
	s_waitcnt vmcnt(0)
	ds_write_b64 v118, v[116:117]
	s_waitcnt lgkmcnt(0)
	; wave barrier
	s_waitcnt lgkmcnt(0)
	s_and_saveexec_b64 s[10:11], s[4:5]
	s_cbranch_execz .LBB120_106
; %bb.97:
	s_andn2_b64 vcc, exec, s[8:9]
	s_cbranch_vccnz .LBB120_99
; %bb.98:
	buffer_load_dword v116, v119, s[0:3], 0 offen
	buffer_load_dword v117, v119, s[0:3], 0 offen offset:4
	ds_read_b64 v[166:167], v118
	s_waitcnt vmcnt(0) lgkmcnt(0)
	v_mul_f64 v[116:117], v[116:117], v[166:167]
	s_cbranch_execz .LBB120_100
	s_branch .LBB120_101
.LBB120_99:
                                        ; implicit-def: $vgpr116_vgpr117
.LBB120_100:
	ds_read_b64 v[116:117], v118
.LBB120_101:
	s_and_saveexec_b64 s[12:13], s[6:7]
	s_cbranch_execz .LBB120_105
; %bb.102:
	v_subrev_u32_e32 v166, 46, v0
	s_movk_i32 s14, 0x340
	s_mov_b64 s[6:7], 0
.LBB120_103:                            ; =>This Inner Loop Header: Depth=1
	buffer_load_dword v168, v165, s[0:3], 0 offen
	buffer_load_dword v169, v165, s[0:3], 0 offen offset:4
	v_mov_b32_e32 v167, s14
	ds_read_b64 v[170:171], v167
	v_add_u32_e32 v166, -1, v166
	s_add_i32 s14, s14, 8
	v_cmp_eq_u32_e32 vcc, 0, v166
	v_add_u32_e32 v165, 8, v165
	s_or_b64 s[6:7], vcc, s[6:7]
	s_waitcnt vmcnt(0) lgkmcnt(0)
	v_fmac_f64_e32 v[116:117], v[168:169], v[170:171]
	s_andn2_b64 exec, exec, s[6:7]
	s_cbranch_execnz .LBB120_103
; %bb.104:
	s_or_b64 exec, exec, s[6:7]
.LBB120_105:
	s_or_b64 exec, exec, s[12:13]
	v_mov_b32_e32 v165, 0
	ds_read_b64 v[166:167], v165 offset:360
	s_waitcnt lgkmcnt(0)
	v_mul_f64 v[116:117], v[116:117], v[166:167]
	buffer_store_dword v117, off, s[0:3], 0 offset:364
	buffer_store_dword v116, off, s[0:3], 0 offset:360
.LBB120_106:
	s_or_b64 exec, exec, s[10:11]
	buffer_load_dword v116, off, s[0:3], 0 offset:352
	buffer_load_dword v117, off, s[0:3], 0 offset:356
	v_cmp_lt_u32_e64 s[6:7], 44, v0
	s_waitcnt vmcnt(0)
	ds_write_b64 v118, v[116:117]
	s_waitcnt lgkmcnt(0)
	; wave barrier
	s_waitcnt lgkmcnt(0)
	s_and_saveexec_b64 s[10:11], s[6:7]
	s_cbranch_execz .LBB120_116
; %bb.107:
	s_andn2_b64 vcc, exec, s[8:9]
	s_cbranch_vccnz .LBB120_109
; %bb.108:
	buffer_load_dword v116, v119, s[0:3], 0 offen
	buffer_load_dword v117, v119, s[0:3], 0 offen offset:4
	ds_read_b64 v[166:167], v118
	s_waitcnt vmcnt(0) lgkmcnt(0)
	v_mul_f64 v[116:117], v[116:117], v[166:167]
	s_cbranch_execz .LBB120_110
	s_branch .LBB120_111
.LBB120_109:
                                        ; implicit-def: $vgpr116_vgpr117
.LBB120_110:
	ds_read_b64 v[116:117], v118
.LBB120_111:
	s_and_saveexec_b64 s[12:13], s[4:5]
	s_cbranch_execz .LBB120_115
; %bb.112:
	v_subrev_u32_e32 v165, 45, v0
	s_movk_i32 s14, 0x338
	s_mov_b64 s[4:5], 0
.LBB120_113:                            ; =>This Inner Loop Header: Depth=1
	buffer_load_dword v166, v164, s[0:3], 0 offen
	buffer_load_dword v167, v164, s[0:3], 0 offen offset:4
	v_mov_b32_e32 v168, s14
	ds_read_b64 v[168:169], v168
	v_add_u32_e32 v165, -1, v165
	s_add_i32 s14, s14, 8
	v_cmp_eq_u32_e32 vcc, 0, v165
	v_add_u32_e32 v164, 8, v164
	s_or_b64 s[4:5], vcc, s[4:5]
	s_waitcnt vmcnt(0) lgkmcnt(0)
	v_fmac_f64_e32 v[116:117], v[166:167], v[168:169]
	s_andn2_b64 exec, exec, s[4:5]
	s_cbranch_execnz .LBB120_113
; %bb.114:
	s_or_b64 exec, exec, s[4:5]
.LBB120_115:
	s_or_b64 exec, exec, s[12:13]
	v_mov_b32_e32 v164, 0
	ds_read_b64 v[164:165], v164 offset:352
	s_waitcnt lgkmcnt(0)
	v_mul_f64 v[116:117], v[116:117], v[164:165]
	buffer_store_dword v117, off, s[0:3], 0 offset:356
	buffer_store_dword v116, off, s[0:3], 0 offset:352
.LBB120_116:
	s_or_b64 exec, exec, s[10:11]
	buffer_load_dword v116, off, s[0:3], 0 offset:344
	buffer_load_dword v117, off, s[0:3], 0 offset:348
	v_cmp_lt_u32_e64 s[4:5], 43, v0
	s_waitcnt vmcnt(0)
	ds_write_b64 v118, v[116:117]
	s_waitcnt lgkmcnt(0)
	; wave barrier
	s_waitcnt lgkmcnt(0)
	s_and_saveexec_b64 s[10:11], s[4:5]
	s_cbranch_execz .LBB120_126
; %bb.117:
	s_andn2_b64 vcc, exec, s[8:9]
	s_cbranch_vccnz .LBB120_119
; %bb.118:
	buffer_load_dword v116, v119, s[0:3], 0 offen
	buffer_load_dword v117, v119, s[0:3], 0 offen offset:4
	ds_read_b64 v[164:165], v118
	s_waitcnt vmcnt(0) lgkmcnt(0)
	v_mul_f64 v[116:117], v[116:117], v[164:165]
	s_cbranch_execz .LBB120_120
	s_branch .LBB120_121
.LBB120_119:
                                        ; implicit-def: $vgpr116_vgpr117
.LBB120_120:
	ds_read_b64 v[116:117], v118
.LBB120_121:
	s_and_saveexec_b64 s[12:13], s[6:7]
	s_cbranch_execz .LBB120_125
; %bb.122:
	v_subrev_u32_e32 v164, 44, v0
	s_movk_i32 s14, 0x330
	s_mov_b64 s[6:7], 0
.LBB120_123:                            ; =>This Inner Loop Header: Depth=1
	buffer_load_dword v166, v163, s[0:3], 0 offen
	buffer_load_dword v167, v163, s[0:3], 0 offen offset:4
	v_mov_b32_e32 v165, s14
	ds_read_b64 v[168:169], v165
	v_add_u32_e32 v164, -1, v164
	s_add_i32 s14, s14, 8
	v_cmp_eq_u32_e32 vcc, 0, v164
	v_add_u32_e32 v163, 8, v163
	s_or_b64 s[6:7], vcc, s[6:7]
	s_waitcnt vmcnt(0) lgkmcnt(0)
	v_fmac_f64_e32 v[116:117], v[166:167], v[168:169]
	s_andn2_b64 exec, exec, s[6:7]
	s_cbranch_execnz .LBB120_123
; %bb.124:
	s_or_b64 exec, exec, s[6:7]
.LBB120_125:
	s_or_b64 exec, exec, s[12:13]
	v_mov_b32_e32 v163, 0
	ds_read_b64 v[164:165], v163 offset:344
	s_waitcnt lgkmcnt(0)
	v_mul_f64 v[116:117], v[116:117], v[164:165]
	buffer_store_dword v117, off, s[0:3], 0 offset:348
	buffer_store_dword v116, off, s[0:3], 0 offset:344
.LBB120_126:
	s_or_b64 exec, exec, s[10:11]
	buffer_load_dword v116, off, s[0:3], 0 offset:336
	buffer_load_dword v117, off, s[0:3], 0 offset:340
	v_cmp_lt_u32_e64 s[6:7], 42, v0
	s_waitcnt vmcnt(0)
	ds_write_b64 v118, v[116:117]
	s_waitcnt lgkmcnt(0)
	; wave barrier
	s_waitcnt lgkmcnt(0)
	s_and_saveexec_b64 s[10:11], s[6:7]
	s_cbranch_execz .LBB120_136
; %bb.127:
	s_andn2_b64 vcc, exec, s[8:9]
	s_cbranch_vccnz .LBB120_129
; %bb.128:
	buffer_load_dword v116, v119, s[0:3], 0 offen
	buffer_load_dword v117, v119, s[0:3], 0 offen offset:4
	ds_read_b64 v[164:165], v118
	s_waitcnt vmcnt(0) lgkmcnt(0)
	v_mul_f64 v[116:117], v[116:117], v[164:165]
	s_cbranch_execz .LBB120_130
	s_branch .LBB120_131
.LBB120_129:
                                        ; implicit-def: $vgpr116_vgpr117
.LBB120_130:
	ds_read_b64 v[116:117], v118
.LBB120_131:
	s_and_saveexec_b64 s[12:13], s[4:5]
	s_cbranch_execz .LBB120_135
; %bb.132:
	v_subrev_u32_e32 v163, 43, v0
	s_movk_i32 s14, 0x328
	s_mov_b64 s[4:5], 0
.LBB120_133:                            ; =>This Inner Loop Header: Depth=1
	buffer_load_dword v164, v162, s[0:3], 0 offen
	buffer_load_dword v165, v162, s[0:3], 0 offen offset:4
	v_mov_b32_e32 v166, s14
	ds_read_b64 v[166:167], v166
	v_add_u32_e32 v163, -1, v163
	s_add_i32 s14, s14, 8
	v_cmp_eq_u32_e32 vcc, 0, v163
	v_add_u32_e32 v162, 8, v162
	s_or_b64 s[4:5], vcc, s[4:5]
	s_waitcnt vmcnt(0) lgkmcnt(0)
	v_fmac_f64_e32 v[116:117], v[164:165], v[166:167]
	s_andn2_b64 exec, exec, s[4:5]
	s_cbranch_execnz .LBB120_133
; %bb.134:
	s_or_b64 exec, exec, s[4:5]
.LBB120_135:
	s_or_b64 exec, exec, s[12:13]
	v_mov_b32_e32 v162, 0
	ds_read_b64 v[162:163], v162 offset:336
	s_waitcnt lgkmcnt(0)
	v_mul_f64 v[116:117], v[116:117], v[162:163]
	buffer_store_dword v117, off, s[0:3], 0 offset:340
	buffer_store_dword v116, off, s[0:3], 0 offset:336
.LBB120_136:
	s_or_b64 exec, exec, s[10:11]
	buffer_load_dword v116, off, s[0:3], 0 offset:328
	buffer_load_dword v117, off, s[0:3], 0 offset:332
	v_cmp_lt_u32_e64 s[4:5], 41, v0
	s_waitcnt vmcnt(0)
	ds_write_b64 v118, v[116:117]
	s_waitcnt lgkmcnt(0)
	; wave barrier
	s_waitcnt lgkmcnt(0)
	s_and_saveexec_b64 s[10:11], s[4:5]
	s_cbranch_execz .LBB120_146
; %bb.137:
	s_andn2_b64 vcc, exec, s[8:9]
	s_cbranch_vccnz .LBB120_139
; %bb.138:
	buffer_load_dword v116, v119, s[0:3], 0 offen
	buffer_load_dword v117, v119, s[0:3], 0 offen offset:4
	ds_read_b64 v[162:163], v118
	s_waitcnt vmcnt(0) lgkmcnt(0)
	v_mul_f64 v[116:117], v[116:117], v[162:163]
	s_cbranch_execz .LBB120_140
	s_branch .LBB120_141
.LBB120_139:
                                        ; implicit-def: $vgpr116_vgpr117
.LBB120_140:
	ds_read_b64 v[116:117], v118
.LBB120_141:
	s_and_saveexec_b64 s[12:13], s[6:7]
	s_cbranch_execz .LBB120_145
; %bb.142:
	v_subrev_u32_e32 v162, 42, v0
	s_movk_i32 s14, 0x320
	s_mov_b64 s[6:7], 0
.LBB120_143:                            ; =>This Inner Loop Header: Depth=1
	buffer_load_dword v164, v161, s[0:3], 0 offen
	buffer_load_dword v165, v161, s[0:3], 0 offen offset:4
	v_mov_b32_e32 v163, s14
	ds_read_b64 v[166:167], v163
	v_add_u32_e32 v162, -1, v162
	s_add_i32 s14, s14, 8
	v_cmp_eq_u32_e32 vcc, 0, v162
	v_add_u32_e32 v161, 8, v161
	s_or_b64 s[6:7], vcc, s[6:7]
	s_waitcnt vmcnt(0) lgkmcnt(0)
	v_fmac_f64_e32 v[116:117], v[164:165], v[166:167]
	s_andn2_b64 exec, exec, s[6:7]
	s_cbranch_execnz .LBB120_143
; %bb.144:
	s_or_b64 exec, exec, s[6:7]
.LBB120_145:
	s_or_b64 exec, exec, s[12:13]
	v_mov_b32_e32 v161, 0
	ds_read_b64 v[162:163], v161 offset:328
	s_waitcnt lgkmcnt(0)
	v_mul_f64 v[116:117], v[116:117], v[162:163]
	buffer_store_dword v117, off, s[0:3], 0 offset:332
	buffer_store_dword v116, off, s[0:3], 0 offset:328
.LBB120_146:
	s_or_b64 exec, exec, s[10:11]
	buffer_load_dword v116, off, s[0:3], 0 offset:320
	buffer_load_dword v117, off, s[0:3], 0 offset:324
	v_cmp_lt_u32_e64 s[6:7], 40, v0
	s_waitcnt vmcnt(0)
	ds_write_b64 v118, v[116:117]
	s_waitcnt lgkmcnt(0)
	; wave barrier
	s_waitcnt lgkmcnt(0)
	s_and_saveexec_b64 s[10:11], s[6:7]
	s_cbranch_execz .LBB120_156
; %bb.147:
	s_andn2_b64 vcc, exec, s[8:9]
	s_cbranch_vccnz .LBB120_149
; %bb.148:
	buffer_load_dword v116, v119, s[0:3], 0 offen
	buffer_load_dword v117, v119, s[0:3], 0 offen offset:4
	ds_read_b64 v[162:163], v118
	s_waitcnt vmcnt(0) lgkmcnt(0)
	v_mul_f64 v[116:117], v[116:117], v[162:163]
	s_cbranch_execz .LBB120_150
	s_branch .LBB120_151
.LBB120_149:
                                        ; implicit-def: $vgpr116_vgpr117
.LBB120_150:
	ds_read_b64 v[116:117], v118
.LBB120_151:
	s_and_saveexec_b64 s[12:13], s[4:5]
	s_cbranch_execz .LBB120_155
; %bb.152:
	v_subrev_u32_e32 v161, 41, v0
	s_movk_i32 s14, 0x318
	s_mov_b64 s[4:5], 0
.LBB120_153:                            ; =>This Inner Loop Header: Depth=1
	buffer_load_dword v162, v160, s[0:3], 0 offen
	buffer_load_dword v163, v160, s[0:3], 0 offen offset:4
	v_mov_b32_e32 v164, s14
	ds_read_b64 v[164:165], v164
	v_add_u32_e32 v161, -1, v161
	s_add_i32 s14, s14, 8
	v_cmp_eq_u32_e32 vcc, 0, v161
	v_add_u32_e32 v160, 8, v160
	s_or_b64 s[4:5], vcc, s[4:5]
	s_waitcnt vmcnt(0) lgkmcnt(0)
	v_fmac_f64_e32 v[116:117], v[162:163], v[164:165]
	s_andn2_b64 exec, exec, s[4:5]
	s_cbranch_execnz .LBB120_153
; %bb.154:
	s_or_b64 exec, exec, s[4:5]
.LBB120_155:
	s_or_b64 exec, exec, s[12:13]
	v_mov_b32_e32 v160, 0
	ds_read_b64 v[160:161], v160 offset:320
	s_waitcnt lgkmcnt(0)
	v_mul_f64 v[116:117], v[116:117], v[160:161]
	buffer_store_dword v117, off, s[0:3], 0 offset:324
	buffer_store_dword v116, off, s[0:3], 0 offset:320
.LBB120_156:
	s_or_b64 exec, exec, s[10:11]
	buffer_load_dword v116, off, s[0:3], 0 offset:312
	buffer_load_dword v117, off, s[0:3], 0 offset:316
	v_cmp_lt_u32_e64 s[4:5], 39, v0
	s_waitcnt vmcnt(0)
	ds_write_b64 v118, v[116:117]
	s_waitcnt lgkmcnt(0)
	; wave barrier
	s_waitcnt lgkmcnt(0)
	s_and_saveexec_b64 s[10:11], s[4:5]
	s_cbranch_execz .LBB120_166
; %bb.157:
	s_andn2_b64 vcc, exec, s[8:9]
	s_cbranch_vccnz .LBB120_159
; %bb.158:
	buffer_load_dword v116, v119, s[0:3], 0 offen
	buffer_load_dword v117, v119, s[0:3], 0 offen offset:4
	ds_read_b64 v[160:161], v118
	s_waitcnt vmcnt(0) lgkmcnt(0)
	v_mul_f64 v[116:117], v[116:117], v[160:161]
	s_cbranch_execz .LBB120_160
	s_branch .LBB120_161
.LBB120_159:
                                        ; implicit-def: $vgpr116_vgpr117
.LBB120_160:
	ds_read_b64 v[116:117], v118
.LBB120_161:
	s_and_saveexec_b64 s[12:13], s[6:7]
	s_cbranch_execz .LBB120_165
; %bb.162:
	v_subrev_u32_e32 v160, 40, v0
	s_movk_i32 s14, 0x310
	s_mov_b64 s[6:7], 0
.LBB120_163:                            ; =>This Inner Loop Header: Depth=1
	buffer_load_dword v162, v159, s[0:3], 0 offen
	buffer_load_dword v163, v159, s[0:3], 0 offen offset:4
	v_mov_b32_e32 v161, s14
	ds_read_b64 v[164:165], v161
	v_add_u32_e32 v160, -1, v160
	s_add_i32 s14, s14, 8
	v_cmp_eq_u32_e32 vcc, 0, v160
	v_add_u32_e32 v159, 8, v159
	s_or_b64 s[6:7], vcc, s[6:7]
	s_waitcnt vmcnt(0) lgkmcnt(0)
	v_fmac_f64_e32 v[116:117], v[162:163], v[164:165]
	s_andn2_b64 exec, exec, s[6:7]
	s_cbranch_execnz .LBB120_163
; %bb.164:
	s_or_b64 exec, exec, s[6:7]
.LBB120_165:
	s_or_b64 exec, exec, s[12:13]
	v_mov_b32_e32 v159, 0
	ds_read_b64 v[160:161], v159 offset:312
	s_waitcnt lgkmcnt(0)
	v_mul_f64 v[116:117], v[116:117], v[160:161]
	buffer_store_dword v117, off, s[0:3], 0 offset:316
	buffer_store_dword v116, off, s[0:3], 0 offset:312
.LBB120_166:
	s_or_b64 exec, exec, s[10:11]
	buffer_load_dword v116, off, s[0:3], 0 offset:304
	buffer_load_dword v117, off, s[0:3], 0 offset:308
	v_cmp_lt_u32_e64 s[6:7], 38, v0
	s_waitcnt vmcnt(0)
	ds_write_b64 v118, v[116:117]
	s_waitcnt lgkmcnt(0)
	; wave barrier
	s_waitcnt lgkmcnt(0)
	s_and_saveexec_b64 s[10:11], s[6:7]
	s_cbranch_execz .LBB120_176
; %bb.167:
	s_andn2_b64 vcc, exec, s[8:9]
	s_cbranch_vccnz .LBB120_169
; %bb.168:
	buffer_load_dword v116, v119, s[0:3], 0 offen
	buffer_load_dword v117, v119, s[0:3], 0 offen offset:4
	ds_read_b64 v[160:161], v118
	s_waitcnt vmcnt(0) lgkmcnt(0)
	v_mul_f64 v[116:117], v[116:117], v[160:161]
	s_cbranch_execz .LBB120_170
	s_branch .LBB120_171
.LBB120_169:
                                        ; implicit-def: $vgpr116_vgpr117
.LBB120_170:
	ds_read_b64 v[116:117], v118
.LBB120_171:
	s_and_saveexec_b64 s[12:13], s[4:5]
	s_cbranch_execz .LBB120_175
; %bb.172:
	v_subrev_u32_e32 v159, 39, v0
	s_movk_i32 s14, 0x308
	s_mov_b64 s[4:5], 0
.LBB120_173:                            ; =>This Inner Loop Header: Depth=1
	buffer_load_dword v160, v158, s[0:3], 0 offen
	buffer_load_dword v161, v158, s[0:3], 0 offen offset:4
	v_mov_b32_e32 v162, s14
	ds_read_b64 v[162:163], v162
	v_add_u32_e32 v159, -1, v159
	s_add_i32 s14, s14, 8
	v_cmp_eq_u32_e32 vcc, 0, v159
	v_add_u32_e32 v158, 8, v158
	s_or_b64 s[4:5], vcc, s[4:5]
	s_waitcnt vmcnt(0) lgkmcnt(0)
	v_fmac_f64_e32 v[116:117], v[160:161], v[162:163]
	s_andn2_b64 exec, exec, s[4:5]
	s_cbranch_execnz .LBB120_173
; %bb.174:
	s_or_b64 exec, exec, s[4:5]
.LBB120_175:
	s_or_b64 exec, exec, s[12:13]
	v_mov_b32_e32 v158, 0
	ds_read_b64 v[158:159], v158 offset:304
	s_waitcnt lgkmcnt(0)
	v_mul_f64 v[116:117], v[116:117], v[158:159]
	buffer_store_dword v117, off, s[0:3], 0 offset:308
	buffer_store_dword v116, off, s[0:3], 0 offset:304
.LBB120_176:
	s_or_b64 exec, exec, s[10:11]
	buffer_load_dword v116, off, s[0:3], 0 offset:296
	buffer_load_dword v117, off, s[0:3], 0 offset:300
	v_cmp_lt_u32_e64 s[4:5], 37, v0
	s_waitcnt vmcnt(0)
	ds_write_b64 v118, v[116:117]
	s_waitcnt lgkmcnt(0)
	; wave barrier
	s_waitcnt lgkmcnt(0)
	s_and_saveexec_b64 s[10:11], s[4:5]
	s_cbranch_execz .LBB120_186
; %bb.177:
	s_andn2_b64 vcc, exec, s[8:9]
	s_cbranch_vccnz .LBB120_179
; %bb.178:
	buffer_load_dword v116, v119, s[0:3], 0 offen
	buffer_load_dword v117, v119, s[0:3], 0 offen offset:4
	ds_read_b64 v[158:159], v118
	s_waitcnt vmcnt(0) lgkmcnt(0)
	v_mul_f64 v[116:117], v[116:117], v[158:159]
	s_cbranch_execz .LBB120_180
	s_branch .LBB120_181
.LBB120_179:
                                        ; implicit-def: $vgpr116_vgpr117
.LBB120_180:
	ds_read_b64 v[116:117], v118
.LBB120_181:
	s_and_saveexec_b64 s[12:13], s[6:7]
	s_cbranch_execz .LBB120_185
; %bb.182:
	v_subrev_u32_e32 v158, 38, v0
	s_movk_i32 s14, 0x300
	s_mov_b64 s[6:7], 0
.LBB120_183:                            ; =>This Inner Loop Header: Depth=1
	buffer_load_dword v160, v157, s[0:3], 0 offen
	buffer_load_dword v161, v157, s[0:3], 0 offen offset:4
	v_mov_b32_e32 v159, s14
	ds_read_b64 v[162:163], v159
	v_add_u32_e32 v158, -1, v158
	s_add_i32 s14, s14, 8
	v_cmp_eq_u32_e32 vcc, 0, v158
	v_add_u32_e32 v157, 8, v157
	s_or_b64 s[6:7], vcc, s[6:7]
	s_waitcnt vmcnt(0) lgkmcnt(0)
	v_fmac_f64_e32 v[116:117], v[160:161], v[162:163]
	s_andn2_b64 exec, exec, s[6:7]
	s_cbranch_execnz .LBB120_183
; %bb.184:
	s_or_b64 exec, exec, s[6:7]
.LBB120_185:
	s_or_b64 exec, exec, s[12:13]
	v_mov_b32_e32 v157, 0
	ds_read_b64 v[158:159], v157 offset:296
	s_waitcnt lgkmcnt(0)
	v_mul_f64 v[116:117], v[116:117], v[158:159]
	buffer_store_dword v117, off, s[0:3], 0 offset:300
	buffer_store_dword v116, off, s[0:3], 0 offset:296
.LBB120_186:
	s_or_b64 exec, exec, s[10:11]
	buffer_load_dword v116, off, s[0:3], 0 offset:288
	buffer_load_dword v117, off, s[0:3], 0 offset:292
	v_cmp_lt_u32_e64 s[6:7], 36, v0
	s_waitcnt vmcnt(0)
	ds_write_b64 v118, v[116:117]
	s_waitcnt lgkmcnt(0)
	; wave barrier
	s_waitcnt lgkmcnt(0)
	s_and_saveexec_b64 s[10:11], s[6:7]
	s_cbranch_execz .LBB120_196
; %bb.187:
	s_andn2_b64 vcc, exec, s[8:9]
	s_cbranch_vccnz .LBB120_189
; %bb.188:
	buffer_load_dword v116, v119, s[0:3], 0 offen
	buffer_load_dword v117, v119, s[0:3], 0 offen offset:4
	ds_read_b64 v[158:159], v118
	s_waitcnt vmcnt(0) lgkmcnt(0)
	v_mul_f64 v[116:117], v[116:117], v[158:159]
	s_cbranch_execz .LBB120_190
	s_branch .LBB120_191
.LBB120_189:
                                        ; implicit-def: $vgpr116_vgpr117
.LBB120_190:
	ds_read_b64 v[116:117], v118
.LBB120_191:
	s_and_saveexec_b64 s[12:13], s[4:5]
	s_cbranch_execz .LBB120_195
; %bb.192:
	v_subrev_u32_e32 v157, 37, v0
	s_movk_i32 s14, 0x2f8
	s_mov_b64 s[4:5], 0
.LBB120_193:                            ; =>This Inner Loop Header: Depth=1
	buffer_load_dword v158, v156, s[0:3], 0 offen
	buffer_load_dword v159, v156, s[0:3], 0 offen offset:4
	v_mov_b32_e32 v160, s14
	ds_read_b64 v[160:161], v160
	v_add_u32_e32 v157, -1, v157
	s_add_i32 s14, s14, 8
	v_cmp_eq_u32_e32 vcc, 0, v157
	v_add_u32_e32 v156, 8, v156
	s_or_b64 s[4:5], vcc, s[4:5]
	s_waitcnt vmcnt(0) lgkmcnt(0)
	v_fmac_f64_e32 v[116:117], v[158:159], v[160:161]
	s_andn2_b64 exec, exec, s[4:5]
	s_cbranch_execnz .LBB120_193
; %bb.194:
	s_or_b64 exec, exec, s[4:5]
.LBB120_195:
	s_or_b64 exec, exec, s[12:13]
	v_mov_b32_e32 v156, 0
	ds_read_b64 v[156:157], v156 offset:288
	s_waitcnt lgkmcnt(0)
	v_mul_f64 v[116:117], v[116:117], v[156:157]
	buffer_store_dword v117, off, s[0:3], 0 offset:292
	buffer_store_dword v116, off, s[0:3], 0 offset:288
.LBB120_196:
	s_or_b64 exec, exec, s[10:11]
	buffer_load_dword v116, off, s[0:3], 0 offset:280
	buffer_load_dword v117, off, s[0:3], 0 offset:284
	v_cmp_lt_u32_e64 s[4:5], 35, v0
	s_waitcnt vmcnt(0)
	ds_write_b64 v118, v[116:117]
	s_waitcnt lgkmcnt(0)
	; wave barrier
	s_waitcnt lgkmcnt(0)
	s_and_saveexec_b64 s[10:11], s[4:5]
	s_cbranch_execz .LBB120_206
; %bb.197:
	s_andn2_b64 vcc, exec, s[8:9]
	s_cbranch_vccnz .LBB120_199
; %bb.198:
	buffer_load_dword v116, v119, s[0:3], 0 offen
	buffer_load_dword v117, v119, s[0:3], 0 offen offset:4
	ds_read_b64 v[156:157], v118
	s_waitcnt vmcnt(0) lgkmcnt(0)
	v_mul_f64 v[116:117], v[116:117], v[156:157]
	s_cbranch_execz .LBB120_200
	s_branch .LBB120_201
.LBB120_199:
                                        ; implicit-def: $vgpr116_vgpr117
.LBB120_200:
	ds_read_b64 v[116:117], v118
.LBB120_201:
	s_and_saveexec_b64 s[12:13], s[6:7]
	s_cbranch_execz .LBB120_205
; %bb.202:
	v_subrev_u32_e32 v156, 36, v0
	s_movk_i32 s14, 0x2f0
	s_mov_b64 s[6:7], 0
.LBB120_203:                            ; =>This Inner Loop Header: Depth=1
	buffer_load_dword v158, v155, s[0:3], 0 offen
	buffer_load_dword v159, v155, s[0:3], 0 offen offset:4
	v_mov_b32_e32 v157, s14
	ds_read_b64 v[160:161], v157
	v_add_u32_e32 v156, -1, v156
	s_add_i32 s14, s14, 8
	v_cmp_eq_u32_e32 vcc, 0, v156
	v_add_u32_e32 v155, 8, v155
	s_or_b64 s[6:7], vcc, s[6:7]
	s_waitcnt vmcnt(0) lgkmcnt(0)
	v_fmac_f64_e32 v[116:117], v[158:159], v[160:161]
	s_andn2_b64 exec, exec, s[6:7]
	s_cbranch_execnz .LBB120_203
; %bb.204:
	s_or_b64 exec, exec, s[6:7]
.LBB120_205:
	s_or_b64 exec, exec, s[12:13]
	v_mov_b32_e32 v155, 0
	ds_read_b64 v[156:157], v155 offset:280
	s_waitcnt lgkmcnt(0)
	v_mul_f64 v[116:117], v[116:117], v[156:157]
	buffer_store_dword v117, off, s[0:3], 0 offset:284
	buffer_store_dword v116, off, s[0:3], 0 offset:280
.LBB120_206:
	s_or_b64 exec, exec, s[10:11]
	buffer_load_dword v116, off, s[0:3], 0 offset:272
	buffer_load_dword v117, off, s[0:3], 0 offset:276
	v_cmp_lt_u32_e64 s[6:7], 34, v0
	s_waitcnt vmcnt(0)
	ds_write_b64 v118, v[116:117]
	s_waitcnt lgkmcnt(0)
	; wave barrier
	s_waitcnt lgkmcnt(0)
	s_and_saveexec_b64 s[10:11], s[6:7]
	s_cbranch_execz .LBB120_216
; %bb.207:
	s_andn2_b64 vcc, exec, s[8:9]
	s_cbranch_vccnz .LBB120_209
; %bb.208:
	buffer_load_dword v116, v119, s[0:3], 0 offen
	buffer_load_dword v117, v119, s[0:3], 0 offen offset:4
	ds_read_b64 v[156:157], v118
	s_waitcnt vmcnt(0) lgkmcnt(0)
	v_mul_f64 v[116:117], v[116:117], v[156:157]
	s_cbranch_execz .LBB120_210
	s_branch .LBB120_211
.LBB120_209:
                                        ; implicit-def: $vgpr116_vgpr117
.LBB120_210:
	ds_read_b64 v[116:117], v118
.LBB120_211:
	s_and_saveexec_b64 s[12:13], s[4:5]
	s_cbranch_execz .LBB120_215
; %bb.212:
	v_subrev_u32_e32 v155, 35, v0
	s_movk_i32 s14, 0x2e8
	s_mov_b64 s[4:5], 0
.LBB120_213:                            ; =>This Inner Loop Header: Depth=1
	buffer_load_dword v156, v154, s[0:3], 0 offen
	buffer_load_dword v157, v154, s[0:3], 0 offen offset:4
	v_mov_b32_e32 v158, s14
	ds_read_b64 v[158:159], v158
	v_add_u32_e32 v155, -1, v155
	s_add_i32 s14, s14, 8
	v_cmp_eq_u32_e32 vcc, 0, v155
	v_add_u32_e32 v154, 8, v154
	s_or_b64 s[4:5], vcc, s[4:5]
	s_waitcnt vmcnt(0) lgkmcnt(0)
	v_fmac_f64_e32 v[116:117], v[156:157], v[158:159]
	s_andn2_b64 exec, exec, s[4:5]
	s_cbranch_execnz .LBB120_213
; %bb.214:
	s_or_b64 exec, exec, s[4:5]
.LBB120_215:
	s_or_b64 exec, exec, s[12:13]
	v_mov_b32_e32 v154, 0
	ds_read_b64 v[154:155], v154 offset:272
	s_waitcnt lgkmcnt(0)
	v_mul_f64 v[116:117], v[116:117], v[154:155]
	buffer_store_dword v117, off, s[0:3], 0 offset:276
	buffer_store_dword v116, off, s[0:3], 0 offset:272
.LBB120_216:
	s_or_b64 exec, exec, s[10:11]
	buffer_load_dword v116, off, s[0:3], 0 offset:264
	buffer_load_dword v117, off, s[0:3], 0 offset:268
	v_cmp_lt_u32_e64 s[4:5], 33, v0
	s_waitcnt vmcnt(0)
	ds_write_b64 v118, v[116:117]
	s_waitcnt lgkmcnt(0)
	; wave barrier
	s_waitcnt lgkmcnt(0)
	s_and_saveexec_b64 s[10:11], s[4:5]
	s_cbranch_execz .LBB120_226
; %bb.217:
	s_andn2_b64 vcc, exec, s[8:9]
	s_cbranch_vccnz .LBB120_219
; %bb.218:
	buffer_load_dword v116, v119, s[0:3], 0 offen
	buffer_load_dword v117, v119, s[0:3], 0 offen offset:4
	ds_read_b64 v[154:155], v118
	s_waitcnt vmcnt(0) lgkmcnt(0)
	v_mul_f64 v[116:117], v[116:117], v[154:155]
	s_cbranch_execz .LBB120_220
	s_branch .LBB120_221
.LBB120_219:
                                        ; implicit-def: $vgpr116_vgpr117
.LBB120_220:
	ds_read_b64 v[116:117], v118
.LBB120_221:
	s_and_saveexec_b64 s[12:13], s[6:7]
	s_cbranch_execz .LBB120_225
; %bb.222:
	v_subrev_u32_e32 v154, 34, v0
	s_movk_i32 s14, 0x2e0
	s_mov_b64 s[6:7], 0
.LBB120_223:                            ; =>This Inner Loop Header: Depth=1
	buffer_load_dword v156, v153, s[0:3], 0 offen
	buffer_load_dword v157, v153, s[0:3], 0 offen offset:4
	v_mov_b32_e32 v155, s14
	ds_read_b64 v[158:159], v155
	v_add_u32_e32 v154, -1, v154
	s_add_i32 s14, s14, 8
	v_cmp_eq_u32_e32 vcc, 0, v154
	v_add_u32_e32 v153, 8, v153
	s_or_b64 s[6:7], vcc, s[6:7]
	s_waitcnt vmcnt(0) lgkmcnt(0)
	v_fmac_f64_e32 v[116:117], v[156:157], v[158:159]
	s_andn2_b64 exec, exec, s[6:7]
	s_cbranch_execnz .LBB120_223
; %bb.224:
	s_or_b64 exec, exec, s[6:7]
.LBB120_225:
	s_or_b64 exec, exec, s[12:13]
	v_mov_b32_e32 v153, 0
	ds_read_b64 v[154:155], v153 offset:264
	s_waitcnt lgkmcnt(0)
	v_mul_f64 v[116:117], v[116:117], v[154:155]
	buffer_store_dword v117, off, s[0:3], 0 offset:268
	buffer_store_dword v116, off, s[0:3], 0 offset:264
.LBB120_226:
	s_or_b64 exec, exec, s[10:11]
	buffer_load_dword v116, off, s[0:3], 0 offset:256
	buffer_load_dword v117, off, s[0:3], 0 offset:260
	v_cmp_lt_u32_e64 s[6:7], 32, v0
	s_waitcnt vmcnt(0)
	ds_write_b64 v118, v[116:117]
	s_waitcnt lgkmcnt(0)
	; wave barrier
	s_waitcnt lgkmcnt(0)
	s_and_saveexec_b64 s[10:11], s[6:7]
	s_cbranch_execz .LBB120_236
; %bb.227:
	s_andn2_b64 vcc, exec, s[8:9]
	s_cbranch_vccnz .LBB120_229
; %bb.228:
	buffer_load_dword v116, v119, s[0:3], 0 offen
	buffer_load_dword v117, v119, s[0:3], 0 offen offset:4
	ds_read_b64 v[154:155], v118
	s_waitcnt vmcnt(0) lgkmcnt(0)
	v_mul_f64 v[116:117], v[116:117], v[154:155]
	s_cbranch_execz .LBB120_230
	s_branch .LBB120_231
.LBB120_229:
                                        ; implicit-def: $vgpr116_vgpr117
.LBB120_230:
	ds_read_b64 v[116:117], v118
.LBB120_231:
	s_and_saveexec_b64 s[12:13], s[4:5]
	s_cbranch_execz .LBB120_235
; %bb.232:
	v_subrev_u32_e32 v153, 33, v0
	s_movk_i32 s14, 0x2d8
	s_mov_b64 s[4:5], 0
.LBB120_233:                            ; =>This Inner Loop Header: Depth=1
	buffer_load_dword v154, v152, s[0:3], 0 offen
	buffer_load_dword v155, v152, s[0:3], 0 offen offset:4
	v_mov_b32_e32 v156, s14
	ds_read_b64 v[156:157], v156
	v_add_u32_e32 v153, -1, v153
	s_add_i32 s14, s14, 8
	v_cmp_eq_u32_e32 vcc, 0, v153
	v_add_u32_e32 v152, 8, v152
	s_or_b64 s[4:5], vcc, s[4:5]
	s_waitcnt vmcnt(0) lgkmcnt(0)
	v_fmac_f64_e32 v[116:117], v[154:155], v[156:157]
	s_andn2_b64 exec, exec, s[4:5]
	s_cbranch_execnz .LBB120_233
; %bb.234:
	s_or_b64 exec, exec, s[4:5]
.LBB120_235:
	s_or_b64 exec, exec, s[12:13]
	v_mov_b32_e32 v152, 0
	ds_read_b64 v[152:153], v152 offset:256
	s_waitcnt lgkmcnt(0)
	v_mul_f64 v[116:117], v[116:117], v[152:153]
	buffer_store_dword v117, off, s[0:3], 0 offset:260
	buffer_store_dword v116, off, s[0:3], 0 offset:256
.LBB120_236:
	s_or_b64 exec, exec, s[10:11]
	buffer_load_dword v116, off, s[0:3], 0 offset:248
	buffer_load_dword v117, off, s[0:3], 0 offset:252
	v_cmp_lt_u32_e64 s[4:5], 31, v0
	s_waitcnt vmcnt(0)
	ds_write_b64 v118, v[116:117]
	s_waitcnt lgkmcnt(0)
	; wave barrier
	s_waitcnt lgkmcnt(0)
	s_and_saveexec_b64 s[10:11], s[4:5]
	s_cbranch_execz .LBB120_246
; %bb.237:
	s_andn2_b64 vcc, exec, s[8:9]
	s_cbranch_vccnz .LBB120_239
; %bb.238:
	buffer_load_dword v116, v119, s[0:3], 0 offen
	buffer_load_dword v117, v119, s[0:3], 0 offen offset:4
	ds_read_b64 v[152:153], v118
	s_waitcnt vmcnt(0) lgkmcnt(0)
	v_mul_f64 v[116:117], v[116:117], v[152:153]
	s_cbranch_execz .LBB120_240
	s_branch .LBB120_241
.LBB120_239:
                                        ; implicit-def: $vgpr116_vgpr117
.LBB120_240:
	ds_read_b64 v[116:117], v118
.LBB120_241:
	s_and_saveexec_b64 s[12:13], s[6:7]
	s_cbranch_execz .LBB120_245
; %bb.242:
	v_subrev_u32_e32 v152, 32, v0
	s_movk_i32 s14, 0x2d0
	s_mov_b64 s[6:7], 0
.LBB120_243:                            ; =>This Inner Loop Header: Depth=1
	buffer_load_dword v154, v151, s[0:3], 0 offen
	buffer_load_dword v155, v151, s[0:3], 0 offen offset:4
	v_mov_b32_e32 v153, s14
	ds_read_b64 v[156:157], v153
	v_add_u32_e32 v152, -1, v152
	s_add_i32 s14, s14, 8
	v_cmp_eq_u32_e32 vcc, 0, v152
	v_add_u32_e32 v151, 8, v151
	s_or_b64 s[6:7], vcc, s[6:7]
	s_waitcnt vmcnt(0) lgkmcnt(0)
	v_fmac_f64_e32 v[116:117], v[154:155], v[156:157]
	s_andn2_b64 exec, exec, s[6:7]
	s_cbranch_execnz .LBB120_243
; %bb.244:
	s_or_b64 exec, exec, s[6:7]
.LBB120_245:
	s_or_b64 exec, exec, s[12:13]
	v_mov_b32_e32 v151, 0
	ds_read_b64 v[152:153], v151 offset:248
	s_waitcnt lgkmcnt(0)
	v_mul_f64 v[116:117], v[116:117], v[152:153]
	buffer_store_dword v117, off, s[0:3], 0 offset:252
	buffer_store_dword v116, off, s[0:3], 0 offset:248
.LBB120_246:
	s_or_b64 exec, exec, s[10:11]
	buffer_load_dword v116, off, s[0:3], 0 offset:240
	buffer_load_dword v117, off, s[0:3], 0 offset:244
	v_cmp_lt_u32_e64 s[6:7], 30, v0
	s_waitcnt vmcnt(0)
	ds_write_b64 v118, v[116:117]
	s_waitcnt lgkmcnt(0)
	; wave barrier
	s_waitcnt lgkmcnt(0)
	s_and_saveexec_b64 s[10:11], s[6:7]
	s_cbranch_execz .LBB120_256
; %bb.247:
	s_andn2_b64 vcc, exec, s[8:9]
	s_cbranch_vccnz .LBB120_249
; %bb.248:
	buffer_load_dword v116, v119, s[0:3], 0 offen
	buffer_load_dword v117, v119, s[0:3], 0 offen offset:4
	ds_read_b64 v[152:153], v118
	s_waitcnt vmcnt(0) lgkmcnt(0)
	v_mul_f64 v[116:117], v[116:117], v[152:153]
	s_cbranch_execz .LBB120_250
	s_branch .LBB120_251
.LBB120_249:
                                        ; implicit-def: $vgpr116_vgpr117
.LBB120_250:
	ds_read_b64 v[116:117], v118
.LBB120_251:
	s_and_saveexec_b64 s[12:13], s[4:5]
	s_cbranch_execz .LBB120_255
; %bb.252:
	v_subrev_u32_e32 v151, 31, v0
	s_movk_i32 s14, 0x2c8
	s_mov_b64 s[4:5], 0
.LBB120_253:                            ; =>This Inner Loop Header: Depth=1
	buffer_load_dword v152, v150, s[0:3], 0 offen
	buffer_load_dword v153, v150, s[0:3], 0 offen offset:4
	v_mov_b32_e32 v154, s14
	ds_read_b64 v[154:155], v154
	v_add_u32_e32 v151, -1, v151
	s_add_i32 s14, s14, 8
	v_cmp_eq_u32_e32 vcc, 0, v151
	v_add_u32_e32 v150, 8, v150
	s_or_b64 s[4:5], vcc, s[4:5]
	s_waitcnt vmcnt(0) lgkmcnt(0)
	v_fmac_f64_e32 v[116:117], v[152:153], v[154:155]
	s_andn2_b64 exec, exec, s[4:5]
	s_cbranch_execnz .LBB120_253
; %bb.254:
	s_or_b64 exec, exec, s[4:5]
.LBB120_255:
	s_or_b64 exec, exec, s[12:13]
	v_mov_b32_e32 v150, 0
	ds_read_b64 v[150:151], v150 offset:240
	s_waitcnt lgkmcnt(0)
	v_mul_f64 v[116:117], v[116:117], v[150:151]
	buffer_store_dword v117, off, s[0:3], 0 offset:244
	buffer_store_dword v116, off, s[0:3], 0 offset:240
.LBB120_256:
	s_or_b64 exec, exec, s[10:11]
	buffer_load_dword v116, off, s[0:3], 0 offset:232
	buffer_load_dword v117, off, s[0:3], 0 offset:236
	v_cmp_lt_u32_e64 s[4:5], 29, v0
	s_waitcnt vmcnt(0)
	ds_write_b64 v118, v[116:117]
	s_waitcnt lgkmcnt(0)
	; wave barrier
	s_waitcnt lgkmcnt(0)
	s_and_saveexec_b64 s[10:11], s[4:5]
	s_cbranch_execz .LBB120_266
; %bb.257:
	s_andn2_b64 vcc, exec, s[8:9]
	s_cbranch_vccnz .LBB120_259
; %bb.258:
	buffer_load_dword v116, v119, s[0:3], 0 offen
	buffer_load_dword v117, v119, s[0:3], 0 offen offset:4
	ds_read_b64 v[150:151], v118
	s_waitcnt vmcnt(0) lgkmcnt(0)
	v_mul_f64 v[116:117], v[116:117], v[150:151]
	s_cbranch_execz .LBB120_260
	s_branch .LBB120_261
.LBB120_259:
                                        ; implicit-def: $vgpr116_vgpr117
.LBB120_260:
	ds_read_b64 v[116:117], v118
.LBB120_261:
	s_and_saveexec_b64 s[12:13], s[6:7]
	s_cbranch_execz .LBB120_265
; %bb.262:
	v_subrev_u32_e32 v150, 30, v0
	s_movk_i32 s14, 0x2c0
	s_mov_b64 s[6:7], 0
.LBB120_263:                            ; =>This Inner Loop Header: Depth=1
	buffer_load_dword v152, v149, s[0:3], 0 offen
	buffer_load_dword v153, v149, s[0:3], 0 offen offset:4
	v_mov_b32_e32 v151, s14
	ds_read_b64 v[154:155], v151
	v_add_u32_e32 v150, -1, v150
	s_add_i32 s14, s14, 8
	v_cmp_eq_u32_e32 vcc, 0, v150
	v_add_u32_e32 v149, 8, v149
	s_or_b64 s[6:7], vcc, s[6:7]
	s_waitcnt vmcnt(0) lgkmcnt(0)
	v_fmac_f64_e32 v[116:117], v[152:153], v[154:155]
	s_andn2_b64 exec, exec, s[6:7]
	s_cbranch_execnz .LBB120_263
; %bb.264:
	s_or_b64 exec, exec, s[6:7]
.LBB120_265:
	s_or_b64 exec, exec, s[12:13]
	v_mov_b32_e32 v149, 0
	ds_read_b64 v[150:151], v149 offset:232
	s_waitcnt lgkmcnt(0)
	v_mul_f64 v[116:117], v[116:117], v[150:151]
	buffer_store_dword v117, off, s[0:3], 0 offset:236
	buffer_store_dword v116, off, s[0:3], 0 offset:232
.LBB120_266:
	s_or_b64 exec, exec, s[10:11]
	buffer_load_dword v116, off, s[0:3], 0 offset:224
	buffer_load_dword v117, off, s[0:3], 0 offset:228
	v_cmp_lt_u32_e64 s[6:7], 28, v0
	s_waitcnt vmcnt(0)
	ds_write_b64 v118, v[116:117]
	s_waitcnt lgkmcnt(0)
	; wave barrier
	s_waitcnt lgkmcnt(0)
	s_and_saveexec_b64 s[10:11], s[6:7]
	s_cbranch_execz .LBB120_276
; %bb.267:
	s_andn2_b64 vcc, exec, s[8:9]
	s_cbranch_vccnz .LBB120_269
; %bb.268:
	buffer_load_dword v116, v119, s[0:3], 0 offen
	buffer_load_dword v117, v119, s[0:3], 0 offen offset:4
	ds_read_b64 v[150:151], v118
	s_waitcnt vmcnt(0) lgkmcnt(0)
	v_mul_f64 v[116:117], v[116:117], v[150:151]
	s_cbranch_execz .LBB120_270
	s_branch .LBB120_271
.LBB120_269:
                                        ; implicit-def: $vgpr116_vgpr117
.LBB120_270:
	ds_read_b64 v[116:117], v118
.LBB120_271:
	s_and_saveexec_b64 s[12:13], s[4:5]
	s_cbranch_execz .LBB120_275
; %bb.272:
	v_subrev_u32_e32 v149, 29, v0
	s_movk_i32 s14, 0x2b8
	s_mov_b64 s[4:5], 0
.LBB120_273:                            ; =>This Inner Loop Header: Depth=1
	buffer_load_dword v150, v148, s[0:3], 0 offen
	buffer_load_dword v151, v148, s[0:3], 0 offen offset:4
	v_mov_b32_e32 v152, s14
	ds_read_b64 v[152:153], v152
	v_add_u32_e32 v149, -1, v149
	s_add_i32 s14, s14, 8
	v_cmp_eq_u32_e32 vcc, 0, v149
	v_add_u32_e32 v148, 8, v148
	s_or_b64 s[4:5], vcc, s[4:5]
	s_waitcnt vmcnt(0) lgkmcnt(0)
	v_fmac_f64_e32 v[116:117], v[150:151], v[152:153]
	s_andn2_b64 exec, exec, s[4:5]
	s_cbranch_execnz .LBB120_273
; %bb.274:
	s_or_b64 exec, exec, s[4:5]
.LBB120_275:
	s_or_b64 exec, exec, s[12:13]
	v_mov_b32_e32 v148, 0
	ds_read_b64 v[148:149], v148 offset:224
	s_waitcnt lgkmcnt(0)
	v_mul_f64 v[116:117], v[116:117], v[148:149]
	buffer_store_dword v117, off, s[0:3], 0 offset:228
	buffer_store_dword v116, off, s[0:3], 0 offset:224
.LBB120_276:
	s_or_b64 exec, exec, s[10:11]
	buffer_load_dword v116, off, s[0:3], 0 offset:216
	buffer_load_dword v117, off, s[0:3], 0 offset:220
	v_cmp_lt_u32_e64 s[4:5], 27, v0
	s_waitcnt vmcnt(0)
	ds_write_b64 v118, v[116:117]
	s_waitcnt lgkmcnt(0)
	; wave barrier
	s_waitcnt lgkmcnt(0)
	s_and_saveexec_b64 s[10:11], s[4:5]
	s_cbranch_execz .LBB120_286
; %bb.277:
	s_andn2_b64 vcc, exec, s[8:9]
	s_cbranch_vccnz .LBB120_279
; %bb.278:
	buffer_load_dword v116, v119, s[0:3], 0 offen
	buffer_load_dword v117, v119, s[0:3], 0 offen offset:4
	ds_read_b64 v[148:149], v118
	s_waitcnt vmcnt(0) lgkmcnt(0)
	v_mul_f64 v[116:117], v[116:117], v[148:149]
	s_cbranch_execz .LBB120_280
	s_branch .LBB120_281
.LBB120_279:
                                        ; implicit-def: $vgpr116_vgpr117
.LBB120_280:
	ds_read_b64 v[116:117], v118
.LBB120_281:
	s_and_saveexec_b64 s[12:13], s[6:7]
	s_cbranch_execz .LBB120_285
; %bb.282:
	v_subrev_u32_e32 v148, 28, v0
	s_movk_i32 s14, 0x2b0
	s_mov_b64 s[6:7], 0
.LBB120_283:                            ; =>This Inner Loop Header: Depth=1
	buffer_load_dword v150, v147, s[0:3], 0 offen
	buffer_load_dword v151, v147, s[0:3], 0 offen offset:4
	v_mov_b32_e32 v149, s14
	ds_read_b64 v[152:153], v149
	v_add_u32_e32 v148, -1, v148
	s_add_i32 s14, s14, 8
	v_cmp_eq_u32_e32 vcc, 0, v148
	v_add_u32_e32 v147, 8, v147
	s_or_b64 s[6:7], vcc, s[6:7]
	s_waitcnt vmcnt(0) lgkmcnt(0)
	v_fmac_f64_e32 v[116:117], v[150:151], v[152:153]
	s_andn2_b64 exec, exec, s[6:7]
	s_cbranch_execnz .LBB120_283
; %bb.284:
	s_or_b64 exec, exec, s[6:7]
.LBB120_285:
	s_or_b64 exec, exec, s[12:13]
	v_mov_b32_e32 v147, 0
	ds_read_b64 v[148:149], v147 offset:216
	s_waitcnt lgkmcnt(0)
	v_mul_f64 v[116:117], v[116:117], v[148:149]
	buffer_store_dword v117, off, s[0:3], 0 offset:220
	buffer_store_dword v116, off, s[0:3], 0 offset:216
.LBB120_286:
	s_or_b64 exec, exec, s[10:11]
	buffer_load_dword v116, off, s[0:3], 0 offset:208
	buffer_load_dword v117, off, s[0:3], 0 offset:212
	v_cmp_lt_u32_e64 s[6:7], 26, v0
	s_waitcnt vmcnt(0)
	ds_write_b64 v118, v[116:117]
	s_waitcnt lgkmcnt(0)
	; wave barrier
	s_waitcnt lgkmcnt(0)
	s_and_saveexec_b64 s[10:11], s[6:7]
	s_cbranch_execz .LBB120_296
; %bb.287:
	s_andn2_b64 vcc, exec, s[8:9]
	s_cbranch_vccnz .LBB120_289
; %bb.288:
	buffer_load_dword v116, v119, s[0:3], 0 offen
	buffer_load_dword v117, v119, s[0:3], 0 offen offset:4
	ds_read_b64 v[148:149], v118
	s_waitcnt vmcnt(0) lgkmcnt(0)
	v_mul_f64 v[116:117], v[116:117], v[148:149]
	s_cbranch_execz .LBB120_290
	s_branch .LBB120_291
.LBB120_289:
                                        ; implicit-def: $vgpr116_vgpr117
.LBB120_290:
	ds_read_b64 v[116:117], v118
.LBB120_291:
	s_and_saveexec_b64 s[12:13], s[4:5]
	s_cbranch_execz .LBB120_295
; %bb.292:
	v_subrev_u32_e32 v147, 27, v0
	s_movk_i32 s14, 0x2a8
	s_mov_b64 s[4:5], 0
.LBB120_293:                            ; =>This Inner Loop Header: Depth=1
	buffer_load_dword v148, v146, s[0:3], 0 offen
	buffer_load_dword v149, v146, s[0:3], 0 offen offset:4
	v_mov_b32_e32 v150, s14
	ds_read_b64 v[150:151], v150
	v_add_u32_e32 v147, -1, v147
	s_add_i32 s14, s14, 8
	v_cmp_eq_u32_e32 vcc, 0, v147
	v_add_u32_e32 v146, 8, v146
	s_or_b64 s[4:5], vcc, s[4:5]
	s_waitcnt vmcnt(0) lgkmcnt(0)
	v_fmac_f64_e32 v[116:117], v[148:149], v[150:151]
	s_andn2_b64 exec, exec, s[4:5]
	s_cbranch_execnz .LBB120_293
; %bb.294:
	s_or_b64 exec, exec, s[4:5]
.LBB120_295:
	s_or_b64 exec, exec, s[12:13]
	v_mov_b32_e32 v146, 0
	ds_read_b64 v[146:147], v146 offset:208
	s_waitcnt lgkmcnt(0)
	v_mul_f64 v[116:117], v[116:117], v[146:147]
	buffer_store_dword v117, off, s[0:3], 0 offset:212
	buffer_store_dword v116, off, s[0:3], 0 offset:208
.LBB120_296:
	s_or_b64 exec, exec, s[10:11]
	buffer_load_dword v116, off, s[0:3], 0 offset:200
	buffer_load_dword v117, off, s[0:3], 0 offset:204
	v_cmp_lt_u32_e64 s[4:5], 25, v0
	s_waitcnt vmcnt(0)
	ds_write_b64 v118, v[116:117]
	s_waitcnt lgkmcnt(0)
	; wave barrier
	s_waitcnt lgkmcnt(0)
	s_and_saveexec_b64 s[10:11], s[4:5]
	s_cbranch_execz .LBB120_306
; %bb.297:
	s_andn2_b64 vcc, exec, s[8:9]
	s_cbranch_vccnz .LBB120_299
; %bb.298:
	buffer_load_dword v116, v119, s[0:3], 0 offen
	buffer_load_dword v117, v119, s[0:3], 0 offen offset:4
	ds_read_b64 v[146:147], v118
	s_waitcnt vmcnt(0) lgkmcnt(0)
	v_mul_f64 v[116:117], v[116:117], v[146:147]
	s_cbranch_execz .LBB120_300
	s_branch .LBB120_301
.LBB120_299:
                                        ; implicit-def: $vgpr116_vgpr117
.LBB120_300:
	ds_read_b64 v[116:117], v118
.LBB120_301:
	s_and_saveexec_b64 s[12:13], s[6:7]
	s_cbranch_execz .LBB120_305
; %bb.302:
	v_subrev_u32_e32 v146, 26, v0
	s_movk_i32 s14, 0x2a0
	s_mov_b64 s[6:7], 0
.LBB120_303:                            ; =>This Inner Loop Header: Depth=1
	buffer_load_dword v148, v145, s[0:3], 0 offen
	buffer_load_dword v149, v145, s[0:3], 0 offen offset:4
	v_mov_b32_e32 v147, s14
	ds_read_b64 v[150:151], v147
	v_add_u32_e32 v146, -1, v146
	s_add_i32 s14, s14, 8
	v_cmp_eq_u32_e32 vcc, 0, v146
	v_add_u32_e32 v145, 8, v145
	s_or_b64 s[6:7], vcc, s[6:7]
	s_waitcnt vmcnt(0) lgkmcnt(0)
	v_fmac_f64_e32 v[116:117], v[148:149], v[150:151]
	s_andn2_b64 exec, exec, s[6:7]
	s_cbranch_execnz .LBB120_303
; %bb.304:
	s_or_b64 exec, exec, s[6:7]
.LBB120_305:
	s_or_b64 exec, exec, s[12:13]
	v_mov_b32_e32 v145, 0
	ds_read_b64 v[146:147], v145 offset:200
	s_waitcnt lgkmcnt(0)
	v_mul_f64 v[116:117], v[116:117], v[146:147]
	buffer_store_dword v117, off, s[0:3], 0 offset:204
	buffer_store_dword v116, off, s[0:3], 0 offset:200
.LBB120_306:
	s_or_b64 exec, exec, s[10:11]
	buffer_load_dword v116, off, s[0:3], 0 offset:192
	buffer_load_dword v117, off, s[0:3], 0 offset:196
	v_cmp_lt_u32_e64 s[6:7], 24, v0
	s_waitcnt vmcnt(0)
	ds_write_b64 v118, v[116:117]
	s_waitcnt lgkmcnt(0)
	; wave barrier
	s_waitcnt lgkmcnt(0)
	s_and_saveexec_b64 s[10:11], s[6:7]
	s_cbranch_execz .LBB120_316
; %bb.307:
	s_andn2_b64 vcc, exec, s[8:9]
	s_cbranch_vccnz .LBB120_309
; %bb.308:
	buffer_load_dword v116, v119, s[0:3], 0 offen
	buffer_load_dword v117, v119, s[0:3], 0 offen offset:4
	ds_read_b64 v[146:147], v118
	s_waitcnt vmcnt(0) lgkmcnt(0)
	v_mul_f64 v[116:117], v[116:117], v[146:147]
	s_cbranch_execz .LBB120_310
	s_branch .LBB120_311
.LBB120_309:
                                        ; implicit-def: $vgpr116_vgpr117
.LBB120_310:
	ds_read_b64 v[116:117], v118
.LBB120_311:
	s_and_saveexec_b64 s[12:13], s[4:5]
	s_cbranch_execz .LBB120_315
; %bb.312:
	v_subrev_u32_e32 v145, 25, v0
	s_movk_i32 s14, 0x298
	s_mov_b64 s[4:5], 0
.LBB120_313:                            ; =>This Inner Loop Header: Depth=1
	buffer_load_dword v146, v144, s[0:3], 0 offen
	buffer_load_dword v147, v144, s[0:3], 0 offen offset:4
	v_mov_b32_e32 v148, s14
	ds_read_b64 v[148:149], v148
	v_add_u32_e32 v145, -1, v145
	s_add_i32 s14, s14, 8
	v_cmp_eq_u32_e32 vcc, 0, v145
	v_add_u32_e32 v144, 8, v144
	s_or_b64 s[4:5], vcc, s[4:5]
	s_waitcnt vmcnt(0) lgkmcnt(0)
	v_fmac_f64_e32 v[116:117], v[146:147], v[148:149]
	s_andn2_b64 exec, exec, s[4:5]
	s_cbranch_execnz .LBB120_313
; %bb.314:
	s_or_b64 exec, exec, s[4:5]
.LBB120_315:
	s_or_b64 exec, exec, s[12:13]
	v_mov_b32_e32 v144, 0
	ds_read_b64 v[144:145], v144 offset:192
	s_waitcnt lgkmcnt(0)
	v_mul_f64 v[116:117], v[116:117], v[144:145]
	buffer_store_dword v117, off, s[0:3], 0 offset:196
	buffer_store_dword v116, off, s[0:3], 0 offset:192
.LBB120_316:
	s_or_b64 exec, exec, s[10:11]
	buffer_load_dword v116, off, s[0:3], 0 offset:184
	buffer_load_dword v117, off, s[0:3], 0 offset:188
	v_cmp_lt_u32_e64 s[4:5], 23, v0
	s_waitcnt vmcnt(0)
	ds_write_b64 v118, v[116:117]
	s_waitcnt lgkmcnt(0)
	; wave barrier
	s_waitcnt lgkmcnt(0)
	s_and_saveexec_b64 s[10:11], s[4:5]
	s_cbranch_execz .LBB120_326
; %bb.317:
	s_andn2_b64 vcc, exec, s[8:9]
	s_cbranch_vccnz .LBB120_319
; %bb.318:
	buffer_load_dword v116, v119, s[0:3], 0 offen
	buffer_load_dword v117, v119, s[0:3], 0 offen offset:4
	ds_read_b64 v[144:145], v118
	s_waitcnt vmcnt(0) lgkmcnt(0)
	v_mul_f64 v[116:117], v[116:117], v[144:145]
	s_cbranch_execz .LBB120_320
	s_branch .LBB120_321
.LBB120_319:
                                        ; implicit-def: $vgpr116_vgpr117
.LBB120_320:
	ds_read_b64 v[116:117], v118
.LBB120_321:
	s_and_saveexec_b64 s[12:13], s[6:7]
	s_cbranch_execz .LBB120_325
; %bb.322:
	v_subrev_u32_e32 v144, 24, v0
	s_movk_i32 s14, 0x290
	s_mov_b64 s[6:7], 0
.LBB120_323:                            ; =>This Inner Loop Header: Depth=1
	buffer_load_dword v146, v143, s[0:3], 0 offen
	buffer_load_dword v147, v143, s[0:3], 0 offen offset:4
	v_mov_b32_e32 v145, s14
	ds_read_b64 v[148:149], v145
	v_add_u32_e32 v144, -1, v144
	s_add_i32 s14, s14, 8
	v_cmp_eq_u32_e32 vcc, 0, v144
	v_add_u32_e32 v143, 8, v143
	s_or_b64 s[6:7], vcc, s[6:7]
	s_waitcnt vmcnt(0) lgkmcnt(0)
	v_fmac_f64_e32 v[116:117], v[146:147], v[148:149]
	s_andn2_b64 exec, exec, s[6:7]
	s_cbranch_execnz .LBB120_323
; %bb.324:
	s_or_b64 exec, exec, s[6:7]
.LBB120_325:
	s_or_b64 exec, exec, s[12:13]
	v_mov_b32_e32 v143, 0
	ds_read_b64 v[144:145], v143 offset:184
	s_waitcnt lgkmcnt(0)
	v_mul_f64 v[116:117], v[116:117], v[144:145]
	buffer_store_dword v117, off, s[0:3], 0 offset:188
	buffer_store_dword v116, off, s[0:3], 0 offset:184
.LBB120_326:
	s_or_b64 exec, exec, s[10:11]
	buffer_load_dword v116, off, s[0:3], 0 offset:176
	buffer_load_dword v117, off, s[0:3], 0 offset:180
	v_cmp_lt_u32_e64 s[6:7], 22, v0
	s_waitcnt vmcnt(0)
	ds_write_b64 v118, v[116:117]
	s_waitcnt lgkmcnt(0)
	; wave barrier
	s_waitcnt lgkmcnt(0)
	s_and_saveexec_b64 s[10:11], s[6:7]
	s_cbranch_execz .LBB120_336
; %bb.327:
	s_andn2_b64 vcc, exec, s[8:9]
	s_cbranch_vccnz .LBB120_329
; %bb.328:
	buffer_load_dword v116, v119, s[0:3], 0 offen
	buffer_load_dword v117, v119, s[0:3], 0 offen offset:4
	ds_read_b64 v[144:145], v118
	s_waitcnt vmcnt(0) lgkmcnt(0)
	v_mul_f64 v[116:117], v[116:117], v[144:145]
	s_cbranch_execz .LBB120_330
	s_branch .LBB120_331
.LBB120_329:
                                        ; implicit-def: $vgpr116_vgpr117
.LBB120_330:
	ds_read_b64 v[116:117], v118
.LBB120_331:
	s_and_saveexec_b64 s[12:13], s[4:5]
	s_cbranch_execz .LBB120_335
; %bb.332:
	v_subrev_u32_e32 v143, 23, v0
	s_movk_i32 s14, 0x288
	s_mov_b64 s[4:5], 0
.LBB120_333:                            ; =>This Inner Loop Header: Depth=1
	buffer_load_dword v144, v142, s[0:3], 0 offen
	buffer_load_dword v145, v142, s[0:3], 0 offen offset:4
	v_mov_b32_e32 v146, s14
	ds_read_b64 v[146:147], v146
	v_add_u32_e32 v143, -1, v143
	s_add_i32 s14, s14, 8
	v_cmp_eq_u32_e32 vcc, 0, v143
	v_add_u32_e32 v142, 8, v142
	s_or_b64 s[4:5], vcc, s[4:5]
	s_waitcnt vmcnt(0) lgkmcnt(0)
	v_fmac_f64_e32 v[116:117], v[144:145], v[146:147]
	s_andn2_b64 exec, exec, s[4:5]
	s_cbranch_execnz .LBB120_333
; %bb.334:
	s_or_b64 exec, exec, s[4:5]
.LBB120_335:
	s_or_b64 exec, exec, s[12:13]
	v_mov_b32_e32 v142, 0
	ds_read_b64 v[142:143], v142 offset:176
	s_waitcnt lgkmcnt(0)
	v_mul_f64 v[116:117], v[116:117], v[142:143]
	buffer_store_dword v117, off, s[0:3], 0 offset:180
	buffer_store_dword v116, off, s[0:3], 0 offset:176
.LBB120_336:
	s_or_b64 exec, exec, s[10:11]
	buffer_load_dword v116, off, s[0:3], 0 offset:168
	buffer_load_dword v117, off, s[0:3], 0 offset:172
	v_cmp_lt_u32_e64 s[4:5], 21, v0
	s_waitcnt vmcnt(0)
	ds_write_b64 v118, v[116:117]
	s_waitcnt lgkmcnt(0)
	; wave barrier
	s_waitcnt lgkmcnt(0)
	s_and_saveexec_b64 s[10:11], s[4:5]
	s_cbranch_execz .LBB120_346
; %bb.337:
	s_andn2_b64 vcc, exec, s[8:9]
	s_cbranch_vccnz .LBB120_339
; %bb.338:
	buffer_load_dword v116, v119, s[0:3], 0 offen
	buffer_load_dword v117, v119, s[0:3], 0 offen offset:4
	ds_read_b64 v[142:143], v118
	s_waitcnt vmcnt(0) lgkmcnt(0)
	v_mul_f64 v[116:117], v[116:117], v[142:143]
	s_cbranch_execz .LBB120_340
	s_branch .LBB120_341
.LBB120_339:
                                        ; implicit-def: $vgpr116_vgpr117
.LBB120_340:
	ds_read_b64 v[116:117], v118
.LBB120_341:
	s_and_saveexec_b64 s[12:13], s[6:7]
	s_cbranch_execz .LBB120_345
; %bb.342:
	v_subrev_u32_e32 v142, 22, v0
	s_movk_i32 s14, 0x280
	s_mov_b64 s[6:7], 0
.LBB120_343:                            ; =>This Inner Loop Header: Depth=1
	buffer_load_dword v144, v141, s[0:3], 0 offen
	buffer_load_dword v145, v141, s[0:3], 0 offen offset:4
	v_mov_b32_e32 v143, s14
	ds_read_b64 v[146:147], v143
	v_add_u32_e32 v142, -1, v142
	s_add_i32 s14, s14, 8
	v_cmp_eq_u32_e32 vcc, 0, v142
	v_add_u32_e32 v141, 8, v141
	s_or_b64 s[6:7], vcc, s[6:7]
	s_waitcnt vmcnt(0) lgkmcnt(0)
	v_fmac_f64_e32 v[116:117], v[144:145], v[146:147]
	s_andn2_b64 exec, exec, s[6:7]
	s_cbranch_execnz .LBB120_343
; %bb.344:
	s_or_b64 exec, exec, s[6:7]
.LBB120_345:
	s_or_b64 exec, exec, s[12:13]
	v_mov_b32_e32 v141, 0
	ds_read_b64 v[142:143], v141 offset:168
	s_waitcnt lgkmcnt(0)
	v_mul_f64 v[116:117], v[116:117], v[142:143]
	buffer_store_dword v117, off, s[0:3], 0 offset:172
	buffer_store_dword v116, off, s[0:3], 0 offset:168
.LBB120_346:
	s_or_b64 exec, exec, s[10:11]
	buffer_load_dword v116, off, s[0:3], 0 offset:160
	buffer_load_dword v117, off, s[0:3], 0 offset:164
	v_cmp_lt_u32_e64 s[6:7], 20, v0
	s_waitcnt vmcnt(0)
	ds_write_b64 v118, v[116:117]
	s_waitcnt lgkmcnt(0)
	; wave barrier
	s_waitcnt lgkmcnt(0)
	s_and_saveexec_b64 s[10:11], s[6:7]
	s_cbranch_execz .LBB120_356
; %bb.347:
	s_andn2_b64 vcc, exec, s[8:9]
	s_cbranch_vccnz .LBB120_349
; %bb.348:
	buffer_load_dword v116, v119, s[0:3], 0 offen
	buffer_load_dword v117, v119, s[0:3], 0 offen offset:4
	ds_read_b64 v[142:143], v118
	s_waitcnt vmcnt(0) lgkmcnt(0)
	v_mul_f64 v[116:117], v[116:117], v[142:143]
	s_cbranch_execz .LBB120_350
	s_branch .LBB120_351
.LBB120_349:
                                        ; implicit-def: $vgpr116_vgpr117
.LBB120_350:
	ds_read_b64 v[116:117], v118
.LBB120_351:
	s_and_saveexec_b64 s[12:13], s[4:5]
	s_cbranch_execz .LBB120_355
; %bb.352:
	v_subrev_u32_e32 v141, 21, v0
	s_movk_i32 s14, 0x278
	s_mov_b64 s[4:5], 0
.LBB120_353:                            ; =>This Inner Loop Header: Depth=1
	buffer_load_dword v142, v140, s[0:3], 0 offen
	buffer_load_dword v143, v140, s[0:3], 0 offen offset:4
	v_mov_b32_e32 v144, s14
	ds_read_b64 v[144:145], v144
	v_add_u32_e32 v141, -1, v141
	s_add_i32 s14, s14, 8
	v_cmp_eq_u32_e32 vcc, 0, v141
	v_add_u32_e32 v140, 8, v140
	s_or_b64 s[4:5], vcc, s[4:5]
	s_waitcnt vmcnt(0) lgkmcnt(0)
	v_fmac_f64_e32 v[116:117], v[142:143], v[144:145]
	s_andn2_b64 exec, exec, s[4:5]
	s_cbranch_execnz .LBB120_353
; %bb.354:
	s_or_b64 exec, exec, s[4:5]
.LBB120_355:
	s_or_b64 exec, exec, s[12:13]
	v_mov_b32_e32 v140, 0
	ds_read_b64 v[140:141], v140 offset:160
	s_waitcnt lgkmcnt(0)
	v_mul_f64 v[116:117], v[116:117], v[140:141]
	buffer_store_dword v117, off, s[0:3], 0 offset:164
	buffer_store_dword v116, off, s[0:3], 0 offset:160
.LBB120_356:
	s_or_b64 exec, exec, s[10:11]
	buffer_load_dword v116, off, s[0:3], 0 offset:152
	buffer_load_dword v117, off, s[0:3], 0 offset:156
	v_cmp_lt_u32_e64 s[4:5], 19, v0
	s_waitcnt vmcnt(0)
	ds_write_b64 v118, v[116:117]
	s_waitcnt lgkmcnt(0)
	; wave barrier
	s_waitcnt lgkmcnt(0)
	s_and_saveexec_b64 s[10:11], s[4:5]
	s_cbranch_execz .LBB120_366
; %bb.357:
	s_andn2_b64 vcc, exec, s[8:9]
	s_cbranch_vccnz .LBB120_359
; %bb.358:
	buffer_load_dword v116, v119, s[0:3], 0 offen
	buffer_load_dword v117, v119, s[0:3], 0 offen offset:4
	ds_read_b64 v[140:141], v118
	s_waitcnt vmcnt(0) lgkmcnt(0)
	v_mul_f64 v[116:117], v[116:117], v[140:141]
	s_cbranch_execz .LBB120_360
	s_branch .LBB120_361
.LBB120_359:
                                        ; implicit-def: $vgpr116_vgpr117
.LBB120_360:
	ds_read_b64 v[116:117], v118
.LBB120_361:
	s_and_saveexec_b64 s[12:13], s[6:7]
	s_cbranch_execz .LBB120_365
; %bb.362:
	v_subrev_u32_e32 v140, 20, v0
	s_movk_i32 s14, 0x270
	s_mov_b64 s[6:7], 0
.LBB120_363:                            ; =>This Inner Loop Header: Depth=1
	buffer_load_dword v142, v139, s[0:3], 0 offen
	buffer_load_dword v143, v139, s[0:3], 0 offen offset:4
	v_mov_b32_e32 v141, s14
	ds_read_b64 v[144:145], v141
	v_add_u32_e32 v140, -1, v140
	s_add_i32 s14, s14, 8
	v_cmp_eq_u32_e32 vcc, 0, v140
	v_add_u32_e32 v139, 8, v139
	s_or_b64 s[6:7], vcc, s[6:7]
	s_waitcnt vmcnt(0) lgkmcnt(0)
	v_fmac_f64_e32 v[116:117], v[142:143], v[144:145]
	s_andn2_b64 exec, exec, s[6:7]
	s_cbranch_execnz .LBB120_363
; %bb.364:
	s_or_b64 exec, exec, s[6:7]
.LBB120_365:
	s_or_b64 exec, exec, s[12:13]
	v_mov_b32_e32 v139, 0
	ds_read_b64 v[140:141], v139 offset:152
	s_waitcnt lgkmcnt(0)
	v_mul_f64 v[116:117], v[116:117], v[140:141]
	buffer_store_dword v117, off, s[0:3], 0 offset:156
	buffer_store_dword v116, off, s[0:3], 0 offset:152
.LBB120_366:
	s_or_b64 exec, exec, s[10:11]
	buffer_load_dword v116, off, s[0:3], 0 offset:144
	buffer_load_dword v117, off, s[0:3], 0 offset:148
	v_cmp_lt_u32_e64 s[6:7], 18, v0
	s_waitcnt vmcnt(0)
	ds_write_b64 v118, v[116:117]
	s_waitcnt lgkmcnt(0)
	; wave barrier
	s_waitcnt lgkmcnt(0)
	s_and_saveexec_b64 s[10:11], s[6:7]
	s_cbranch_execz .LBB120_376
; %bb.367:
	s_andn2_b64 vcc, exec, s[8:9]
	s_cbranch_vccnz .LBB120_369
; %bb.368:
	buffer_load_dword v116, v119, s[0:3], 0 offen
	buffer_load_dword v117, v119, s[0:3], 0 offen offset:4
	ds_read_b64 v[140:141], v118
	s_waitcnt vmcnt(0) lgkmcnt(0)
	v_mul_f64 v[116:117], v[116:117], v[140:141]
	s_cbranch_execz .LBB120_370
	s_branch .LBB120_371
.LBB120_369:
                                        ; implicit-def: $vgpr116_vgpr117
.LBB120_370:
	ds_read_b64 v[116:117], v118
.LBB120_371:
	s_and_saveexec_b64 s[12:13], s[4:5]
	s_cbranch_execz .LBB120_375
; %bb.372:
	v_subrev_u32_e32 v139, 19, v0
	s_movk_i32 s14, 0x268
	s_mov_b64 s[4:5], 0
.LBB120_373:                            ; =>This Inner Loop Header: Depth=1
	buffer_load_dword v140, v138, s[0:3], 0 offen
	buffer_load_dword v141, v138, s[0:3], 0 offen offset:4
	v_mov_b32_e32 v142, s14
	ds_read_b64 v[142:143], v142
	v_add_u32_e32 v139, -1, v139
	s_add_i32 s14, s14, 8
	v_cmp_eq_u32_e32 vcc, 0, v139
	v_add_u32_e32 v138, 8, v138
	s_or_b64 s[4:5], vcc, s[4:5]
	s_waitcnt vmcnt(0) lgkmcnt(0)
	v_fmac_f64_e32 v[116:117], v[140:141], v[142:143]
	s_andn2_b64 exec, exec, s[4:5]
	s_cbranch_execnz .LBB120_373
; %bb.374:
	s_or_b64 exec, exec, s[4:5]
.LBB120_375:
	s_or_b64 exec, exec, s[12:13]
	v_mov_b32_e32 v138, 0
	ds_read_b64 v[138:139], v138 offset:144
	s_waitcnt lgkmcnt(0)
	v_mul_f64 v[116:117], v[116:117], v[138:139]
	buffer_store_dword v117, off, s[0:3], 0 offset:148
	buffer_store_dword v116, off, s[0:3], 0 offset:144
.LBB120_376:
	s_or_b64 exec, exec, s[10:11]
	buffer_load_dword v116, off, s[0:3], 0 offset:136
	buffer_load_dword v117, off, s[0:3], 0 offset:140
	v_cmp_lt_u32_e64 s[4:5], 17, v0
	s_waitcnt vmcnt(0)
	ds_write_b64 v118, v[116:117]
	s_waitcnt lgkmcnt(0)
	; wave barrier
	s_waitcnt lgkmcnt(0)
	s_and_saveexec_b64 s[10:11], s[4:5]
	s_cbranch_execz .LBB120_386
; %bb.377:
	s_andn2_b64 vcc, exec, s[8:9]
	s_cbranch_vccnz .LBB120_379
; %bb.378:
	buffer_load_dword v116, v119, s[0:3], 0 offen
	buffer_load_dword v117, v119, s[0:3], 0 offen offset:4
	ds_read_b64 v[138:139], v118
	s_waitcnt vmcnt(0) lgkmcnt(0)
	v_mul_f64 v[116:117], v[116:117], v[138:139]
	s_cbranch_execz .LBB120_380
	s_branch .LBB120_381
.LBB120_379:
                                        ; implicit-def: $vgpr116_vgpr117
.LBB120_380:
	ds_read_b64 v[116:117], v118
.LBB120_381:
	s_and_saveexec_b64 s[12:13], s[6:7]
	s_cbranch_execz .LBB120_385
; %bb.382:
	v_subrev_u32_e32 v138, 18, v0
	s_movk_i32 s14, 0x260
	s_mov_b64 s[6:7], 0
.LBB120_383:                            ; =>This Inner Loop Header: Depth=1
	buffer_load_dword v140, v137, s[0:3], 0 offen
	buffer_load_dword v141, v137, s[0:3], 0 offen offset:4
	v_mov_b32_e32 v139, s14
	ds_read_b64 v[142:143], v139
	v_add_u32_e32 v138, -1, v138
	s_add_i32 s14, s14, 8
	v_cmp_eq_u32_e32 vcc, 0, v138
	v_add_u32_e32 v137, 8, v137
	s_or_b64 s[6:7], vcc, s[6:7]
	s_waitcnt vmcnt(0) lgkmcnt(0)
	v_fmac_f64_e32 v[116:117], v[140:141], v[142:143]
	s_andn2_b64 exec, exec, s[6:7]
	s_cbranch_execnz .LBB120_383
; %bb.384:
	s_or_b64 exec, exec, s[6:7]
.LBB120_385:
	s_or_b64 exec, exec, s[12:13]
	v_mov_b32_e32 v137, 0
	ds_read_b64 v[138:139], v137 offset:136
	s_waitcnt lgkmcnt(0)
	v_mul_f64 v[116:117], v[116:117], v[138:139]
	buffer_store_dword v117, off, s[0:3], 0 offset:140
	buffer_store_dword v116, off, s[0:3], 0 offset:136
.LBB120_386:
	s_or_b64 exec, exec, s[10:11]
	buffer_load_dword v116, off, s[0:3], 0 offset:128
	buffer_load_dword v117, off, s[0:3], 0 offset:132
	v_cmp_lt_u32_e64 s[6:7], 16, v0
	s_waitcnt vmcnt(0)
	ds_write_b64 v118, v[116:117]
	s_waitcnt lgkmcnt(0)
	; wave barrier
	s_waitcnt lgkmcnt(0)
	s_and_saveexec_b64 s[10:11], s[6:7]
	s_cbranch_execz .LBB120_396
; %bb.387:
	s_andn2_b64 vcc, exec, s[8:9]
	s_cbranch_vccnz .LBB120_389
; %bb.388:
	buffer_load_dword v116, v119, s[0:3], 0 offen
	buffer_load_dword v117, v119, s[0:3], 0 offen offset:4
	ds_read_b64 v[138:139], v118
	s_waitcnt vmcnt(0) lgkmcnt(0)
	v_mul_f64 v[116:117], v[116:117], v[138:139]
	s_cbranch_execz .LBB120_390
	s_branch .LBB120_391
.LBB120_389:
                                        ; implicit-def: $vgpr116_vgpr117
.LBB120_390:
	ds_read_b64 v[116:117], v118
.LBB120_391:
	s_and_saveexec_b64 s[12:13], s[4:5]
	s_cbranch_execz .LBB120_395
; %bb.392:
	v_subrev_u32_e32 v137, 17, v0
	s_movk_i32 s14, 0x258
	s_mov_b64 s[4:5], 0
.LBB120_393:                            ; =>This Inner Loop Header: Depth=1
	buffer_load_dword v138, v136, s[0:3], 0 offen
	buffer_load_dword v139, v136, s[0:3], 0 offen offset:4
	v_mov_b32_e32 v140, s14
	ds_read_b64 v[140:141], v140
	v_add_u32_e32 v137, -1, v137
	s_add_i32 s14, s14, 8
	v_cmp_eq_u32_e32 vcc, 0, v137
	v_add_u32_e32 v136, 8, v136
	s_or_b64 s[4:5], vcc, s[4:5]
	s_waitcnt vmcnt(0) lgkmcnt(0)
	v_fmac_f64_e32 v[116:117], v[138:139], v[140:141]
	s_andn2_b64 exec, exec, s[4:5]
	s_cbranch_execnz .LBB120_393
; %bb.394:
	s_or_b64 exec, exec, s[4:5]
.LBB120_395:
	s_or_b64 exec, exec, s[12:13]
	v_mov_b32_e32 v136, 0
	ds_read_b64 v[136:137], v136 offset:128
	s_waitcnt lgkmcnt(0)
	v_mul_f64 v[116:117], v[116:117], v[136:137]
	buffer_store_dword v117, off, s[0:3], 0 offset:132
	buffer_store_dword v116, off, s[0:3], 0 offset:128
.LBB120_396:
	s_or_b64 exec, exec, s[10:11]
	buffer_load_dword v116, off, s[0:3], 0 offset:120
	buffer_load_dword v117, off, s[0:3], 0 offset:124
	v_cmp_lt_u32_e64 s[4:5], 15, v0
	s_waitcnt vmcnt(0)
	ds_write_b64 v118, v[116:117]
	s_waitcnt lgkmcnt(0)
	; wave barrier
	s_waitcnt lgkmcnt(0)
	s_and_saveexec_b64 s[10:11], s[4:5]
	s_cbranch_execz .LBB120_406
; %bb.397:
	s_andn2_b64 vcc, exec, s[8:9]
	s_cbranch_vccnz .LBB120_399
; %bb.398:
	buffer_load_dword v116, v119, s[0:3], 0 offen
	buffer_load_dword v117, v119, s[0:3], 0 offen offset:4
	ds_read_b64 v[136:137], v118
	s_waitcnt vmcnt(0) lgkmcnt(0)
	v_mul_f64 v[116:117], v[116:117], v[136:137]
	s_cbranch_execz .LBB120_400
	s_branch .LBB120_401
.LBB120_399:
                                        ; implicit-def: $vgpr116_vgpr117
.LBB120_400:
	ds_read_b64 v[116:117], v118
.LBB120_401:
	s_and_saveexec_b64 s[12:13], s[6:7]
	s_cbranch_execz .LBB120_405
; %bb.402:
	v_add_u32_e32 v136, -16, v0
	s_movk_i32 s14, 0x250
	s_mov_b64 s[6:7], 0
.LBB120_403:                            ; =>This Inner Loop Header: Depth=1
	buffer_load_dword v138, v135, s[0:3], 0 offen
	buffer_load_dword v139, v135, s[0:3], 0 offen offset:4
	v_mov_b32_e32 v137, s14
	ds_read_b64 v[140:141], v137
	v_add_u32_e32 v136, -1, v136
	s_add_i32 s14, s14, 8
	v_cmp_eq_u32_e32 vcc, 0, v136
	v_add_u32_e32 v135, 8, v135
	s_or_b64 s[6:7], vcc, s[6:7]
	s_waitcnt vmcnt(0) lgkmcnt(0)
	v_fmac_f64_e32 v[116:117], v[138:139], v[140:141]
	s_andn2_b64 exec, exec, s[6:7]
	s_cbranch_execnz .LBB120_403
; %bb.404:
	s_or_b64 exec, exec, s[6:7]
.LBB120_405:
	s_or_b64 exec, exec, s[12:13]
	v_mov_b32_e32 v135, 0
	ds_read_b64 v[136:137], v135 offset:120
	s_waitcnt lgkmcnt(0)
	v_mul_f64 v[116:117], v[116:117], v[136:137]
	buffer_store_dword v117, off, s[0:3], 0 offset:124
	buffer_store_dword v116, off, s[0:3], 0 offset:120
.LBB120_406:
	s_or_b64 exec, exec, s[10:11]
	buffer_load_dword v116, off, s[0:3], 0 offset:112
	buffer_load_dword v117, off, s[0:3], 0 offset:116
	v_cmp_lt_u32_e64 s[6:7], 14, v0
	s_waitcnt vmcnt(0)
	ds_write_b64 v118, v[116:117]
	s_waitcnt lgkmcnt(0)
	; wave barrier
	s_waitcnt lgkmcnt(0)
	s_and_saveexec_b64 s[10:11], s[6:7]
	s_cbranch_execz .LBB120_416
; %bb.407:
	s_andn2_b64 vcc, exec, s[8:9]
	s_cbranch_vccnz .LBB120_409
; %bb.408:
	buffer_load_dword v116, v119, s[0:3], 0 offen
	buffer_load_dword v117, v119, s[0:3], 0 offen offset:4
	ds_read_b64 v[136:137], v118
	s_waitcnt vmcnt(0) lgkmcnt(0)
	v_mul_f64 v[116:117], v[116:117], v[136:137]
	s_cbranch_execz .LBB120_410
	s_branch .LBB120_411
.LBB120_409:
                                        ; implicit-def: $vgpr116_vgpr117
.LBB120_410:
	ds_read_b64 v[116:117], v118
.LBB120_411:
	s_and_saveexec_b64 s[12:13], s[4:5]
	s_cbranch_execz .LBB120_415
; %bb.412:
	v_add_u32_e32 v135, -15, v0
	s_movk_i32 s14, 0x248
	s_mov_b64 s[4:5], 0
.LBB120_413:                            ; =>This Inner Loop Header: Depth=1
	buffer_load_dword v136, v134, s[0:3], 0 offen
	buffer_load_dword v137, v134, s[0:3], 0 offen offset:4
	v_mov_b32_e32 v138, s14
	ds_read_b64 v[138:139], v138
	v_add_u32_e32 v135, -1, v135
	s_add_i32 s14, s14, 8
	v_cmp_eq_u32_e32 vcc, 0, v135
	v_add_u32_e32 v134, 8, v134
	s_or_b64 s[4:5], vcc, s[4:5]
	s_waitcnt vmcnt(0) lgkmcnt(0)
	v_fmac_f64_e32 v[116:117], v[136:137], v[138:139]
	s_andn2_b64 exec, exec, s[4:5]
	s_cbranch_execnz .LBB120_413
; %bb.414:
	s_or_b64 exec, exec, s[4:5]
.LBB120_415:
	s_or_b64 exec, exec, s[12:13]
	v_mov_b32_e32 v134, 0
	ds_read_b64 v[134:135], v134 offset:112
	s_waitcnt lgkmcnt(0)
	v_mul_f64 v[116:117], v[116:117], v[134:135]
	buffer_store_dword v117, off, s[0:3], 0 offset:116
	buffer_store_dword v116, off, s[0:3], 0 offset:112
.LBB120_416:
	;; [unrolled: 58-line block ×15, first 2 shown]
	s_or_b64 exec, exec, s[10:11]
	buffer_load_dword v116, off, s[0:3], 0
	buffer_load_dword v117, off, s[0:3], 0 offset:4
	v_cmp_ne_u32_e32 vcc, 0, v0
	s_waitcnt vmcnt(0)
	ds_write_b64 v118, v[116:117]
	s_waitcnt lgkmcnt(0)
	; wave barrier
	s_waitcnt lgkmcnt(0)
	s_and_saveexec_b64 s[6:7], vcc
	s_cbranch_execz .LBB120_556
; %bb.547:
	s_andn2_b64 vcc, exec, s[8:9]
	s_cbranch_vccnz .LBB120_549
; %bb.548:
	buffer_load_dword v116, v119, s[0:3], 0 offen
	buffer_load_dword v117, v119, s[0:3], 0 offen offset:4
	ds_read_b64 v[122:123], v118
	s_waitcnt vmcnt(0) lgkmcnt(0)
	v_mul_f64 v[116:117], v[116:117], v[122:123]
	s_cbranch_execz .LBB120_550
	s_branch .LBB120_551
.LBB120_549:
                                        ; implicit-def: $vgpr116_vgpr117
.LBB120_550:
	ds_read_b64 v[116:117], v118
.LBB120_551:
	s_and_saveexec_b64 s[10:11], s[4:5]
	s_cbranch_execz .LBB120_555
; %bb.552:
	v_add_u32_e32 v121, -1, v0
	s_movk_i32 s12, 0x1d8
	s_mov_b64 s[4:5], 0
.LBB120_553:                            ; =>This Inner Loop Header: Depth=1
	buffer_load_dword v122, v120, s[0:3], 0 offen
	buffer_load_dword v123, v120, s[0:3], 0 offen offset:4
	v_mov_b32_e32 v124, s12
	ds_read_b64 v[124:125], v124
	v_add_u32_e32 v121, -1, v121
	s_add_i32 s12, s12, 8
	v_cmp_eq_u32_e32 vcc, 0, v121
	v_add_u32_e32 v120, 8, v120
	s_or_b64 s[4:5], vcc, s[4:5]
	s_waitcnt vmcnt(0) lgkmcnt(0)
	v_fmac_f64_e32 v[116:117], v[122:123], v[124:125]
	s_andn2_b64 exec, exec, s[4:5]
	s_cbranch_execnz .LBB120_553
; %bb.554:
	s_or_b64 exec, exec, s[4:5]
.LBB120_555:
	s_or_b64 exec, exec, s[10:11]
	v_mov_b32_e32 v120, 0
	ds_read_b64 v[120:121], v120
	s_waitcnt lgkmcnt(0)
	v_mul_f64 v[116:117], v[116:117], v[120:121]
	buffer_store_dword v117, off, s[0:3], 0 offset:4
	buffer_store_dword v116, off, s[0:3], 0
.LBB120_556:
	s_or_b64 exec, exec, s[6:7]
	s_mov_b64 s[4:5], 0
.LBB120_557:
	s_and_b64 vcc, exec, s[4:5]
	s_cbranch_vccz .LBB120_1111
; %bb.558:
	buffer_load_dword v116, off, s[0:3], 0 offset:8
	buffer_load_dword v117, off, s[0:3], 0 offset:12
	v_cmp_eq_u32_e64 s[6:7], 0, v0
	s_waitcnt vmcnt(0)
	ds_write_b64 v118, v[116:117]
	s_waitcnt lgkmcnt(0)
	; wave barrier
	s_waitcnt lgkmcnt(0)
	s_and_saveexec_b64 s[4:5], s[6:7]
	s_cbranch_execz .LBB120_564
; %bb.559:
	s_and_b64 vcc, exec, s[8:9]
	s_cbranch_vccz .LBB120_561
; %bb.560:
	buffer_load_dword v116, v119, s[0:3], 0 offen
	buffer_load_dword v117, v119, s[0:3], 0 offen offset:4
	ds_read_b64 v[120:121], v118
	s_waitcnt vmcnt(0) lgkmcnt(0)
	v_mul_f64 v[116:117], v[116:117], v[120:121]
	s_cbranch_execz .LBB120_562
	s_branch .LBB120_563
.LBB120_561:
                                        ; implicit-def: $vgpr116_vgpr117
.LBB120_562:
	ds_read_b64 v[116:117], v118
.LBB120_563:
	v_mov_b32_e32 v120, 0
	ds_read_b64 v[120:121], v120 offset:8
	s_waitcnt lgkmcnt(0)
	v_mul_f64 v[116:117], v[116:117], v[120:121]
	buffer_store_dword v117, off, s[0:3], 0 offset:12
	buffer_store_dword v116, off, s[0:3], 0 offset:8
.LBB120_564:
	s_or_b64 exec, exec, s[4:5]
	buffer_load_dword v116, off, s[0:3], 0 offset:16
	buffer_load_dword v117, off, s[0:3], 0 offset:20
	v_cndmask_b32_e64 v120, 0, 1, s[8:9]
	v_cmp_gt_u32_e32 vcc, 2, v0
	v_cmp_ne_u32_e64 s[4:5], 1, v120
	s_waitcnt vmcnt(0)
	ds_write_b64 v118, v[116:117]
	s_waitcnt lgkmcnt(0)
	; wave barrier
	s_waitcnt lgkmcnt(0)
	s_and_saveexec_b64 s[8:9], vcc
	s_cbranch_execz .LBB120_572
; %bb.565:
	s_and_b64 vcc, exec, s[4:5]
	s_cbranch_vccnz .LBB120_567
; %bb.566:
	buffer_load_dword v116, v119, s[0:3], 0 offen
	buffer_load_dword v117, v119, s[0:3], 0 offen offset:4
	ds_read_b64 v[120:121], v118
	s_waitcnt vmcnt(0) lgkmcnt(0)
	v_mul_f64 v[116:117], v[116:117], v[120:121]
	s_cbranch_execz .LBB120_568
	s_branch .LBB120_569
.LBB120_567:
                                        ; implicit-def: $vgpr116_vgpr117
.LBB120_568:
	ds_read_b64 v[116:117], v118
.LBB120_569:
	s_and_saveexec_b64 s[10:11], s[6:7]
	s_cbranch_execz .LBB120_571
; %bb.570:
	buffer_load_dword v120, v119, s[0:3], 0 offen offset:8
	buffer_load_dword v121, v119, s[0:3], 0 offen offset:12
	ds_read_b64 v[122:123], v118 offset:8
	s_waitcnt vmcnt(0) lgkmcnt(0)
	v_fmac_f64_e32 v[116:117], v[120:121], v[122:123]
.LBB120_571:
	s_or_b64 exec, exec, s[10:11]
	v_mov_b32_e32 v120, 0
	ds_read_b64 v[120:121], v120 offset:16
	s_waitcnt lgkmcnt(0)
	v_mul_f64 v[116:117], v[116:117], v[120:121]
	buffer_store_dword v117, off, s[0:3], 0 offset:20
	buffer_store_dword v116, off, s[0:3], 0 offset:16
.LBB120_572:
	s_or_b64 exec, exec, s[8:9]
	buffer_load_dword v116, off, s[0:3], 0 offset:24
	buffer_load_dword v117, off, s[0:3], 0 offset:28
	v_cmp_gt_u32_e32 vcc, 3, v0
	s_waitcnt vmcnt(0)
	ds_write_b64 v118, v[116:117]
	s_waitcnt lgkmcnt(0)
	; wave barrier
	s_waitcnt lgkmcnt(0)
	s_and_saveexec_b64 s[8:9], vcc
	s_cbranch_execz .LBB120_580
; %bb.573:
	s_and_b64 vcc, exec, s[4:5]
	s_cbranch_vccnz .LBB120_575
; %bb.574:
	buffer_load_dword v116, v119, s[0:3], 0 offen
	buffer_load_dword v117, v119, s[0:3], 0 offen offset:4
	ds_read_b64 v[120:121], v118
	s_waitcnt vmcnt(0) lgkmcnt(0)
	v_mul_f64 v[116:117], v[116:117], v[120:121]
	s_cbranch_execz .LBB120_576
	s_branch .LBB120_577
.LBB120_575:
                                        ; implicit-def: $vgpr116_vgpr117
.LBB120_576:
	ds_read_b64 v[116:117], v118
.LBB120_577:
	v_cmp_ne_u32_e32 vcc, 2, v0
	s_and_saveexec_b64 s[10:11], vcc
	s_cbranch_execz .LBB120_579
; %bb.578:
	buffer_load_dword v121, v119, s[0:3], 0 offen offset:12
	buffer_load_dword v122, off, s[0:3], 0 offset:16
	buffer_load_dword v120, v119, s[0:3], 0 offen offset:8
	buffer_load_dword v123, off, s[0:3], 0 offset:20
	v_mov_b32_e32 v126, 0
	ds_read_b64 v[124:125], v118 offset:8
	ds_read_b64 v[126:127], v126 offset:480
	s_waitcnt vmcnt(1) lgkmcnt(1)
	v_fmac_f64_e32 v[116:117], v[120:121], v[124:125]
	s_waitcnt vmcnt(0) lgkmcnt(0)
	v_fma_f64 v[120:121], v[122:123], v[126:127], v[116:117]
	v_cndmask_b32_e64 v117, v117, v121, s[6:7]
	v_cndmask_b32_e64 v116, v116, v120, s[6:7]
.LBB120_579:
	s_or_b64 exec, exec, s[10:11]
	v_mov_b32_e32 v120, 0
	ds_read_b64 v[120:121], v120 offset:24
	s_waitcnt lgkmcnt(0)
	v_mul_f64 v[116:117], v[116:117], v[120:121]
	buffer_store_dword v117, off, s[0:3], 0 offset:28
	buffer_store_dword v116, off, s[0:3], 0 offset:24
.LBB120_580:
	s_or_b64 exec, exec, s[8:9]
	buffer_load_dword v116, off, s[0:3], 0 offset:32
	buffer_load_dword v117, off, s[0:3], 0 offset:36
	v_cmp_gt_u32_e32 vcc, 4, v0
	s_waitcnt vmcnt(0)
	ds_write_b64 v118, v[116:117]
	s_waitcnt lgkmcnt(0)
	; wave barrier
	s_waitcnt lgkmcnt(0)
	s_and_saveexec_b64 s[6:7], vcc
	s_cbranch_execz .LBB120_590
; %bb.581:
	s_and_b64 vcc, exec, s[4:5]
	s_cbranch_vccnz .LBB120_583
; %bb.582:
	buffer_load_dword v116, v119, s[0:3], 0 offen
	buffer_load_dword v117, v119, s[0:3], 0 offen offset:4
	ds_read_b64 v[120:121], v118
	s_waitcnt vmcnt(0) lgkmcnt(0)
	v_mul_f64 v[116:117], v[116:117], v[120:121]
	s_cbranch_execz .LBB120_584
	s_branch .LBB120_585
.LBB120_583:
                                        ; implicit-def: $vgpr116_vgpr117
.LBB120_584:
	ds_read_b64 v[116:117], v118
.LBB120_585:
	v_cmp_ne_u32_e32 vcc, 3, v0
	s_and_saveexec_b64 s[8:9], vcc
	s_cbranch_execz .LBB120_589
; %bb.586:
	v_mov_b32_e32 v121, 0
	v_add_u32_e32 v120, 0x1d8, v1
	v_add3_u32 v121, v1, v121, 8
	s_mov_b64 s[10:11], 0
	v_mov_b32_e32 v122, v0
.LBB120_587:                            ; =>This Inner Loop Header: Depth=1
	buffer_load_dword v124, v121, s[0:3], 0 offen
	buffer_load_dword v125, v121, s[0:3], 0 offen offset:4
	ds_read_b64 v[126:127], v120
	v_add_u32_e32 v122, 1, v122
	v_cmp_lt_u32_e32 vcc, 2, v122
	v_add_u32_e32 v120, 8, v120
	v_add_u32_e32 v121, 8, v121
	s_or_b64 s[10:11], vcc, s[10:11]
	s_waitcnt vmcnt(0) lgkmcnt(0)
	v_fmac_f64_e32 v[116:117], v[124:125], v[126:127]
	s_andn2_b64 exec, exec, s[10:11]
	s_cbranch_execnz .LBB120_587
; %bb.588:
	s_or_b64 exec, exec, s[10:11]
.LBB120_589:
	s_or_b64 exec, exec, s[8:9]
	v_mov_b32_e32 v120, 0
	ds_read_b64 v[120:121], v120 offset:32
	s_waitcnt lgkmcnt(0)
	v_mul_f64 v[116:117], v[116:117], v[120:121]
	buffer_store_dword v117, off, s[0:3], 0 offset:36
	buffer_store_dword v116, off, s[0:3], 0 offset:32
.LBB120_590:
	s_or_b64 exec, exec, s[6:7]
	buffer_load_dword v116, off, s[0:3], 0 offset:40
	buffer_load_dword v117, off, s[0:3], 0 offset:44
	v_cmp_gt_u32_e32 vcc, 5, v0
	s_waitcnt vmcnt(0)
	ds_write_b64 v118, v[116:117]
	s_waitcnt lgkmcnt(0)
	; wave barrier
	s_waitcnt lgkmcnt(0)
	s_and_saveexec_b64 s[6:7], vcc
	s_cbranch_execz .LBB120_600
; %bb.591:
	s_and_b64 vcc, exec, s[4:5]
	s_cbranch_vccnz .LBB120_593
; %bb.592:
	buffer_load_dword v116, v119, s[0:3], 0 offen
	buffer_load_dword v117, v119, s[0:3], 0 offen offset:4
	ds_read_b64 v[120:121], v118
	s_waitcnt vmcnt(0) lgkmcnt(0)
	v_mul_f64 v[116:117], v[116:117], v[120:121]
	s_cbranch_execz .LBB120_594
	s_branch .LBB120_595
.LBB120_593:
                                        ; implicit-def: $vgpr116_vgpr117
.LBB120_594:
	ds_read_b64 v[116:117], v118
.LBB120_595:
	v_cmp_ne_u32_e32 vcc, 4, v0
	s_and_saveexec_b64 s[8:9], vcc
	s_cbranch_execz .LBB120_599
; %bb.596:
	v_mov_b32_e32 v121, 0
	v_add_u32_e32 v120, 0x1d8, v1
	v_add3_u32 v121, v1, v121, 8
	s_mov_b64 s[10:11], 0
	v_mov_b32_e32 v122, v0
.LBB120_597:                            ; =>This Inner Loop Header: Depth=1
	buffer_load_dword v124, v121, s[0:3], 0 offen
	buffer_load_dword v125, v121, s[0:3], 0 offen offset:4
	ds_read_b64 v[126:127], v120
	v_add_u32_e32 v122, 1, v122
	v_cmp_lt_u32_e32 vcc, 3, v122
	v_add_u32_e32 v120, 8, v120
	v_add_u32_e32 v121, 8, v121
	s_or_b64 s[10:11], vcc, s[10:11]
	s_waitcnt vmcnt(0) lgkmcnt(0)
	v_fmac_f64_e32 v[116:117], v[124:125], v[126:127]
	s_andn2_b64 exec, exec, s[10:11]
	s_cbranch_execnz .LBB120_597
; %bb.598:
	s_or_b64 exec, exec, s[10:11]
.LBB120_599:
	s_or_b64 exec, exec, s[8:9]
	v_mov_b32_e32 v120, 0
	ds_read_b64 v[120:121], v120 offset:40
	s_waitcnt lgkmcnt(0)
	v_mul_f64 v[116:117], v[116:117], v[120:121]
	buffer_store_dword v117, off, s[0:3], 0 offset:44
	buffer_store_dword v116, off, s[0:3], 0 offset:40
.LBB120_600:
	;; [unrolled: 60-line block ×42, first 2 shown]
	s_or_b64 exec, exec, s[6:7]
	buffer_load_dword v116, off, s[0:3], 0 offset:368
	buffer_load_dword v117, off, s[0:3], 0 offset:372
	v_cmp_gt_u32_e32 vcc, 46, v0
	s_waitcnt vmcnt(0)
	ds_write_b64 v118, v[116:117]
	s_waitcnt lgkmcnt(0)
	; wave barrier
	s_waitcnt lgkmcnt(0)
	s_and_saveexec_b64 s[6:7], vcc
	s_cbranch_execz .LBB120_1010
; %bb.1001:
	s_and_b64 vcc, exec, s[4:5]
	s_cbranch_vccnz .LBB120_1003
; %bb.1002:
	buffer_load_dword v116, v119, s[0:3], 0 offen
	buffer_load_dword v117, v119, s[0:3], 0 offen offset:4
	ds_read_b64 v[120:121], v118
	s_waitcnt vmcnt(0) lgkmcnt(0)
	v_mul_f64 v[116:117], v[116:117], v[120:121]
	s_cbranch_execz .LBB120_1004
	s_branch .LBB120_1005
.LBB120_1003:
                                        ; implicit-def: $vgpr116_vgpr117
.LBB120_1004:
	ds_read_b64 v[116:117], v118
.LBB120_1005:
	v_cmp_ne_u32_e32 vcc, 45, v0
	s_and_saveexec_b64 s[8:9], vcc
	s_cbranch_execz .LBB120_1009
; %bb.1006:
	v_mov_b32_e32 v121, 0
	v_add_u32_e32 v120, 0x1d8, v1
	v_add3_u32 v121, v1, v121, 8
	s_mov_b64 s[10:11], 0
	v_mov_b32_e32 v122, v0
.LBB120_1007:                           ; =>This Inner Loop Header: Depth=1
	buffer_load_dword v124, v121, s[0:3], 0 offen
	buffer_load_dword v125, v121, s[0:3], 0 offen offset:4
	ds_read_b64 v[126:127], v120
	v_add_u32_e32 v122, 1, v122
	v_cmp_lt_u32_e32 vcc, 44, v122
	v_add_u32_e32 v120, 8, v120
	v_add_u32_e32 v121, 8, v121
	s_or_b64 s[10:11], vcc, s[10:11]
	s_waitcnt vmcnt(0) lgkmcnt(0)
	v_fmac_f64_e32 v[116:117], v[124:125], v[126:127]
	s_andn2_b64 exec, exec, s[10:11]
	s_cbranch_execnz .LBB120_1007
; %bb.1008:
	s_or_b64 exec, exec, s[10:11]
.LBB120_1009:
	s_or_b64 exec, exec, s[8:9]
	v_mov_b32_e32 v120, 0
	ds_read_b64 v[120:121], v120 offset:368
	s_waitcnt lgkmcnt(0)
	v_mul_f64 v[116:117], v[116:117], v[120:121]
	buffer_store_dword v117, off, s[0:3], 0 offset:372
	buffer_store_dword v116, off, s[0:3], 0 offset:368
.LBB120_1010:
	s_or_b64 exec, exec, s[6:7]
	buffer_load_dword v116, off, s[0:3], 0 offset:376
	buffer_load_dword v117, off, s[0:3], 0 offset:380
	v_cmp_gt_u32_e32 vcc, 47, v0
	s_waitcnt vmcnt(0)
	ds_write_b64 v118, v[116:117]
	s_waitcnt lgkmcnt(0)
	; wave barrier
	s_waitcnt lgkmcnt(0)
	s_and_saveexec_b64 s[6:7], vcc
	s_cbranch_execz .LBB120_1020
; %bb.1011:
	s_and_b64 vcc, exec, s[4:5]
	s_cbranch_vccnz .LBB120_1013
; %bb.1012:
	buffer_load_dword v116, v119, s[0:3], 0 offen
	buffer_load_dword v117, v119, s[0:3], 0 offen offset:4
	ds_read_b64 v[120:121], v118
	s_waitcnt vmcnt(0) lgkmcnt(0)
	v_mul_f64 v[116:117], v[116:117], v[120:121]
	s_cbranch_execz .LBB120_1014
	s_branch .LBB120_1015
.LBB120_1013:
                                        ; implicit-def: $vgpr116_vgpr117
.LBB120_1014:
	ds_read_b64 v[116:117], v118
.LBB120_1015:
	v_cmp_ne_u32_e32 vcc, 46, v0
	s_and_saveexec_b64 s[8:9], vcc
	s_cbranch_execz .LBB120_1019
; %bb.1016:
	v_mov_b32_e32 v121, 0
	v_add_u32_e32 v120, 0x1d8, v1
	v_add3_u32 v121, v1, v121, 8
	s_mov_b64 s[10:11], 0
	v_mov_b32_e32 v122, v0
.LBB120_1017:                           ; =>This Inner Loop Header: Depth=1
	buffer_load_dword v124, v121, s[0:3], 0 offen
	buffer_load_dword v125, v121, s[0:3], 0 offen offset:4
	ds_read_b64 v[126:127], v120
	v_add_u32_e32 v122, 1, v122
	v_cmp_lt_u32_e32 vcc, 45, v122
	v_add_u32_e32 v120, 8, v120
	v_add_u32_e32 v121, 8, v121
	s_or_b64 s[10:11], vcc, s[10:11]
	s_waitcnt vmcnt(0) lgkmcnt(0)
	v_fmac_f64_e32 v[116:117], v[124:125], v[126:127]
	s_andn2_b64 exec, exec, s[10:11]
	s_cbranch_execnz .LBB120_1017
; %bb.1018:
	s_or_b64 exec, exec, s[10:11]
.LBB120_1019:
	s_or_b64 exec, exec, s[8:9]
	v_mov_b32_e32 v120, 0
	ds_read_b64 v[120:121], v120 offset:376
	s_waitcnt lgkmcnt(0)
	v_mul_f64 v[116:117], v[116:117], v[120:121]
	buffer_store_dword v117, off, s[0:3], 0 offset:380
	buffer_store_dword v116, off, s[0:3], 0 offset:376
.LBB120_1020:
	s_or_b64 exec, exec, s[6:7]
	buffer_load_dword v116, off, s[0:3], 0 offset:384
	buffer_load_dword v117, off, s[0:3], 0 offset:388
	v_cmp_gt_u32_e32 vcc, 48, v0
	s_waitcnt vmcnt(0)
	ds_write_b64 v118, v[116:117]
	s_waitcnt lgkmcnt(0)
	; wave barrier
	s_waitcnt lgkmcnt(0)
	s_and_saveexec_b64 s[6:7], vcc
	s_cbranch_execz .LBB120_1030
; %bb.1021:
	s_and_b64 vcc, exec, s[4:5]
	s_cbranch_vccnz .LBB120_1023
; %bb.1022:
	buffer_load_dword v116, v119, s[0:3], 0 offen
	buffer_load_dword v117, v119, s[0:3], 0 offen offset:4
	ds_read_b64 v[120:121], v118
	s_waitcnt vmcnt(0) lgkmcnt(0)
	v_mul_f64 v[116:117], v[116:117], v[120:121]
	s_cbranch_execz .LBB120_1024
	s_branch .LBB120_1025
.LBB120_1023:
                                        ; implicit-def: $vgpr116_vgpr117
.LBB120_1024:
	ds_read_b64 v[116:117], v118
.LBB120_1025:
	v_cmp_ne_u32_e32 vcc, 47, v0
	s_and_saveexec_b64 s[8:9], vcc
	s_cbranch_execz .LBB120_1029
; %bb.1026:
	v_mov_b32_e32 v121, 0
	v_add_u32_e32 v120, 0x1d8, v1
	v_add3_u32 v121, v1, v121, 8
	s_mov_b64 s[10:11], 0
	v_mov_b32_e32 v122, v0
.LBB120_1027:                           ; =>This Inner Loop Header: Depth=1
	buffer_load_dword v124, v121, s[0:3], 0 offen
	buffer_load_dword v125, v121, s[0:3], 0 offen offset:4
	ds_read_b64 v[126:127], v120
	v_add_u32_e32 v122, 1, v122
	v_cmp_lt_u32_e32 vcc, 46, v122
	v_add_u32_e32 v120, 8, v120
	v_add_u32_e32 v121, 8, v121
	s_or_b64 s[10:11], vcc, s[10:11]
	s_waitcnt vmcnt(0) lgkmcnt(0)
	v_fmac_f64_e32 v[116:117], v[124:125], v[126:127]
	s_andn2_b64 exec, exec, s[10:11]
	s_cbranch_execnz .LBB120_1027
; %bb.1028:
	s_or_b64 exec, exec, s[10:11]
.LBB120_1029:
	s_or_b64 exec, exec, s[8:9]
	v_mov_b32_e32 v120, 0
	ds_read_b64 v[120:121], v120 offset:384
	s_waitcnt lgkmcnt(0)
	v_mul_f64 v[116:117], v[116:117], v[120:121]
	buffer_store_dword v117, off, s[0:3], 0 offset:388
	buffer_store_dword v116, off, s[0:3], 0 offset:384
.LBB120_1030:
	s_or_b64 exec, exec, s[6:7]
	buffer_load_dword v116, off, s[0:3], 0 offset:392
	buffer_load_dword v117, off, s[0:3], 0 offset:396
	v_cmp_gt_u32_e32 vcc, 49, v0
	s_waitcnt vmcnt(0)
	ds_write_b64 v118, v[116:117]
	s_waitcnt lgkmcnt(0)
	; wave barrier
	s_waitcnt lgkmcnt(0)
	s_and_saveexec_b64 s[6:7], vcc
	s_cbranch_execz .LBB120_1040
; %bb.1031:
	s_and_b64 vcc, exec, s[4:5]
	s_cbranch_vccnz .LBB120_1033
; %bb.1032:
	buffer_load_dword v116, v119, s[0:3], 0 offen
	buffer_load_dword v117, v119, s[0:3], 0 offen offset:4
	ds_read_b64 v[120:121], v118
	s_waitcnt vmcnt(0) lgkmcnt(0)
	v_mul_f64 v[116:117], v[116:117], v[120:121]
	s_cbranch_execz .LBB120_1034
	s_branch .LBB120_1035
.LBB120_1033:
                                        ; implicit-def: $vgpr116_vgpr117
.LBB120_1034:
	ds_read_b64 v[116:117], v118
.LBB120_1035:
	v_cmp_ne_u32_e32 vcc, 48, v0
	s_and_saveexec_b64 s[8:9], vcc
	s_cbranch_execz .LBB120_1039
; %bb.1036:
	v_mov_b32_e32 v121, 0
	v_add_u32_e32 v120, 0x1d8, v1
	v_add3_u32 v121, v1, v121, 8
	s_mov_b64 s[10:11], 0
	v_mov_b32_e32 v122, v0
.LBB120_1037:                           ; =>This Inner Loop Header: Depth=1
	buffer_load_dword v124, v121, s[0:3], 0 offen
	buffer_load_dword v125, v121, s[0:3], 0 offen offset:4
	ds_read_b64 v[126:127], v120
	v_add_u32_e32 v122, 1, v122
	v_cmp_lt_u32_e32 vcc, 47, v122
	v_add_u32_e32 v120, 8, v120
	v_add_u32_e32 v121, 8, v121
	s_or_b64 s[10:11], vcc, s[10:11]
	s_waitcnt vmcnt(0) lgkmcnt(0)
	v_fmac_f64_e32 v[116:117], v[124:125], v[126:127]
	s_andn2_b64 exec, exec, s[10:11]
	s_cbranch_execnz .LBB120_1037
; %bb.1038:
	s_or_b64 exec, exec, s[10:11]
.LBB120_1039:
	s_or_b64 exec, exec, s[8:9]
	v_mov_b32_e32 v120, 0
	ds_read_b64 v[120:121], v120 offset:392
	s_waitcnt lgkmcnt(0)
	v_mul_f64 v[116:117], v[116:117], v[120:121]
	buffer_store_dword v117, off, s[0:3], 0 offset:396
	buffer_store_dword v116, off, s[0:3], 0 offset:392
.LBB120_1040:
	s_or_b64 exec, exec, s[6:7]
	buffer_load_dword v116, off, s[0:3], 0 offset:400
	buffer_load_dword v117, off, s[0:3], 0 offset:404
	v_cmp_gt_u32_e32 vcc, 50, v0
	s_waitcnt vmcnt(0)
	ds_write_b64 v118, v[116:117]
	s_waitcnt lgkmcnt(0)
	; wave barrier
	s_waitcnt lgkmcnt(0)
	s_and_saveexec_b64 s[6:7], vcc
	s_cbranch_execz .LBB120_1050
; %bb.1041:
	s_and_b64 vcc, exec, s[4:5]
	s_cbranch_vccnz .LBB120_1043
; %bb.1042:
	buffer_load_dword v116, v119, s[0:3], 0 offen
	buffer_load_dword v117, v119, s[0:3], 0 offen offset:4
	ds_read_b64 v[120:121], v118
	s_waitcnt vmcnt(0) lgkmcnt(0)
	v_mul_f64 v[116:117], v[116:117], v[120:121]
	s_cbranch_execz .LBB120_1044
	s_branch .LBB120_1045
.LBB120_1043:
                                        ; implicit-def: $vgpr116_vgpr117
.LBB120_1044:
	ds_read_b64 v[116:117], v118
.LBB120_1045:
	v_cmp_ne_u32_e32 vcc, 49, v0
	s_and_saveexec_b64 s[8:9], vcc
	s_cbranch_execz .LBB120_1049
; %bb.1046:
	v_mov_b32_e32 v121, 0
	v_add_u32_e32 v120, 0x1d8, v1
	v_add3_u32 v121, v1, v121, 8
	s_mov_b64 s[10:11], 0
	v_mov_b32_e32 v122, v0
.LBB120_1047:                           ; =>This Inner Loop Header: Depth=1
	buffer_load_dword v124, v121, s[0:3], 0 offen
	buffer_load_dword v125, v121, s[0:3], 0 offen offset:4
	ds_read_b64 v[126:127], v120
	v_add_u32_e32 v122, 1, v122
	v_cmp_lt_u32_e32 vcc, 48, v122
	v_add_u32_e32 v120, 8, v120
	v_add_u32_e32 v121, 8, v121
	s_or_b64 s[10:11], vcc, s[10:11]
	s_waitcnt vmcnt(0) lgkmcnt(0)
	v_fmac_f64_e32 v[116:117], v[124:125], v[126:127]
	s_andn2_b64 exec, exec, s[10:11]
	s_cbranch_execnz .LBB120_1047
; %bb.1048:
	s_or_b64 exec, exec, s[10:11]
.LBB120_1049:
	s_or_b64 exec, exec, s[8:9]
	v_mov_b32_e32 v120, 0
	ds_read_b64 v[120:121], v120 offset:400
	s_waitcnt lgkmcnt(0)
	v_mul_f64 v[116:117], v[116:117], v[120:121]
	buffer_store_dword v117, off, s[0:3], 0 offset:404
	buffer_store_dword v116, off, s[0:3], 0 offset:400
.LBB120_1050:
	s_or_b64 exec, exec, s[6:7]
	buffer_load_dword v116, off, s[0:3], 0 offset:408
	buffer_load_dword v117, off, s[0:3], 0 offset:412
	v_cmp_gt_u32_e32 vcc, 51, v0
	s_waitcnt vmcnt(0)
	ds_write_b64 v118, v[116:117]
	s_waitcnt lgkmcnt(0)
	; wave barrier
	s_waitcnt lgkmcnt(0)
	s_and_saveexec_b64 s[6:7], vcc
	s_cbranch_execz .LBB120_1060
; %bb.1051:
	s_and_b64 vcc, exec, s[4:5]
	s_cbranch_vccnz .LBB120_1053
; %bb.1052:
	buffer_load_dword v116, v119, s[0:3], 0 offen
	buffer_load_dword v117, v119, s[0:3], 0 offen offset:4
	ds_read_b64 v[120:121], v118
	s_waitcnt vmcnt(0) lgkmcnt(0)
	v_mul_f64 v[116:117], v[116:117], v[120:121]
	s_cbranch_execz .LBB120_1054
	s_branch .LBB120_1055
.LBB120_1053:
                                        ; implicit-def: $vgpr116_vgpr117
.LBB120_1054:
	ds_read_b64 v[116:117], v118
.LBB120_1055:
	v_cmp_ne_u32_e32 vcc, 50, v0
	s_and_saveexec_b64 s[8:9], vcc
	s_cbranch_execz .LBB120_1059
; %bb.1056:
	v_mov_b32_e32 v121, 0
	v_add_u32_e32 v120, 0x1d8, v1
	v_add3_u32 v121, v1, v121, 8
	s_mov_b64 s[10:11], 0
	v_mov_b32_e32 v122, v0
.LBB120_1057:                           ; =>This Inner Loop Header: Depth=1
	buffer_load_dword v124, v121, s[0:3], 0 offen
	buffer_load_dword v125, v121, s[0:3], 0 offen offset:4
	ds_read_b64 v[126:127], v120
	v_add_u32_e32 v122, 1, v122
	v_cmp_lt_u32_e32 vcc, 49, v122
	v_add_u32_e32 v120, 8, v120
	v_add_u32_e32 v121, 8, v121
	s_or_b64 s[10:11], vcc, s[10:11]
	s_waitcnt vmcnt(0) lgkmcnt(0)
	v_fmac_f64_e32 v[116:117], v[124:125], v[126:127]
	s_andn2_b64 exec, exec, s[10:11]
	s_cbranch_execnz .LBB120_1057
; %bb.1058:
	s_or_b64 exec, exec, s[10:11]
.LBB120_1059:
	s_or_b64 exec, exec, s[8:9]
	v_mov_b32_e32 v120, 0
	ds_read_b64 v[120:121], v120 offset:408
	s_waitcnt lgkmcnt(0)
	v_mul_f64 v[116:117], v[116:117], v[120:121]
	buffer_store_dword v117, off, s[0:3], 0 offset:412
	buffer_store_dword v116, off, s[0:3], 0 offset:408
.LBB120_1060:
	s_or_b64 exec, exec, s[6:7]
	buffer_load_dword v116, off, s[0:3], 0 offset:416
	buffer_load_dword v117, off, s[0:3], 0 offset:420
	v_cmp_gt_u32_e32 vcc, 52, v0
	s_waitcnt vmcnt(0)
	ds_write_b64 v118, v[116:117]
	s_waitcnt lgkmcnt(0)
	; wave barrier
	s_waitcnt lgkmcnt(0)
	s_and_saveexec_b64 s[6:7], vcc
	s_cbranch_execz .LBB120_1070
; %bb.1061:
	s_and_b64 vcc, exec, s[4:5]
	s_cbranch_vccnz .LBB120_1063
; %bb.1062:
	buffer_load_dword v116, v119, s[0:3], 0 offen
	buffer_load_dword v117, v119, s[0:3], 0 offen offset:4
	ds_read_b64 v[120:121], v118
	s_waitcnt vmcnt(0) lgkmcnt(0)
	v_mul_f64 v[116:117], v[116:117], v[120:121]
	s_cbranch_execz .LBB120_1064
	s_branch .LBB120_1065
.LBB120_1063:
                                        ; implicit-def: $vgpr116_vgpr117
.LBB120_1064:
	ds_read_b64 v[116:117], v118
.LBB120_1065:
	v_cmp_ne_u32_e32 vcc, 51, v0
	s_and_saveexec_b64 s[8:9], vcc
	s_cbranch_execz .LBB120_1069
; %bb.1066:
	v_mov_b32_e32 v121, 0
	v_add_u32_e32 v120, 0x1d8, v1
	v_add3_u32 v121, v1, v121, 8
	s_mov_b64 s[10:11], 0
	v_mov_b32_e32 v122, v0
.LBB120_1067:                           ; =>This Inner Loop Header: Depth=1
	buffer_load_dword v124, v121, s[0:3], 0 offen
	buffer_load_dword v125, v121, s[0:3], 0 offen offset:4
	ds_read_b64 v[126:127], v120
	v_add_u32_e32 v122, 1, v122
	v_cmp_lt_u32_e32 vcc, 50, v122
	v_add_u32_e32 v120, 8, v120
	v_add_u32_e32 v121, 8, v121
	s_or_b64 s[10:11], vcc, s[10:11]
	s_waitcnt vmcnt(0) lgkmcnt(0)
	v_fmac_f64_e32 v[116:117], v[124:125], v[126:127]
	s_andn2_b64 exec, exec, s[10:11]
	s_cbranch_execnz .LBB120_1067
; %bb.1068:
	s_or_b64 exec, exec, s[10:11]
.LBB120_1069:
	s_or_b64 exec, exec, s[8:9]
	v_mov_b32_e32 v120, 0
	ds_read_b64 v[120:121], v120 offset:416
	s_waitcnt lgkmcnt(0)
	v_mul_f64 v[116:117], v[116:117], v[120:121]
	buffer_store_dword v117, off, s[0:3], 0 offset:420
	buffer_store_dword v116, off, s[0:3], 0 offset:416
.LBB120_1070:
	s_or_b64 exec, exec, s[6:7]
	buffer_load_dword v116, off, s[0:3], 0 offset:424
	buffer_load_dword v117, off, s[0:3], 0 offset:428
	v_cmp_gt_u32_e32 vcc, 53, v0
	s_waitcnt vmcnt(0)
	ds_write_b64 v118, v[116:117]
	s_waitcnt lgkmcnt(0)
	; wave barrier
	s_waitcnt lgkmcnt(0)
	s_and_saveexec_b64 s[6:7], vcc
	s_cbranch_execz .LBB120_1080
; %bb.1071:
	s_and_b64 vcc, exec, s[4:5]
	s_cbranch_vccnz .LBB120_1073
; %bb.1072:
	buffer_load_dword v116, v119, s[0:3], 0 offen
	buffer_load_dword v117, v119, s[0:3], 0 offen offset:4
	ds_read_b64 v[120:121], v118
	s_waitcnt vmcnt(0) lgkmcnt(0)
	v_mul_f64 v[116:117], v[116:117], v[120:121]
	s_cbranch_execz .LBB120_1074
	s_branch .LBB120_1075
.LBB120_1073:
                                        ; implicit-def: $vgpr116_vgpr117
.LBB120_1074:
	ds_read_b64 v[116:117], v118
.LBB120_1075:
	v_cmp_ne_u32_e32 vcc, 52, v0
	s_and_saveexec_b64 s[8:9], vcc
	s_cbranch_execz .LBB120_1079
; %bb.1076:
	v_mov_b32_e32 v121, 0
	v_add_u32_e32 v120, 0x1d8, v1
	v_add3_u32 v121, v1, v121, 8
	s_mov_b64 s[10:11], 0
	v_mov_b32_e32 v122, v0
.LBB120_1077:                           ; =>This Inner Loop Header: Depth=1
	buffer_load_dword v124, v121, s[0:3], 0 offen
	buffer_load_dword v125, v121, s[0:3], 0 offen offset:4
	ds_read_b64 v[126:127], v120
	v_add_u32_e32 v122, 1, v122
	v_cmp_lt_u32_e32 vcc, 51, v122
	v_add_u32_e32 v120, 8, v120
	v_add_u32_e32 v121, 8, v121
	s_or_b64 s[10:11], vcc, s[10:11]
	s_waitcnt vmcnt(0) lgkmcnt(0)
	v_fmac_f64_e32 v[116:117], v[124:125], v[126:127]
	s_andn2_b64 exec, exec, s[10:11]
	s_cbranch_execnz .LBB120_1077
; %bb.1078:
	s_or_b64 exec, exec, s[10:11]
.LBB120_1079:
	s_or_b64 exec, exec, s[8:9]
	v_mov_b32_e32 v120, 0
	ds_read_b64 v[120:121], v120 offset:424
	s_waitcnt lgkmcnt(0)
	v_mul_f64 v[116:117], v[116:117], v[120:121]
	buffer_store_dword v117, off, s[0:3], 0 offset:428
	buffer_store_dword v116, off, s[0:3], 0 offset:424
.LBB120_1080:
	s_or_b64 exec, exec, s[6:7]
	buffer_load_dword v116, off, s[0:3], 0 offset:432
	buffer_load_dword v117, off, s[0:3], 0 offset:436
	v_cmp_gt_u32_e32 vcc, 54, v0
	s_waitcnt vmcnt(0)
	ds_write_b64 v118, v[116:117]
	s_waitcnt lgkmcnt(0)
	; wave barrier
	s_waitcnt lgkmcnt(0)
	s_and_saveexec_b64 s[6:7], vcc
	s_cbranch_execz .LBB120_1090
; %bb.1081:
	s_and_b64 vcc, exec, s[4:5]
	s_cbranch_vccnz .LBB120_1083
; %bb.1082:
	buffer_load_dword v116, v119, s[0:3], 0 offen
	buffer_load_dword v117, v119, s[0:3], 0 offen offset:4
	ds_read_b64 v[120:121], v118
	s_waitcnt vmcnt(0) lgkmcnt(0)
	v_mul_f64 v[116:117], v[116:117], v[120:121]
	s_cbranch_execz .LBB120_1084
	s_branch .LBB120_1085
.LBB120_1083:
                                        ; implicit-def: $vgpr116_vgpr117
.LBB120_1084:
	ds_read_b64 v[116:117], v118
.LBB120_1085:
	v_cmp_ne_u32_e32 vcc, 53, v0
	s_and_saveexec_b64 s[8:9], vcc
	s_cbranch_execz .LBB120_1089
; %bb.1086:
	v_mov_b32_e32 v121, 0
	v_add_u32_e32 v120, 0x1d8, v1
	v_add3_u32 v121, v1, v121, 8
	s_mov_b64 s[10:11], 0
	v_mov_b32_e32 v122, v0
.LBB120_1087:                           ; =>This Inner Loop Header: Depth=1
	buffer_load_dword v124, v121, s[0:3], 0 offen
	buffer_load_dword v125, v121, s[0:3], 0 offen offset:4
	ds_read_b64 v[126:127], v120
	v_add_u32_e32 v122, 1, v122
	v_cmp_lt_u32_e32 vcc, 52, v122
	v_add_u32_e32 v120, 8, v120
	v_add_u32_e32 v121, 8, v121
	s_or_b64 s[10:11], vcc, s[10:11]
	s_waitcnt vmcnt(0) lgkmcnt(0)
	v_fmac_f64_e32 v[116:117], v[124:125], v[126:127]
	s_andn2_b64 exec, exec, s[10:11]
	s_cbranch_execnz .LBB120_1087
; %bb.1088:
	s_or_b64 exec, exec, s[10:11]
.LBB120_1089:
	s_or_b64 exec, exec, s[8:9]
	v_mov_b32_e32 v120, 0
	ds_read_b64 v[120:121], v120 offset:432
	s_waitcnt lgkmcnt(0)
	v_mul_f64 v[116:117], v[116:117], v[120:121]
	buffer_store_dword v117, off, s[0:3], 0 offset:436
	buffer_store_dword v116, off, s[0:3], 0 offset:432
.LBB120_1090:
	s_or_b64 exec, exec, s[6:7]
	buffer_load_dword v116, off, s[0:3], 0 offset:440
	buffer_load_dword v117, off, s[0:3], 0 offset:444
	v_cmp_gt_u32_e64 s[6:7], 55, v0
	s_waitcnt vmcnt(0)
	ds_write_b64 v118, v[116:117]
	s_waitcnt lgkmcnt(0)
	; wave barrier
	s_waitcnt lgkmcnt(0)
	s_and_saveexec_b64 s[8:9], s[6:7]
	s_cbranch_execz .LBB120_1100
; %bb.1091:
	s_and_b64 vcc, exec, s[4:5]
	s_cbranch_vccnz .LBB120_1093
; %bb.1092:
	buffer_load_dword v116, v119, s[0:3], 0 offen
	buffer_load_dword v117, v119, s[0:3], 0 offen offset:4
	ds_read_b64 v[120:121], v118
	s_waitcnt vmcnt(0) lgkmcnt(0)
	v_mul_f64 v[116:117], v[116:117], v[120:121]
	s_cbranch_execz .LBB120_1094
	s_branch .LBB120_1095
.LBB120_1093:
                                        ; implicit-def: $vgpr116_vgpr117
.LBB120_1094:
	ds_read_b64 v[116:117], v118
.LBB120_1095:
	v_cmp_ne_u32_e32 vcc, 54, v0
	s_and_saveexec_b64 s[10:11], vcc
	s_cbranch_execz .LBB120_1099
; %bb.1096:
	v_mov_b32_e32 v121, 0
	v_add_u32_e32 v120, 0x1d8, v1
	v_add3_u32 v121, v1, v121, 8
	s_mov_b64 s[12:13], 0
	v_mov_b32_e32 v122, v0
.LBB120_1097:                           ; =>This Inner Loop Header: Depth=1
	buffer_load_dword v124, v121, s[0:3], 0 offen
	buffer_load_dword v125, v121, s[0:3], 0 offen offset:4
	ds_read_b64 v[126:127], v120
	v_add_u32_e32 v122, 1, v122
	v_cmp_lt_u32_e32 vcc, 53, v122
	v_add_u32_e32 v120, 8, v120
	v_add_u32_e32 v121, 8, v121
	s_or_b64 s[12:13], vcc, s[12:13]
	s_waitcnt vmcnt(0) lgkmcnt(0)
	v_fmac_f64_e32 v[116:117], v[124:125], v[126:127]
	s_andn2_b64 exec, exec, s[12:13]
	s_cbranch_execnz .LBB120_1097
; %bb.1098:
	s_or_b64 exec, exec, s[12:13]
.LBB120_1099:
	s_or_b64 exec, exec, s[10:11]
	v_mov_b32_e32 v120, 0
	ds_read_b64 v[120:121], v120 offset:440
	s_waitcnt lgkmcnt(0)
	v_mul_f64 v[116:117], v[116:117], v[120:121]
	buffer_store_dword v117, off, s[0:3], 0 offset:444
	buffer_store_dword v116, off, s[0:3], 0 offset:440
.LBB120_1100:
	s_or_b64 exec, exec, s[8:9]
	buffer_load_dword v116, off, s[0:3], 0 offset:448
	buffer_load_dword v117, off, s[0:3], 0 offset:452
	v_cmp_ne_u32_e32 vcc, 56, v0
	s_waitcnt vmcnt(0)
	ds_write_b64 v118, v[116:117]
	s_waitcnt lgkmcnt(0)
	; wave barrier
	s_waitcnt lgkmcnt(0)
	s_and_saveexec_b64 s[8:9], vcc
	s_cbranch_execz .LBB120_1110
; %bb.1101:
	s_and_b64 vcc, exec, s[4:5]
	s_cbranch_vccnz .LBB120_1103
; %bb.1102:
	buffer_load_dword v116, v119, s[0:3], 0 offen
	buffer_load_dword v117, v119, s[0:3], 0 offen offset:4
	ds_read_b64 v[120:121], v118
	s_waitcnt vmcnt(0) lgkmcnt(0)
	v_mul_f64 v[116:117], v[116:117], v[120:121]
	s_cbranch_execz .LBB120_1104
	s_branch .LBB120_1105
.LBB120_1103:
                                        ; implicit-def: $vgpr116_vgpr117
.LBB120_1104:
	ds_read_b64 v[116:117], v118
.LBB120_1105:
	s_and_saveexec_b64 s[4:5], s[6:7]
	s_cbranch_execz .LBB120_1109
; %bb.1106:
	v_mov_b32_e32 v119, 0
	v_add_u32_e32 v118, 0x1d8, v1
	v_add3_u32 v1, v1, v119, 8
	s_mov_b64 s[6:7], 0
.LBB120_1107:                           ; =>This Inner Loop Header: Depth=1
	buffer_load_dword v120, v1, s[0:3], 0 offen
	buffer_load_dword v121, v1, s[0:3], 0 offen offset:4
	ds_read_b64 v[122:123], v118
	v_add_u32_e32 v0, 1, v0
	v_cmp_lt_u32_e32 vcc, 54, v0
	v_add_u32_e32 v118, 8, v118
	v_add_u32_e32 v1, 8, v1
	s_or_b64 s[6:7], vcc, s[6:7]
	s_waitcnt vmcnt(0) lgkmcnt(0)
	v_fmac_f64_e32 v[116:117], v[120:121], v[122:123]
	s_andn2_b64 exec, exec, s[6:7]
	s_cbranch_execnz .LBB120_1107
; %bb.1108:
	s_or_b64 exec, exec, s[6:7]
.LBB120_1109:
	s_or_b64 exec, exec, s[4:5]
	v_mov_b32_e32 v0, 0
	ds_read_b64 v[0:1], v0 offset:448
	s_waitcnt lgkmcnt(0)
	v_mul_f64 v[0:1], v[116:117], v[0:1]
	buffer_store_dword v1, off, s[0:3], 0 offset:452
	buffer_store_dword v0, off, s[0:3], 0 offset:448
.LBB120_1110:
	s_or_b64 exec, exec, s[8:9]
.LBB120_1111:
	buffer_load_dword v0, off, s[0:3], 0
	buffer_load_dword v1, off, s[0:3], 0 offset:4
	buffer_load_dword v116, off, s[0:3], 0 offset:8
	;; [unrolled: 1-line block ×113, first 2 shown]
	s_waitcnt vmcnt(62)
	global_store_dwordx2 v[104:105], v[0:1], off
	global_store_dwordx2 v[108:109], v[116:117], off
	;; [unrolled: 1-line block ×26, first 2 shown]
	s_waitcnt vmcnt(62)
	global_store_dwordx2 v[50:51], v[166:167], off
	global_store_dwordx2 v[52:53], v[168:169], off
	;; [unrolled: 1-line block ×13, first 2 shown]
	s_waitcnt vmcnt(62)
	global_store_dwordx2 v[76:77], v[192:193], off
	global_store_dwordx2 v[78:79], v[194:195], off
	;; [unrolled: 1-line block ×6, first 2 shown]
	s_waitcnt vmcnt(62)
	global_store_dwordx2 v[88:89], v[204:205], off
	global_store_dwordx2 v[90:91], v[206:207], off
	;; [unrolled: 1-line block ×3, first 2 shown]
	s_waitcnt vmcnt(62)
	global_store_dwordx2 v[94:95], v[210:211], off
	global_store_dwordx2 v[96:97], v[212:213], off
	s_waitcnt vmcnt(62)
	global_store_dwordx2 v[98:99], v[214:215], off
	s_waitcnt vmcnt(61)
	;; [unrolled: 2-line block ×7, first 2 shown]
	global_store_dwordx2 v[114:115], v[226:227], off
.LBB120_1112:
	s_endpgm
	.section	.rodata,"a",@progbits
	.p2align	6, 0x0
	.amdhsa_kernel _ZN9rocsolver6v33100L18trti2_kernel_smallILi57EdPKPdEEv13rocblas_fill_17rocblas_diagonal_T1_iil
		.amdhsa_group_segment_fixed_size 920
		.amdhsa_private_segment_fixed_size 464
		.amdhsa_kernarg_size 32
		.amdhsa_user_sgpr_count 8
		.amdhsa_user_sgpr_private_segment_buffer 1
		.amdhsa_user_sgpr_dispatch_ptr 0
		.amdhsa_user_sgpr_queue_ptr 0
		.amdhsa_user_sgpr_kernarg_segment_ptr 1
		.amdhsa_user_sgpr_dispatch_id 0
		.amdhsa_user_sgpr_flat_scratch_init 1
		.amdhsa_user_sgpr_kernarg_preload_length 0
		.amdhsa_user_sgpr_kernarg_preload_offset 0
		.amdhsa_user_sgpr_private_segment_size 0
		.amdhsa_uses_dynamic_stack 0
		.amdhsa_system_sgpr_private_segment_wavefront_offset 1
		.amdhsa_system_sgpr_workgroup_id_x 1
		.amdhsa_system_sgpr_workgroup_id_y 0
		.amdhsa_system_sgpr_workgroup_id_z 0
		.amdhsa_system_sgpr_workgroup_info 0
		.amdhsa_system_vgpr_workitem_id 0
		.amdhsa_next_free_vgpr 228
		.amdhsa_next_free_sgpr 16
		.amdhsa_accum_offset 228
		.amdhsa_reserve_vcc 1
		.amdhsa_reserve_flat_scratch 0
		.amdhsa_float_round_mode_32 0
		.amdhsa_float_round_mode_16_64 0
		.amdhsa_float_denorm_mode_32 3
		.amdhsa_float_denorm_mode_16_64 3
		.amdhsa_dx10_clamp 1
		.amdhsa_ieee_mode 1
		.amdhsa_fp16_overflow 0
		.amdhsa_tg_split 0
		.amdhsa_exception_fp_ieee_invalid_op 0
		.amdhsa_exception_fp_denorm_src 0
		.amdhsa_exception_fp_ieee_div_zero 0
		.amdhsa_exception_fp_ieee_overflow 0
		.amdhsa_exception_fp_ieee_underflow 0
		.amdhsa_exception_fp_ieee_inexact 0
		.amdhsa_exception_int_div_zero 0
	.end_amdhsa_kernel
	.section	.text._ZN9rocsolver6v33100L18trti2_kernel_smallILi57EdPKPdEEv13rocblas_fill_17rocblas_diagonal_T1_iil,"axG",@progbits,_ZN9rocsolver6v33100L18trti2_kernel_smallILi57EdPKPdEEv13rocblas_fill_17rocblas_diagonal_T1_iil,comdat
.Lfunc_end120:
	.size	_ZN9rocsolver6v33100L18trti2_kernel_smallILi57EdPKPdEEv13rocblas_fill_17rocblas_diagonal_T1_iil, .Lfunc_end120-_ZN9rocsolver6v33100L18trti2_kernel_smallILi57EdPKPdEEv13rocblas_fill_17rocblas_diagonal_T1_iil
                                        ; -- End function
	.section	.AMDGPU.csdata,"",@progbits
; Kernel info:
; codeLenInByte = 33112
; NumSgprs: 20
; NumVgprs: 228
; NumAgprs: 0
; TotalNumVgprs: 228
; ScratchSize: 464
; MemoryBound: 0
; FloatMode: 240
; IeeeMode: 1
; LDSByteSize: 920 bytes/workgroup (compile time only)
; SGPRBlocks: 2
; VGPRBlocks: 28
; NumSGPRsForWavesPerEU: 20
; NumVGPRsForWavesPerEU: 228
; AccumOffset: 228
; Occupancy: 2
; WaveLimiterHint : 1
; COMPUTE_PGM_RSRC2:SCRATCH_EN: 1
; COMPUTE_PGM_RSRC2:USER_SGPR: 8
; COMPUTE_PGM_RSRC2:TRAP_HANDLER: 0
; COMPUTE_PGM_RSRC2:TGID_X_EN: 1
; COMPUTE_PGM_RSRC2:TGID_Y_EN: 0
; COMPUTE_PGM_RSRC2:TGID_Z_EN: 0
; COMPUTE_PGM_RSRC2:TIDIG_COMP_CNT: 0
; COMPUTE_PGM_RSRC3_GFX90A:ACCUM_OFFSET: 56
; COMPUTE_PGM_RSRC3_GFX90A:TG_SPLIT: 0
	.section	.text._ZN9rocsolver6v33100L18trti2_kernel_smallILi58EdPKPdEEv13rocblas_fill_17rocblas_diagonal_T1_iil,"axG",@progbits,_ZN9rocsolver6v33100L18trti2_kernel_smallILi58EdPKPdEEv13rocblas_fill_17rocblas_diagonal_T1_iil,comdat
	.globl	_ZN9rocsolver6v33100L18trti2_kernel_smallILi58EdPKPdEEv13rocblas_fill_17rocblas_diagonal_T1_iil ; -- Begin function _ZN9rocsolver6v33100L18trti2_kernel_smallILi58EdPKPdEEv13rocblas_fill_17rocblas_diagonal_T1_iil
	.p2align	8
	.type	_ZN9rocsolver6v33100L18trti2_kernel_smallILi58EdPKPdEEv13rocblas_fill_17rocblas_diagonal_T1_iil,@function
_ZN9rocsolver6v33100L18trti2_kernel_smallILi58EdPKPdEEv13rocblas_fill_17rocblas_diagonal_T1_iil: ; @_ZN9rocsolver6v33100L18trti2_kernel_smallILi58EdPKPdEEv13rocblas_fill_17rocblas_diagonal_T1_iil
; %bb.0:
	s_add_u32 s0, s0, s9
	s_addc_u32 s1, s1, 0
	v_cmp_gt_u32_e32 vcc, 58, v0
	s_and_saveexec_b64 s[6:7], vcc
	s_cbranch_execz .LBB121_1132
; %bb.1:
	s_load_dwordx2 s[6:7], s[4:5], 0x10
	s_load_dwordx4 s[12:15], s[4:5], 0x0
	s_ashr_i32 s9, s8, 31
	s_lshl_b64 s[4:5], s[8:9], 3
	s_waitcnt lgkmcnt(0)
	s_ashr_i32 s9, s6, 31
	s_add_u32 s4, s14, s4
	s_addc_u32 s5, s15, s5
	s_load_dwordx2 s[4:5], s[4:5], 0x0
	s_mov_b32 s8, s6
	s_lshl_b64 s[8:9], s[8:9], 3
	s_waitcnt lgkmcnt(0)
	s_add_u32 s4, s4, s8
	s_addc_u32 s5, s5, s9
	s_add_i32 s6, s7, s7
	v_add_u32_e32 v4, s6, v0
	v_ashrrev_i32_e32 v5, 31, v4
	v_lshlrev_b64 v[2:3], 3, v[4:5]
	v_add_u32_e32 v6, s7, v4
	v_mov_b32_e32 v1, s5
	v_add_co_u32_e32 v2, vcc, s4, v2
	v_ashrrev_i32_e32 v7, 31, v6
	v_addc_co_u32_e32 v3, vcc, v1, v3, vcc
	v_lshlrev_b64 v[4:5], 3, v[6:7]
	v_add_u32_e32 v8, s7, v6
	v_add_co_u32_e32 v4, vcc, s4, v4
	v_ashrrev_i32_e32 v9, 31, v8
	v_addc_co_u32_e32 v5, vcc, v1, v5, vcc
	v_lshlrev_b64 v[6:7], 3, v[8:9]
	v_add_u32_e32 v10, s7, v8
	;; [unrolled: 5-line block ×47, first 2 shown]
	v_add_co_u32_e32 v96, vcc, s4, v96
	v_ashrrev_i32_e32 v101, 31, v100
	v_addc_co_u32_e32 v97, vcc, v1, v97, vcc
	v_lshlrev_b64 v[98:99], 3, v[100:101]
	v_add_co_u32_e32 v98, vcc, s4, v98
	v_addc_co_u32_e32 v99, vcc, v1, v99, vcc
	v_add_u32_e32 v102, s7, v100
	v_lshlrev_b32_e32 v1, 3, v0
	v_ashrrev_i32_e32 v103, 31, v102
	global_load_dwordx2 v[118:119], v1, s[4:5]
	v_lshlrev_b64 v[100:101], 3, v[102:103]
	v_mov_b32_e32 v103, s5
	v_add_co_u32_e32 v108, vcc, s4, v1
	s_ashr_i32 s9, s7, 31
	s_mov_b32 s8, s7
	v_addc_co_u32_e32 v109, vcc, 0, v103, vcc
	s_lshl_b64 s[8:9], s[8:9], 3
	v_mov_b32_e32 v103, s9
	v_add_co_u32_e32 v110, vcc, s8, v108
	v_addc_co_u32_e32 v111, vcc, v109, v103, vcc
	global_load_dwordx2 v[120:121], v[110:111], off
	global_load_dwordx2 v[122:123], v[2:3], off
	;; [unrolled: 1-line block ×10, first 2 shown]
	v_mov_b32_e32 v104, s5
	v_add_co_u32_e32 v100, vcc, s4, v100
	v_addc_co_u32_e32 v101, vcc, v104, v101, vcc
	v_add_u32_e32 v104, s7, v102
	v_ashrrev_i32_e32 v105, 31, v104
	v_lshlrev_b64 v[102:103], 3, v[104:105]
	v_mov_b32_e32 v106, s5
	v_add_co_u32_e32 v102, vcc, s4, v102
	global_load_dwordx2 v[140:141], v[20:21], off
	global_load_dwordx2 v[142:143], v[22:23], off
	;; [unrolled: 1-line block ×4, first 2 shown]
	v_addc_co_u32_e32 v103, vcc, v106, v103, vcc
	v_add_u32_e32 v106, s7, v104
	v_ashrrev_i32_e32 v107, 31, v106
	v_lshlrev_b64 v[104:105], 3, v[106:107]
	v_mov_b32_e32 v112, s5
	v_add_co_u32_e32 v104, vcc, s4, v104
	v_addc_co_u32_e32 v105, vcc, v112, v105, vcc
	v_add_u32_e32 v112, s7, v106
	v_ashrrev_i32_e32 v113, 31, v112
	v_lshlrev_b64 v[106:107], 3, v[112:113]
	v_mov_b32_e32 v114, s5
	v_add_co_u32_e32 v106, vcc, s4, v106
	;; [unrolled: 6-line block ×3, first 2 shown]
	v_addc_co_u32_e32 v113, vcc, v116, v113, vcc
	v_add_u32_e32 v116, s7, v114
	v_ashrrev_i32_e32 v117, 31, v116
	v_lshlrev_b64 v[114:115], 3, v[116:117]
	v_add_u32_e32 v116, s7, v116
	v_mov_b32_e32 v150, s5
	global_load_dwordx2 v[148:149], v[28:29], off
	v_add_co_u32_e32 v114, vcc, s4, v114
	v_ashrrev_i32_e32 v117, 31, v116
	v_addc_co_u32_e32 v115, vcc, v150, v115, vcc
	global_load_dwordx2 v[150:151], v[30:31], off
	global_load_dwordx2 v[152:153], v[32:33], off
	v_lshlrev_b64 v[116:117], 3, v[116:117]
	v_mov_b32_e32 v162, s5
	v_add_co_u32_e32 v116, vcc, s4, v116
	global_load_dwordx2 v[154:155], v[34:35], off
	global_load_dwordx2 v[156:157], v[36:37], off
	;; [unrolled: 1-line block ×4, first 2 shown]
	v_addc_co_u32_e32 v117, vcc, v162, v117, vcc
	global_load_dwordx2 v[162:163], v[42:43], off
	global_load_dwordx2 v[164:165], v[116:117], off
	;; [unrolled: 1-line block ×20, first 2 shown]
	s_cmpk_lg_i32 s13, 0x84
	s_waitcnt vmcnt(41)
	buffer_store_dword v119, off, s[0:3], 0 offset:4
	buffer_store_dword v118, off, s[0:3], 0
	global_load_dwordx2 v[118:119], v[48:49], off
	s_cselect_b64 s[8:9], -1, 0
	s_waitcnt vmcnt(43)
	buffer_store_dword v121, off, s[0:3], 0 offset:12
	buffer_store_dword v120, off, s[0:3], 0 offset:8
	global_load_dwordx2 v[120:121], v[52:53], off
	s_cmpk_eq_i32 s13, 0x84
	s_waitcnt vmcnt(45)
	buffer_store_dword v123, off, s[0:3], 0 offset:20
	buffer_store_dword v122, off, s[0:3], 0 offset:16
	global_load_dwordx2 v[122:123], v[56:57], off
	s_waitcnt vmcnt(47)
	buffer_store_dword v125, off, s[0:3], 0 offset:28
	buffer_store_dword v124, off, s[0:3], 0 offset:24
	global_load_dwordx2 v[124:125], v[60:61], off
	s_waitcnt vmcnt(49)
	buffer_store_dword v127, off, s[0:3], 0 offset:36
	buffer_store_dword v126, off, s[0:3], 0 offset:32
	global_load_dwordx2 v[126:127], v[64:65], off
	s_waitcnt vmcnt(51)
	buffer_store_dword v129, off, s[0:3], 0 offset:44
	buffer_store_dword v128, off, s[0:3], 0 offset:40
	global_load_dwordx2 v[128:129], v[68:69], off
	s_waitcnt vmcnt(53)
	buffer_store_dword v131, off, s[0:3], 0 offset:52
	buffer_store_dword v130, off, s[0:3], 0 offset:48
	global_load_dwordx2 v[130:131], v[72:73], off
	s_waitcnt vmcnt(55)
	buffer_store_dword v133, off, s[0:3], 0 offset:60
	buffer_store_dword v132, off, s[0:3], 0 offset:56
	global_load_dwordx2 v[132:133], v[76:77], off
	s_waitcnt vmcnt(57)
	buffer_store_dword v135, off, s[0:3], 0 offset:68
	buffer_store_dword v134, off, s[0:3], 0 offset:64
	global_load_dwordx2 v[134:135], v[80:81], off
	s_waitcnt vmcnt(59)
	buffer_store_dword v136, off, s[0:3], 0 offset:72
	buffer_store_dword v137, off, s[0:3], 0 offset:76
	global_load_dwordx2 v[136:137], v[84:85], off
	s_waitcnt vmcnt(61)
	buffer_store_dword v138, off, s[0:3], 0 offset:80
	buffer_store_dword v139, off, s[0:3], 0 offset:84
	global_load_dwordx2 v[138:139], v[88:89], off
	s_waitcnt vmcnt(62)
	buffer_store_dword v140, off, s[0:3], 0 offset:88
	buffer_store_dword v141, off, s[0:3], 0 offset:92
	global_load_dwordx2 v[140:141], v[92:93], off
	s_nop 0
	buffer_store_dword v142, off, s[0:3], 0 offset:96
	buffer_store_dword v143, off, s[0:3], 0 offset:100
	global_load_dwordx2 v[142:143], v[96:97], off
	s_waitcnt vmcnt(62)
	buffer_store_dword v144, off, s[0:3], 0 offset:104
	buffer_store_dword v145, off, s[0:3], 0 offset:108
	global_load_dwordx2 v[144:145], v[100:101], off
	s_nop 0
	buffer_store_dword v147, off, s[0:3], 0 offset:116
	buffer_store_dword v146, off, s[0:3], 0 offset:112
	global_load_dwordx2 v[146:147], v[104:105], off
	s_nop 0
	;; [unrolled: 4-line block ×3, first 2 shown]
	buffer_store_dword v150, off, s[0:3], 0 offset:128
	buffer_store_dword v151, off, s[0:3], 0 offset:132
	;; [unrolled: 1-line block ×6, first 2 shown]
	s_waitcnt vmcnt(62)
	buffer_store_dword v157, off, s[0:3], 0 offset:156
	buffer_store_dword v156, off, s[0:3], 0 offset:152
	buffer_store_dword v159, off, s[0:3], 0 offset:164
	buffer_store_dword v158, off, s[0:3], 0 offset:160
	buffer_store_dword v160, off, s[0:3], 0 offset:168
	buffer_store_dword v161, off, s[0:3], 0 offset:172
	buffer_store_dword v162, off, s[0:3], 0 offset:176
	buffer_store_dword v163, off, s[0:3], 0 offset:180
	buffer_store_dword v166, off, s[0:3], 0 offset:184
	buffer_store_dword v167, off, s[0:3], 0 offset:188
	buffer_store_dword v168, off, s[0:3], 0 offset:192
	buffer_store_dword v169, off, s[0:3], 0 offset:196
	s_waitcnt vmcnt(62)
	buffer_store_dword v119, off, s[0:3], 0 offset:204
	buffer_store_dword v118, off, s[0:3], 0 offset:200
	buffer_store_dword v171, off, s[0:3], 0 offset:212
	buffer_store_dword v170, off, s[0:3], 0 offset:208
	s_waitcnt vmcnt(62)
	buffer_store_dword v120, off, s[0:3], 0 offset:216
	buffer_store_dword v121, off, s[0:3], 0 offset:220
	buffer_store_dword v172, off, s[0:3], 0 offset:224
	buffer_store_dword v173, off, s[0:3], 0 offset:228
	;; [unrolled: 5-line block ×3, first 2 shown]
	buffer_store_dword v125, off, s[0:3], 0 offset:252
	buffer_store_dword v124, off, s[0:3], 0 offset:248
	;; [unrolled: 1-line block ×4, first 2 shown]
	s_waitcnt vmcnt(62)
	buffer_store_dword v126, off, s[0:3], 0 offset:264
	buffer_store_dword v127, off, s[0:3], 0 offset:268
	;; [unrolled: 1-line block ×8, first 2 shown]
	s_waitcnt vmcnt(62)
	buffer_store_dword v131, off, s[0:3], 0 offset:300
	buffer_store_dword v130, off, s[0:3], 0 offset:296
	;; [unrolled: 1-line block ×12, first 2 shown]
	s_waitcnt vmcnt(62)
	buffer_store_dword v137, off, s[0:3], 0 offset:348
	buffer_store_dword v136, off, s[0:3], 0 offset:344
	buffer_store_dword v189, off, s[0:3], 0 offset:356
	buffer_store_dword v188, off, s[0:3], 0 offset:352
	buffer_store_dword v138, off, s[0:3], 0 offset:360
	buffer_store_dword v139, off, s[0:3], 0 offset:364
	buffer_store_dword v190, off, s[0:3], 0 offset:368
	buffer_store_dword v191, off, s[0:3], 0 offset:372
	buffer_store_dword v140, off, s[0:3], 0 offset:376
	buffer_store_dword v141, off, s[0:3], 0 offset:380
	buffer_store_dword v192, off, s[0:3], 0 offset:384
	buffer_store_dword v193, off, s[0:3], 0 offset:388
	buffer_store_dword v143, off, s[0:3], 0 offset:396
	buffer_store_dword v142, off, s[0:3], 0 offset:392
	buffer_store_dword v195, off, s[0:3], 0 offset:404
	buffer_store_dword v194, off, s[0:3], 0 offset:400
	s_waitcnt vmcnt(62)
	buffer_store_dword v144, off, s[0:3], 0 offset:408
	buffer_store_dword v145, off, s[0:3], 0 offset:412
	;; [unrolled: 1-line block ×14, first 2 shown]
	v_mov_b32_e32 v118, 0
	v_mov_b32_e32 v176, 0
	;; [unrolled: 1-line block ×3, first 2 shown]
	s_cbranch_scc1 .LBB121_3
; %bb.2:
	v_lshl_add_u32 v128, v0, 3, v176
	buffer_load_dword v118, v128, s[0:3], 0 offen
	buffer_load_dword v119, v128, s[0:3], 0 offen offset:4
	s_waitcnt vmcnt(0)
	v_div_scale_f64 v[120:121], s[4:5], v[118:119], v[118:119], 1.0
	v_rcp_f64_e32 v[122:123], v[120:121]
	v_div_scale_f64 v[124:125], vcc, 1.0, v[118:119], 1.0
	v_fma_f64 v[126:127], -v[120:121], v[122:123], 1.0
	v_fmac_f64_e32 v[122:123], v[122:123], v[126:127]
	v_fma_f64 v[126:127], -v[120:121], v[122:123], 1.0
	v_fmac_f64_e32 v[122:123], v[122:123], v[126:127]
	v_mul_f64 v[126:127], v[124:125], v[122:123]
	v_fma_f64 v[120:121], -v[120:121], v[126:127], v[124:125]
	v_div_fmas_f64 v[120:121], v[120:121], v[122:123], v[126:127]
	v_div_fixup_f64 v[118:119], v[120:121], v[118:119], 1.0
	buffer_store_dword v118, v128, s[0:3], 0 offen
	buffer_store_dword v119, v128, s[0:3], 0 offen offset:4
	v_xor_b32_e32 v119, 0x80000000, v119
.LBB121_3:
	s_cmpk_eq_i32 s12, 0x79
	v_add_u32_e32 v120, 0x1d0, v1
	v_add_u32_e32 v121, 0, v1
	s_mov_b64 s[4:5], -1
	ds_write_b64 v1, v[118:119]
	s_cbranch_scc1 .LBB121_567
; %bb.4:
	buffer_load_dword v118, off, s[0:3], 0 offset:448
	buffer_load_dword v119, off, s[0:3], 0 offset:452
	v_cmp_eq_u32_e64 s[4:5], 57, v0
	s_waitcnt vmcnt(0)
	ds_write_b64 v120, v[118:119]
	s_waitcnt lgkmcnt(0)
	; wave barrier
	s_waitcnt lgkmcnt(0)
	s_and_saveexec_b64 s[6:7], s[4:5]
	s_cbranch_execz .LBB121_10
; %bb.5:
	s_and_b64 vcc, exec, s[8:9]
	s_cbranch_vccz .LBB121_7
; %bb.6:
	buffer_load_dword v118, v121, s[0:3], 0 offen
	buffer_load_dword v119, v121, s[0:3], 0 offen offset:4
	ds_read_b64 v[122:123], v120
	s_waitcnt vmcnt(0) lgkmcnt(0)
	v_mul_f64 v[118:119], v[118:119], v[122:123]
	s_cbranch_execz .LBB121_8
	s_branch .LBB121_9
.LBB121_7:
                                        ; implicit-def: $vgpr118_vgpr119
.LBB121_8:
	ds_read_b64 v[118:119], v120
.LBB121_9:
	v_mov_b32_e32 v122, 0
	ds_read_b64 v[122:123], v122 offset:448
	s_waitcnt lgkmcnt(0)
	v_mul_f64 v[118:119], v[118:119], v[122:123]
	buffer_store_dword v119, off, s[0:3], 0 offset:452
	buffer_store_dword v118, off, s[0:3], 0 offset:448
.LBB121_10:
	s_or_b64 exec, exec, s[6:7]
	buffer_load_dword v118, off, s[0:3], 0 offset:440
	buffer_load_dword v119, off, s[0:3], 0 offset:444
	v_or_b32_e32 v122, 8, v176
	v_add_u32_e32 v123, 16, v176
	v_add_u32_e32 v124, 24, v176
	;; [unrolled: 1-line block ×54, first 2 shown]
	v_cmp_lt_u32_e64 s[6:7], 55, v0
	s_waitcnt vmcnt(0)
	ds_write_b64 v120, v[118:119]
	s_waitcnt lgkmcnt(0)
	; wave barrier
	s_waitcnt lgkmcnt(0)
	s_and_saveexec_b64 s[10:11], s[6:7]
	s_cbranch_execz .LBB121_16
; %bb.11:
	s_andn2_b64 vcc, exec, s[8:9]
	s_cbranch_vccnz .LBB121_13
; %bb.12:
	buffer_load_dword v118, v121, s[0:3], 0 offen
	buffer_load_dword v119, v121, s[0:3], 0 offen offset:4
	ds_read_b64 v[178:179], v120
	s_waitcnt vmcnt(0) lgkmcnt(0)
	v_mul_f64 v[118:119], v[118:119], v[178:179]
	s_cbranch_execz .LBB121_14
	s_branch .LBB121_15
.LBB121_13:
                                        ; implicit-def: $vgpr118_vgpr119
.LBB121_14:
	ds_read_b64 v[118:119], v120
.LBB121_15:
	buffer_load_dword v182, off, s[0:3], 0 offset:448
	buffer_load_dword v183, off, s[0:3], 0 offset:452
	v_mov_b32_e32 v177, 0
	ds_read2_b64 v[178:181], v177 offset0:55 offset1:114
	s_waitcnt vmcnt(0) lgkmcnt(0)
	v_fma_f64 v[180:181], v[182:183], v[180:181], v[118:119]
	v_cndmask_b32_e64 v119, v119, v181, s[4:5]
	v_cndmask_b32_e64 v118, v118, v180, s[4:5]
	v_mul_f64 v[118:119], v[118:119], v[178:179]
	buffer_store_dword v119, off, s[0:3], 0 offset:444
	buffer_store_dword v118, off, s[0:3], 0 offset:440
.LBB121_16:
	s_or_b64 exec, exec, s[10:11]
	buffer_load_dword v118, off, s[0:3], 0 offset:432
	buffer_load_dword v119, off, s[0:3], 0 offset:436
	v_cmp_lt_u32_e64 s[4:5], 54, v0
	s_waitcnt vmcnt(0)
	ds_write_b64 v120, v[118:119]
	s_waitcnt lgkmcnt(0)
	; wave barrier
	s_waitcnt lgkmcnt(0)
	s_and_saveexec_b64 s[10:11], s[4:5]
	s_cbranch_execz .LBB121_26
; %bb.17:
	s_andn2_b64 vcc, exec, s[8:9]
	s_cbranch_vccnz .LBB121_19
; %bb.18:
	buffer_load_dword v118, v121, s[0:3], 0 offen
	buffer_load_dword v119, v121, s[0:3], 0 offen offset:4
	ds_read_b64 v[178:179], v120
	s_waitcnt vmcnt(0) lgkmcnt(0)
	v_mul_f64 v[118:119], v[118:119], v[178:179]
	s_cbranch_execz .LBB121_20
	s_branch .LBB121_21
.LBB121_19:
                                        ; implicit-def: $vgpr118_vgpr119
.LBB121_20:
	ds_read_b64 v[118:119], v120
.LBB121_21:
	s_and_saveexec_b64 s[12:13], s[6:7]
	s_cbranch_execz .LBB121_25
; %bb.22:
	v_subrev_u32_e32 v177, 55, v0
	s_movk_i32 s14, 0x388
	s_mov_b64 s[6:7], 0
.LBB121_23:                             ; =>This Inner Loop Header: Depth=1
	buffer_load_dword v178, v176, s[0:3], 0 offen
	buffer_load_dword v179, v176, s[0:3], 0 offen offset:4
	v_mov_b32_e32 v180, s14
	ds_read_b64 v[180:181], v180
	v_add_u32_e32 v177, -1, v177
	s_add_i32 s14, s14, 8
	v_cmp_eq_u32_e32 vcc, 0, v177
	v_add_u32_e32 v176, 8, v176
	s_or_b64 s[6:7], vcc, s[6:7]
	s_waitcnt vmcnt(0) lgkmcnt(0)
	v_fmac_f64_e32 v[118:119], v[178:179], v[180:181]
	s_andn2_b64 exec, exec, s[6:7]
	s_cbranch_execnz .LBB121_23
; %bb.24:
	s_or_b64 exec, exec, s[6:7]
.LBB121_25:
	s_or_b64 exec, exec, s[12:13]
	v_mov_b32_e32 v176, 0
	ds_read_b64 v[176:177], v176 offset:432
	s_waitcnt lgkmcnt(0)
	v_mul_f64 v[118:119], v[118:119], v[176:177]
	buffer_store_dword v119, off, s[0:3], 0 offset:436
	buffer_store_dword v118, off, s[0:3], 0 offset:432
.LBB121_26:
	s_or_b64 exec, exec, s[10:11]
	buffer_load_dword v118, off, s[0:3], 0 offset:424
	buffer_load_dword v119, off, s[0:3], 0 offset:428
	v_cmp_lt_u32_e64 s[6:7], 53, v0
	s_waitcnt vmcnt(0)
	ds_write_b64 v120, v[118:119]
	s_waitcnt lgkmcnt(0)
	; wave barrier
	s_waitcnt lgkmcnt(0)
	s_and_saveexec_b64 s[10:11], s[6:7]
	s_cbranch_execz .LBB121_36
; %bb.27:
	s_andn2_b64 vcc, exec, s[8:9]
	s_cbranch_vccnz .LBB121_29
; %bb.28:
	buffer_load_dword v118, v121, s[0:3], 0 offen
	buffer_load_dword v119, v121, s[0:3], 0 offen offset:4
	ds_read_b64 v[176:177], v120
	s_waitcnt vmcnt(0) lgkmcnt(0)
	v_mul_f64 v[118:119], v[118:119], v[176:177]
	s_cbranch_execz .LBB121_30
	s_branch .LBB121_31
.LBB121_29:
                                        ; implicit-def: $vgpr118_vgpr119
.LBB121_30:
	ds_read_b64 v[118:119], v120
.LBB121_31:
	s_and_saveexec_b64 s[12:13], s[4:5]
	s_cbranch_execz .LBB121_35
; %bb.32:
	v_subrev_u32_e32 v176, 54, v0
	s_movk_i32 s14, 0x380
	s_mov_b64 s[4:5], 0
.LBB121_33:                             ; =>This Inner Loop Header: Depth=1
	buffer_load_dword v178, v175, s[0:3], 0 offen
	buffer_load_dword v179, v175, s[0:3], 0 offen offset:4
	v_mov_b32_e32 v177, s14
	ds_read_b64 v[180:181], v177
	v_add_u32_e32 v176, -1, v176
	s_add_i32 s14, s14, 8
	v_cmp_eq_u32_e32 vcc, 0, v176
	v_add_u32_e32 v175, 8, v175
	s_or_b64 s[4:5], vcc, s[4:5]
	s_waitcnt vmcnt(0) lgkmcnt(0)
	v_fmac_f64_e32 v[118:119], v[178:179], v[180:181]
	s_andn2_b64 exec, exec, s[4:5]
	s_cbranch_execnz .LBB121_33
; %bb.34:
	s_or_b64 exec, exec, s[4:5]
.LBB121_35:
	s_or_b64 exec, exec, s[12:13]
	v_mov_b32_e32 v175, 0
	ds_read_b64 v[176:177], v175 offset:424
	s_waitcnt lgkmcnt(0)
	v_mul_f64 v[118:119], v[118:119], v[176:177]
	buffer_store_dword v119, off, s[0:3], 0 offset:428
	buffer_store_dword v118, off, s[0:3], 0 offset:424
.LBB121_36:
	;; [unrolled: 58-line block ×8, first 2 shown]
	s_or_b64 exec, exec, s[10:11]
	buffer_load_dword v118, off, s[0:3], 0 offset:368
	buffer_load_dword v119, off, s[0:3], 0 offset:372
	v_cmp_lt_u32_e64 s[4:5], 46, v0
	s_waitcnt vmcnt(0)
	ds_write_b64 v120, v[118:119]
	s_waitcnt lgkmcnt(0)
	; wave barrier
	s_waitcnt lgkmcnt(0)
	s_and_saveexec_b64 s[10:11], s[4:5]
	s_cbranch_execz .LBB121_106
; %bb.97:
	s_andn2_b64 vcc, exec, s[8:9]
	s_cbranch_vccnz .LBB121_99
; %bb.98:
	buffer_load_dword v118, v121, s[0:3], 0 offen
	buffer_load_dword v119, v121, s[0:3], 0 offen offset:4
	ds_read_b64 v[170:171], v120
	s_waitcnt vmcnt(0) lgkmcnt(0)
	v_mul_f64 v[118:119], v[118:119], v[170:171]
	s_cbranch_execz .LBB121_100
	s_branch .LBB121_101
.LBB121_99:
                                        ; implicit-def: $vgpr118_vgpr119
.LBB121_100:
	ds_read_b64 v[118:119], v120
.LBB121_101:
	s_and_saveexec_b64 s[12:13], s[6:7]
	s_cbranch_execz .LBB121_105
; %bb.102:
	v_subrev_u32_e32 v169, 47, v0
	s_movk_i32 s14, 0x348
	s_mov_b64 s[6:7], 0
.LBB121_103:                            ; =>This Inner Loop Header: Depth=1
	buffer_load_dword v170, v168, s[0:3], 0 offen
	buffer_load_dword v171, v168, s[0:3], 0 offen offset:4
	v_mov_b32_e32 v172, s14
	ds_read_b64 v[172:173], v172
	v_add_u32_e32 v169, -1, v169
	s_add_i32 s14, s14, 8
	v_cmp_eq_u32_e32 vcc, 0, v169
	v_add_u32_e32 v168, 8, v168
	s_or_b64 s[6:7], vcc, s[6:7]
	s_waitcnt vmcnt(0) lgkmcnt(0)
	v_fmac_f64_e32 v[118:119], v[170:171], v[172:173]
	s_andn2_b64 exec, exec, s[6:7]
	s_cbranch_execnz .LBB121_103
; %bb.104:
	s_or_b64 exec, exec, s[6:7]
.LBB121_105:
	s_or_b64 exec, exec, s[12:13]
	v_mov_b32_e32 v168, 0
	ds_read_b64 v[168:169], v168 offset:368
	s_waitcnt lgkmcnt(0)
	v_mul_f64 v[118:119], v[118:119], v[168:169]
	buffer_store_dword v119, off, s[0:3], 0 offset:372
	buffer_store_dword v118, off, s[0:3], 0 offset:368
.LBB121_106:
	s_or_b64 exec, exec, s[10:11]
	buffer_load_dword v118, off, s[0:3], 0 offset:360
	buffer_load_dword v119, off, s[0:3], 0 offset:364
	v_cmp_lt_u32_e64 s[6:7], 45, v0
	s_waitcnt vmcnt(0)
	ds_write_b64 v120, v[118:119]
	s_waitcnt lgkmcnt(0)
	; wave barrier
	s_waitcnt lgkmcnt(0)
	s_and_saveexec_b64 s[10:11], s[6:7]
	s_cbranch_execz .LBB121_116
; %bb.107:
	s_andn2_b64 vcc, exec, s[8:9]
	s_cbranch_vccnz .LBB121_109
; %bb.108:
	buffer_load_dword v118, v121, s[0:3], 0 offen
	buffer_load_dword v119, v121, s[0:3], 0 offen offset:4
	ds_read_b64 v[168:169], v120
	s_waitcnt vmcnt(0) lgkmcnt(0)
	v_mul_f64 v[118:119], v[118:119], v[168:169]
	s_cbranch_execz .LBB121_110
	s_branch .LBB121_111
.LBB121_109:
                                        ; implicit-def: $vgpr118_vgpr119
.LBB121_110:
	ds_read_b64 v[118:119], v120
.LBB121_111:
	s_and_saveexec_b64 s[12:13], s[4:5]
	s_cbranch_execz .LBB121_115
; %bb.112:
	v_subrev_u32_e32 v168, 46, v0
	s_movk_i32 s14, 0x340
	s_mov_b64 s[4:5], 0
.LBB121_113:                            ; =>This Inner Loop Header: Depth=1
	buffer_load_dword v170, v167, s[0:3], 0 offen
	buffer_load_dword v171, v167, s[0:3], 0 offen offset:4
	v_mov_b32_e32 v169, s14
	ds_read_b64 v[172:173], v169
	v_add_u32_e32 v168, -1, v168
	s_add_i32 s14, s14, 8
	v_cmp_eq_u32_e32 vcc, 0, v168
	v_add_u32_e32 v167, 8, v167
	s_or_b64 s[4:5], vcc, s[4:5]
	s_waitcnt vmcnt(0) lgkmcnt(0)
	v_fmac_f64_e32 v[118:119], v[170:171], v[172:173]
	s_andn2_b64 exec, exec, s[4:5]
	s_cbranch_execnz .LBB121_113
; %bb.114:
	s_or_b64 exec, exec, s[4:5]
.LBB121_115:
	s_or_b64 exec, exec, s[12:13]
	v_mov_b32_e32 v167, 0
	ds_read_b64 v[168:169], v167 offset:360
	s_waitcnt lgkmcnt(0)
	v_mul_f64 v[118:119], v[118:119], v[168:169]
	buffer_store_dword v119, off, s[0:3], 0 offset:364
	buffer_store_dword v118, off, s[0:3], 0 offset:360
.LBB121_116:
	;; [unrolled: 58-line block ×31, first 2 shown]
	s_or_b64 exec, exec, s[10:11]
	buffer_load_dword v118, off, s[0:3], 0 offset:120
	buffer_load_dword v119, off, s[0:3], 0 offset:124
	v_cmp_lt_u32_e64 s[6:7], 15, v0
	s_waitcnt vmcnt(0)
	ds_write_b64 v120, v[118:119]
	s_waitcnt lgkmcnt(0)
	; wave barrier
	s_waitcnt lgkmcnt(0)
	s_and_saveexec_b64 s[10:11], s[6:7]
	s_cbranch_execz .LBB121_416
; %bb.407:
	s_andn2_b64 vcc, exec, s[8:9]
	s_cbranch_vccnz .LBB121_409
; %bb.408:
	buffer_load_dword v118, v121, s[0:3], 0 offen
	buffer_load_dword v119, v121, s[0:3], 0 offen offset:4
	ds_read_b64 v[138:139], v120
	s_waitcnt vmcnt(0) lgkmcnt(0)
	v_mul_f64 v[118:119], v[118:119], v[138:139]
	s_cbranch_execz .LBB121_410
	s_branch .LBB121_411
.LBB121_409:
                                        ; implicit-def: $vgpr118_vgpr119
.LBB121_410:
	ds_read_b64 v[118:119], v120
.LBB121_411:
	s_and_saveexec_b64 s[12:13], s[4:5]
	s_cbranch_execz .LBB121_415
; %bb.412:
	v_add_u32_e32 v138, -16, v0
	s_movk_i32 s14, 0x250
	s_mov_b64 s[4:5], 0
.LBB121_413:                            ; =>This Inner Loop Header: Depth=1
	buffer_load_dword v140, v137, s[0:3], 0 offen
	buffer_load_dword v141, v137, s[0:3], 0 offen offset:4
	v_mov_b32_e32 v139, s14
	ds_read_b64 v[142:143], v139
	v_add_u32_e32 v138, -1, v138
	s_add_i32 s14, s14, 8
	v_cmp_eq_u32_e32 vcc, 0, v138
	v_add_u32_e32 v137, 8, v137
	s_or_b64 s[4:5], vcc, s[4:5]
	s_waitcnt vmcnt(0) lgkmcnt(0)
	v_fmac_f64_e32 v[118:119], v[140:141], v[142:143]
	s_andn2_b64 exec, exec, s[4:5]
	s_cbranch_execnz .LBB121_413
; %bb.414:
	s_or_b64 exec, exec, s[4:5]
.LBB121_415:
	s_or_b64 exec, exec, s[12:13]
	v_mov_b32_e32 v137, 0
	ds_read_b64 v[138:139], v137 offset:120
	s_waitcnt lgkmcnt(0)
	v_mul_f64 v[118:119], v[118:119], v[138:139]
	buffer_store_dword v119, off, s[0:3], 0 offset:124
	buffer_store_dword v118, off, s[0:3], 0 offset:120
.LBB121_416:
	s_or_b64 exec, exec, s[10:11]
	buffer_load_dword v118, off, s[0:3], 0 offset:112
	buffer_load_dword v119, off, s[0:3], 0 offset:116
	v_cmp_lt_u32_e64 s[4:5], 14, v0
	s_waitcnt vmcnt(0)
	ds_write_b64 v120, v[118:119]
	s_waitcnt lgkmcnt(0)
	; wave barrier
	s_waitcnt lgkmcnt(0)
	s_and_saveexec_b64 s[10:11], s[4:5]
	s_cbranch_execz .LBB121_426
; %bb.417:
	s_andn2_b64 vcc, exec, s[8:9]
	s_cbranch_vccnz .LBB121_419
; %bb.418:
	buffer_load_dword v118, v121, s[0:3], 0 offen
	buffer_load_dword v119, v121, s[0:3], 0 offen offset:4
	ds_read_b64 v[138:139], v120
	s_waitcnt vmcnt(0) lgkmcnt(0)
	v_mul_f64 v[118:119], v[118:119], v[138:139]
	s_cbranch_execz .LBB121_420
	s_branch .LBB121_421
.LBB121_419:
                                        ; implicit-def: $vgpr118_vgpr119
.LBB121_420:
	ds_read_b64 v[118:119], v120
.LBB121_421:
	s_and_saveexec_b64 s[12:13], s[6:7]
	s_cbranch_execz .LBB121_425
; %bb.422:
	v_add_u32_e32 v137, -15, v0
	s_movk_i32 s14, 0x248
	s_mov_b64 s[6:7], 0
.LBB121_423:                            ; =>This Inner Loop Header: Depth=1
	buffer_load_dword v138, v136, s[0:3], 0 offen
	buffer_load_dword v139, v136, s[0:3], 0 offen offset:4
	v_mov_b32_e32 v140, s14
	ds_read_b64 v[140:141], v140
	v_add_u32_e32 v137, -1, v137
	s_add_i32 s14, s14, 8
	v_cmp_eq_u32_e32 vcc, 0, v137
	v_add_u32_e32 v136, 8, v136
	s_or_b64 s[6:7], vcc, s[6:7]
	s_waitcnt vmcnt(0) lgkmcnt(0)
	v_fmac_f64_e32 v[118:119], v[138:139], v[140:141]
	s_andn2_b64 exec, exec, s[6:7]
	s_cbranch_execnz .LBB121_423
; %bb.424:
	s_or_b64 exec, exec, s[6:7]
.LBB121_425:
	s_or_b64 exec, exec, s[12:13]
	v_mov_b32_e32 v136, 0
	ds_read_b64 v[136:137], v136 offset:112
	s_waitcnt lgkmcnt(0)
	v_mul_f64 v[118:119], v[118:119], v[136:137]
	buffer_store_dword v119, off, s[0:3], 0 offset:116
	buffer_store_dword v118, off, s[0:3], 0 offset:112
.LBB121_426:
	;; [unrolled: 58-line block ×15, first 2 shown]
	s_or_b64 exec, exec, s[10:11]
	buffer_load_dword v118, off, s[0:3], 0
	buffer_load_dword v119, off, s[0:3], 0 offset:4
	v_cmp_ne_u32_e32 vcc, 0, v0
	s_waitcnt vmcnt(0)
	ds_write_b64 v120, v[118:119]
	s_waitcnt lgkmcnt(0)
	; wave barrier
	s_waitcnt lgkmcnt(0)
	s_and_saveexec_b64 s[4:5], vcc
	s_cbranch_execz .LBB121_566
; %bb.557:
	s_andn2_b64 vcc, exec, s[8:9]
	s_cbranch_vccnz .LBB121_559
; %bb.558:
	buffer_load_dword v118, v121, s[0:3], 0 offen
	buffer_load_dword v119, v121, s[0:3], 0 offen offset:4
	ds_read_b64 v[124:125], v120
	s_waitcnt vmcnt(0) lgkmcnt(0)
	v_mul_f64 v[118:119], v[118:119], v[124:125]
	s_cbranch_execz .LBB121_560
	s_branch .LBB121_561
.LBB121_559:
                                        ; implicit-def: $vgpr118_vgpr119
.LBB121_560:
	ds_read_b64 v[118:119], v120
.LBB121_561:
	s_and_saveexec_b64 s[10:11], s[6:7]
	s_cbranch_execz .LBB121_565
; %bb.562:
	v_add_u32_e32 v123, -1, v0
	s_movk_i32 s12, 0x1d8
	s_mov_b64 s[6:7], 0
.LBB121_563:                            ; =>This Inner Loop Header: Depth=1
	buffer_load_dword v124, v122, s[0:3], 0 offen
	buffer_load_dword v125, v122, s[0:3], 0 offen offset:4
	v_mov_b32_e32 v126, s12
	ds_read_b64 v[126:127], v126
	v_add_u32_e32 v123, -1, v123
	s_add_i32 s12, s12, 8
	v_cmp_eq_u32_e32 vcc, 0, v123
	v_add_u32_e32 v122, 8, v122
	s_or_b64 s[6:7], vcc, s[6:7]
	s_waitcnt vmcnt(0) lgkmcnt(0)
	v_fmac_f64_e32 v[118:119], v[124:125], v[126:127]
	s_andn2_b64 exec, exec, s[6:7]
	s_cbranch_execnz .LBB121_563
; %bb.564:
	s_or_b64 exec, exec, s[6:7]
.LBB121_565:
	s_or_b64 exec, exec, s[10:11]
	v_mov_b32_e32 v122, 0
	ds_read_b64 v[122:123], v122
	s_waitcnt lgkmcnt(0)
	v_mul_f64 v[118:119], v[118:119], v[122:123]
	buffer_store_dword v119, off, s[0:3], 0 offset:4
	buffer_store_dword v118, off, s[0:3], 0
.LBB121_566:
	s_or_b64 exec, exec, s[4:5]
	s_mov_b64 s[4:5], 0
.LBB121_567:
	s_and_b64 vcc, exec, s[4:5]
	s_cbranch_vccz .LBB121_1131
; %bb.568:
	buffer_load_dword v118, off, s[0:3], 0 offset:8
	buffer_load_dword v119, off, s[0:3], 0 offset:12
	v_cmp_eq_u32_e64 s[6:7], 0, v0
	s_waitcnt vmcnt(0)
	ds_write_b64 v120, v[118:119]
	s_waitcnt lgkmcnt(0)
	; wave barrier
	s_waitcnt lgkmcnt(0)
	s_and_saveexec_b64 s[4:5], s[6:7]
	s_cbranch_execz .LBB121_574
; %bb.569:
	s_and_b64 vcc, exec, s[8:9]
	s_cbranch_vccz .LBB121_571
; %bb.570:
	buffer_load_dword v118, v121, s[0:3], 0 offen
	buffer_load_dword v119, v121, s[0:3], 0 offen offset:4
	ds_read_b64 v[122:123], v120
	s_waitcnt vmcnt(0) lgkmcnt(0)
	v_mul_f64 v[118:119], v[118:119], v[122:123]
	s_cbranch_execz .LBB121_572
	s_branch .LBB121_573
.LBB121_571:
                                        ; implicit-def: $vgpr118_vgpr119
.LBB121_572:
	ds_read_b64 v[118:119], v120
.LBB121_573:
	v_mov_b32_e32 v122, 0
	ds_read_b64 v[122:123], v122 offset:8
	s_waitcnt lgkmcnt(0)
	v_mul_f64 v[118:119], v[118:119], v[122:123]
	buffer_store_dword v119, off, s[0:3], 0 offset:12
	buffer_store_dword v118, off, s[0:3], 0 offset:8
.LBB121_574:
	s_or_b64 exec, exec, s[4:5]
	buffer_load_dword v118, off, s[0:3], 0 offset:16
	buffer_load_dword v119, off, s[0:3], 0 offset:20
	v_cndmask_b32_e64 v122, 0, 1, s[8:9]
	v_cmp_gt_u32_e32 vcc, 2, v0
	v_cmp_ne_u32_e64 s[4:5], 1, v122
	s_waitcnt vmcnt(0)
	ds_write_b64 v120, v[118:119]
	s_waitcnt lgkmcnt(0)
	; wave barrier
	s_waitcnt lgkmcnt(0)
	s_and_saveexec_b64 s[8:9], vcc
	s_cbranch_execz .LBB121_582
; %bb.575:
	s_and_b64 vcc, exec, s[4:5]
	s_cbranch_vccnz .LBB121_577
; %bb.576:
	buffer_load_dword v118, v121, s[0:3], 0 offen
	buffer_load_dword v119, v121, s[0:3], 0 offen offset:4
	ds_read_b64 v[122:123], v120
	s_waitcnt vmcnt(0) lgkmcnt(0)
	v_mul_f64 v[118:119], v[118:119], v[122:123]
	s_cbranch_execz .LBB121_578
	s_branch .LBB121_579
.LBB121_577:
                                        ; implicit-def: $vgpr118_vgpr119
.LBB121_578:
	ds_read_b64 v[118:119], v120
.LBB121_579:
	s_and_saveexec_b64 s[10:11], s[6:7]
	s_cbranch_execz .LBB121_581
; %bb.580:
	buffer_load_dword v122, v121, s[0:3], 0 offen offset:8
	buffer_load_dword v123, v121, s[0:3], 0 offen offset:12
	ds_read_b64 v[124:125], v120 offset:8
	s_waitcnt vmcnt(0) lgkmcnt(0)
	v_fmac_f64_e32 v[118:119], v[122:123], v[124:125]
.LBB121_581:
	s_or_b64 exec, exec, s[10:11]
	v_mov_b32_e32 v122, 0
	ds_read_b64 v[122:123], v122 offset:16
	s_waitcnt lgkmcnt(0)
	v_mul_f64 v[118:119], v[118:119], v[122:123]
	buffer_store_dword v119, off, s[0:3], 0 offset:20
	buffer_store_dword v118, off, s[0:3], 0 offset:16
.LBB121_582:
	s_or_b64 exec, exec, s[8:9]
	buffer_load_dword v118, off, s[0:3], 0 offset:24
	buffer_load_dword v119, off, s[0:3], 0 offset:28
	v_cmp_gt_u32_e32 vcc, 3, v0
	s_waitcnt vmcnt(0)
	ds_write_b64 v120, v[118:119]
	s_waitcnt lgkmcnt(0)
	; wave barrier
	s_waitcnt lgkmcnt(0)
	s_and_saveexec_b64 s[8:9], vcc
	s_cbranch_execz .LBB121_590
; %bb.583:
	s_and_b64 vcc, exec, s[4:5]
	s_cbranch_vccnz .LBB121_585
; %bb.584:
	buffer_load_dword v118, v121, s[0:3], 0 offen
	buffer_load_dword v119, v121, s[0:3], 0 offen offset:4
	ds_read_b64 v[122:123], v120
	s_waitcnt vmcnt(0) lgkmcnt(0)
	v_mul_f64 v[118:119], v[118:119], v[122:123]
	s_cbranch_execz .LBB121_586
	s_branch .LBB121_587
.LBB121_585:
                                        ; implicit-def: $vgpr118_vgpr119
.LBB121_586:
	ds_read_b64 v[118:119], v120
.LBB121_587:
	v_cmp_ne_u32_e32 vcc, 2, v0
	s_and_saveexec_b64 s[10:11], vcc
	s_cbranch_execz .LBB121_589
; %bb.588:
	buffer_load_dword v123, v121, s[0:3], 0 offen offset:12
	buffer_load_dword v124, off, s[0:3], 0 offset:16
	buffer_load_dword v122, v121, s[0:3], 0 offen offset:8
	buffer_load_dword v125, off, s[0:3], 0 offset:20
	v_mov_b32_e32 v128, 0
	ds_read_b64 v[126:127], v120 offset:8
	ds_read_b64 v[128:129], v128 offset:480
	s_waitcnt vmcnt(1) lgkmcnt(1)
	v_fmac_f64_e32 v[118:119], v[122:123], v[126:127]
	s_waitcnt vmcnt(0) lgkmcnt(0)
	v_fma_f64 v[122:123], v[124:125], v[128:129], v[118:119]
	v_cndmask_b32_e64 v119, v119, v123, s[6:7]
	v_cndmask_b32_e64 v118, v118, v122, s[6:7]
.LBB121_589:
	s_or_b64 exec, exec, s[10:11]
	v_mov_b32_e32 v122, 0
	ds_read_b64 v[122:123], v122 offset:24
	s_waitcnt lgkmcnt(0)
	v_mul_f64 v[118:119], v[118:119], v[122:123]
	buffer_store_dword v119, off, s[0:3], 0 offset:28
	buffer_store_dword v118, off, s[0:3], 0 offset:24
.LBB121_590:
	s_or_b64 exec, exec, s[8:9]
	buffer_load_dword v118, off, s[0:3], 0 offset:32
	buffer_load_dword v119, off, s[0:3], 0 offset:36
	v_cmp_gt_u32_e32 vcc, 4, v0
	s_waitcnt vmcnt(0)
	ds_write_b64 v120, v[118:119]
	s_waitcnt lgkmcnt(0)
	; wave barrier
	s_waitcnt lgkmcnt(0)
	s_and_saveexec_b64 s[6:7], vcc
	s_cbranch_execz .LBB121_600
; %bb.591:
	s_and_b64 vcc, exec, s[4:5]
	s_cbranch_vccnz .LBB121_593
; %bb.592:
	buffer_load_dword v118, v121, s[0:3], 0 offen
	buffer_load_dword v119, v121, s[0:3], 0 offen offset:4
	ds_read_b64 v[122:123], v120
	s_waitcnt vmcnt(0) lgkmcnt(0)
	v_mul_f64 v[118:119], v[118:119], v[122:123]
	s_cbranch_execz .LBB121_594
	s_branch .LBB121_595
.LBB121_593:
                                        ; implicit-def: $vgpr118_vgpr119
.LBB121_594:
	ds_read_b64 v[118:119], v120
.LBB121_595:
	v_cmp_ne_u32_e32 vcc, 3, v0
	s_and_saveexec_b64 s[8:9], vcc
	s_cbranch_execz .LBB121_599
; %bb.596:
	v_mov_b32_e32 v123, 0
	v_add_u32_e32 v122, 0x1d8, v1
	v_add3_u32 v123, v1, v123, 8
	s_mov_b64 s[10:11], 0
	v_mov_b32_e32 v124, v0
.LBB121_597:                            ; =>This Inner Loop Header: Depth=1
	buffer_load_dword v126, v123, s[0:3], 0 offen
	buffer_load_dword v127, v123, s[0:3], 0 offen offset:4
	ds_read_b64 v[128:129], v122
	v_add_u32_e32 v124, 1, v124
	v_cmp_lt_u32_e32 vcc, 2, v124
	v_add_u32_e32 v122, 8, v122
	v_add_u32_e32 v123, 8, v123
	s_or_b64 s[10:11], vcc, s[10:11]
	s_waitcnt vmcnt(0) lgkmcnt(0)
	v_fmac_f64_e32 v[118:119], v[126:127], v[128:129]
	s_andn2_b64 exec, exec, s[10:11]
	s_cbranch_execnz .LBB121_597
; %bb.598:
	s_or_b64 exec, exec, s[10:11]
.LBB121_599:
	s_or_b64 exec, exec, s[8:9]
	v_mov_b32_e32 v122, 0
	ds_read_b64 v[122:123], v122 offset:32
	s_waitcnt lgkmcnt(0)
	v_mul_f64 v[118:119], v[118:119], v[122:123]
	buffer_store_dword v119, off, s[0:3], 0 offset:36
	buffer_store_dword v118, off, s[0:3], 0 offset:32
.LBB121_600:
	s_or_b64 exec, exec, s[6:7]
	buffer_load_dword v118, off, s[0:3], 0 offset:40
	buffer_load_dword v119, off, s[0:3], 0 offset:44
	v_cmp_gt_u32_e32 vcc, 5, v0
	s_waitcnt vmcnt(0)
	ds_write_b64 v120, v[118:119]
	s_waitcnt lgkmcnt(0)
	; wave barrier
	s_waitcnt lgkmcnt(0)
	s_and_saveexec_b64 s[6:7], vcc
	s_cbranch_execz .LBB121_610
; %bb.601:
	s_and_b64 vcc, exec, s[4:5]
	s_cbranch_vccnz .LBB121_603
; %bb.602:
	buffer_load_dword v118, v121, s[0:3], 0 offen
	buffer_load_dword v119, v121, s[0:3], 0 offen offset:4
	ds_read_b64 v[122:123], v120
	s_waitcnt vmcnt(0) lgkmcnt(0)
	v_mul_f64 v[118:119], v[118:119], v[122:123]
	s_cbranch_execz .LBB121_604
	s_branch .LBB121_605
.LBB121_603:
                                        ; implicit-def: $vgpr118_vgpr119
.LBB121_604:
	ds_read_b64 v[118:119], v120
.LBB121_605:
	v_cmp_ne_u32_e32 vcc, 4, v0
	s_and_saveexec_b64 s[8:9], vcc
	s_cbranch_execz .LBB121_609
; %bb.606:
	v_mov_b32_e32 v123, 0
	v_add_u32_e32 v122, 0x1d8, v1
	v_add3_u32 v123, v1, v123, 8
	s_mov_b64 s[10:11], 0
	v_mov_b32_e32 v124, v0
.LBB121_607:                            ; =>This Inner Loop Header: Depth=1
	buffer_load_dword v126, v123, s[0:3], 0 offen
	buffer_load_dword v127, v123, s[0:3], 0 offen offset:4
	ds_read_b64 v[128:129], v122
	v_add_u32_e32 v124, 1, v124
	v_cmp_lt_u32_e32 vcc, 3, v124
	v_add_u32_e32 v122, 8, v122
	v_add_u32_e32 v123, 8, v123
	s_or_b64 s[10:11], vcc, s[10:11]
	s_waitcnt vmcnt(0) lgkmcnt(0)
	v_fmac_f64_e32 v[118:119], v[126:127], v[128:129]
	s_andn2_b64 exec, exec, s[10:11]
	s_cbranch_execnz .LBB121_607
; %bb.608:
	s_or_b64 exec, exec, s[10:11]
.LBB121_609:
	s_or_b64 exec, exec, s[8:9]
	v_mov_b32_e32 v122, 0
	ds_read_b64 v[122:123], v122 offset:40
	s_waitcnt lgkmcnt(0)
	v_mul_f64 v[118:119], v[118:119], v[122:123]
	buffer_store_dword v119, off, s[0:3], 0 offset:44
	buffer_store_dword v118, off, s[0:3], 0 offset:40
.LBB121_610:
	;; [unrolled: 60-line block ×41, first 2 shown]
	s_or_b64 exec, exec, s[6:7]
	buffer_load_dword v118, off, s[0:3], 0 offset:360
	buffer_load_dword v119, off, s[0:3], 0 offset:364
	v_cmp_gt_u32_e32 vcc, 45, v0
	s_waitcnt vmcnt(0)
	ds_write_b64 v120, v[118:119]
	s_waitcnt lgkmcnt(0)
	; wave barrier
	s_waitcnt lgkmcnt(0)
	s_and_saveexec_b64 s[6:7], vcc
	s_cbranch_execz .LBB121_1010
; %bb.1001:
	s_and_b64 vcc, exec, s[4:5]
	s_cbranch_vccnz .LBB121_1003
; %bb.1002:
	buffer_load_dword v118, v121, s[0:3], 0 offen
	buffer_load_dword v119, v121, s[0:3], 0 offen offset:4
	ds_read_b64 v[122:123], v120
	s_waitcnt vmcnt(0) lgkmcnt(0)
	v_mul_f64 v[118:119], v[118:119], v[122:123]
	s_cbranch_execz .LBB121_1004
	s_branch .LBB121_1005
.LBB121_1003:
                                        ; implicit-def: $vgpr118_vgpr119
.LBB121_1004:
	ds_read_b64 v[118:119], v120
.LBB121_1005:
	v_cmp_ne_u32_e32 vcc, 44, v0
	s_and_saveexec_b64 s[8:9], vcc
	s_cbranch_execz .LBB121_1009
; %bb.1006:
	v_mov_b32_e32 v123, 0
	v_add_u32_e32 v122, 0x1d8, v1
	v_add3_u32 v123, v1, v123, 8
	s_mov_b64 s[10:11], 0
	v_mov_b32_e32 v124, v0
.LBB121_1007:                           ; =>This Inner Loop Header: Depth=1
	buffer_load_dword v126, v123, s[0:3], 0 offen
	buffer_load_dword v127, v123, s[0:3], 0 offen offset:4
	ds_read_b64 v[128:129], v122
	v_add_u32_e32 v124, 1, v124
	v_cmp_lt_u32_e32 vcc, 43, v124
	v_add_u32_e32 v122, 8, v122
	v_add_u32_e32 v123, 8, v123
	s_or_b64 s[10:11], vcc, s[10:11]
	s_waitcnt vmcnt(0) lgkmcnt(0)
	v_fmac_f64_e32 v[118:119], v[126:127], v[128:129]
	s_andn2_b64 exec, exec, s[10:11]
	s_cbranch_execnz .LBB121_1007
; %bb.1008:
	s_or_b64 exec, exec, s[10:11]
.LBB121_1009:
	s_or_b64 exec, exec, s[8:9]
	v_mov_b32_e32 v122, 0
	ds_read_b64 v[122:123], v122 offset:360
	s_waitcnt lgkmcnt(0)
	v_mul_f64 v[118:119], v[118:119], v[122:123]
	buffer_store_dword v119, off, s[0:3], 0 offset:364
	buffer_store_dword v118, off, s[0:3], 0 offset:360
.LBB121_1010:
	s_or_b64 exec, exec, s[6:7]
	buffer_load_dword v118, off, s[0:3], 0 offset:368
	buffer_load_dword v119, off, s[0:3], 0 offset:372
	v_cmp_gt_u32_e32 vcc, 46, v0
	s_waitcnt vmcnt(0)
	ds_write_b64 v120, v[118:119]
	s_waitcnt lgkmcnt(0)
	; wave barrier
	s_waitcnt lgkmcnt(0)
	s_and_saveexec_b64 s[6:7], vcc
	s_cbranch_execz .LBB121_1020
; %bb.1011:
	s_and_b64 vcc, exec, s[4:5]
	s_cbranch_vccnz .LBB121_1013
; %bb.1012:
	buffer_load_dword v118, v121, s[0:3], 0 offen
	buffer_load_dword v119, v121, s[0:3], 0 offen offset:4
	ds_read_b64 v[122:123], v120
	s_waitcnt vmcnt(0) lgkmcnt(0)
	v_mul_f64 v[118:119], v[118:119], v[122:123]
	s_cbranch_execz .LBB121_1014
	s_branch .LBB121_1015
.LBB121_1013:
                                        ; implicit-def: $vgpr118_vgpr119
.LBB121_1014:
	ds_read_b64 v[118:119], v120
.LBB121_1015:
	v_cmp_ne_u32_e32 vcc, 45, v0
	s_and_saveexec_b64 s[8:9], vcc
	s_cbranch_execz .LBB121_1019
; %bb.1016:
	v_mov_b32_e32 v123, 0
	v_add_u32_e32 v122, 0x1d8, v1
	v_add3_u32 v123, v1, v123, 8
	s_mov_b64 s[10:11], 0
	v_mov_b32_e32 v124, v0
.LBB121_1017:                           ; =>This Inner Loop Header: Depth=1
	buffer_load_dword v126, v123, s[0:3], 0 offen
	buffer_load_dword v127, v123, s[0:3], 0 offen offset:4
	ds_read_b64 v[128:129], v122
	v_add_u32_e32 v124, 1, v124
	v_cmp_lt_u32_e32 vcc, 44, v124
	v_add_u32_e32 v122, 8, v122
	v_add_u32_e32 v123, 8, v123
	s_or_b64 s[10:11], vcc, s[10:11]
	s_waitcnt vmcnt(0) lgkmcnt(0)
	v_fmac_f64_e32 v[118:119], v[126:127], v[128:129]
	s_andn2_b64 exec, exec, s[10:11]
	s_cbranch_execnz .LBB121_1017
; %bb.1018:
	s_or_b64 exec, exec, s[10:11]
.LBB121_1019:
	s_or_b64 exec, exec, s[8:9]
	v_mov_b32_e32 v122, 0
	ds_read_b64 v[122:123], v122 offset:368
	s_waitcnt lgkmcnt(0)
	v_mul_f64 v[118:119], v[118:119], v[122:123]
	buffer_store_dword v119, off, s[0:3], 0 offset:372
	buffer_store_dword v118, off, s[0:3], 0 offset:368
.LBB121_1020:
	s_or_b64 exec, exec, s[6:7]
	buffer_load_dword v118, off, s[0:3], 0 offset:376
	buffer_load_dword v119, off, s[0:3], 0 offset:380
	v_cmp_gt_u32_e32 vcc, 47, v0
	s_waitcnt vmcnt(0)
	ds_write_b64 v120, v[118:119]
	s_waitcnt lgkmcnt(0)
	; wave barrier
	s_waitcnt lgkmcnt(0)
	s_and_saveexec_b64 s[6:7], vcc
	s_cbranch_execz .LBB121_1030
; %bb.1021:
	s_and_b64 vcc, exec, s[4:5]
	s_cbranch_vccnz .LBB121_1023
; %bb.1022:
	buffer_load_dword v118, v121, s[0:3], 0 offen
	buffer_load_dword v119, v121, s[0:3], 0 offen offset:4
	ds_read_b64 v[122:123], v120
	s_waitcnt vmcnt(0) lgkmcnt(0)
	v_mul_f64 v[118:119], v[118:119], v[122:123]
	s_cbranch_execz .LBB121_1024
	s_branch .LBB121_1025
.LBB121_1023:
                                        ; implicit-def: $vgpr118_vgpr119
.LBB121_1024:
	ds_read_b64 v[118:119], v120
.LBB121_1025:
	v_cmp_ne_u32_e32 vcc, 46, v0
	s_and_saveexec_b64 s[8:9], vcc
	s_cbranch_execz .LBB121_1029
; %bb.1026:
	v_mov_b32_e32 v123, 0
	v_add_u32_e32 v122, 0x1d8, v1
	v_add3_u32 v123, v1, v123, 8
	s_mov_b64 s[10:11], 0
	v_mov_b32_e32 v124, v0
.LBB121_1027:                           ; =>This Inner Loop Header: Depth=1
	buffer_load_dword v126, v123, s[0:3], 0 offen
	buffer_load_dword v127, v123, s[0:3], 0 offen offset:4
	ds_read_b64 v[128:129], v122
	v_add_u32_e32 v124, 1, v124
	v_cmp_lt_u32_e32 vcc, 45, v124
	v_add_u32_e32 v122, 8, v122
	v_add_u32_e32 v123, 8, v123
	s_or_b64 s[10:11], vcc, s[10:11]
	s_waitcnt vmcnt(0) lgkmcnt(0)
	v_fmac_f64_e32 v[118:119], v[126:127], v[128:129]
	s_andn2_b64 exec, exec, s[10:11]
	s_cbranch_execnz .LBB121_1027
; %bb.1028:
	s_or_b64 exec, exec, s[10:11]
.LBB121_1029:
	s_or_b64 exec, exec, s[8:9]
	v_mov_b32_e32 v122, 0
	ds_read_b64 v[122:123], v122 offset:376
	s_waitcnt lgkmcnt(0)
	v_mul_f64 v[118:119], v[118:119], v[122:123]
	buffer_store_dword v119, off, s[0:3], 0 offset:380
	buffer_store_dword v118, off, s[0:3], 0 offset:376
.LBB121_1030:
	s_or_b64 exec, exec, s[6:7]
	buffer_load_dword v118, off, s[0:3], 0 offset:384
	buffer_load_dword v119, off, s[0:3], 0 offset:388
	v_cmp_gt_u32_e32 vcc, 48, v0
	s_waitcnt vmcnt(0)
	ds_write_b64 v120, v[118:119]
	s_waitcnt lgkmcnt(0)
	; wave barrier
	s_waitcnt lgkmcnt(0)
	s_and_saveexec_b64 s[6:7], vcc
	s_cbranch_execz .LBB121_1040
; %bb.1031:
	s_and_b64 vcc, exec, s[4:5]
	s_cbranch_vccnz .LBB121_1033
; %bb.1032:
	buffer_load_dword v118, v121, s[0:3], 0 offen
	buffer_load_dword v119, v121, s[0:3], 0 offen offset:4
	ds_read_b64 v[122:123], v120
	s_waitcnt vmcnt(0) lgkmcnt(0)
	v_mul_f64 v[118:119], v[118:119], v[122:123]
	s_cbranch_execz .LBB121_1034
	s_branch .LBB121_1035
.LBB121_1033:
                                        ; implicit-def: $vgpr118_vgpr119
.LBB121_1034:
	ds_read_b64 v[118:119], v120
.LBB121_1035:
	v_cmp_ne_u32_e32 vcc, 47, v0
	s_and_saveexec_b64 s[8:9], vcc
	s_cbranch_execz .LBB121_1039
; %bb.1036:
	v_mov_b32_e32 v123, 0
	v_add_u32_e32 v122, 0x1d8, v1
	v_add3_u32 v123, v1, v123, 8
	s_mov_b64 s[10:11], 0
	v_mov_b32_e32 v124, v0
.LBB121_1037:                           ; =>This Inner Loop Header: Depth=1
	buffer_load_dword v126, v123, s[0:3], 0 offen
	buffer_load_dword v127, v123, s[0:3], 0 offen offset:4
	ds_read_b64 v[128:129], v122
	v_add_u32_e32 v124, 1, v124
	v_cmp_lt_u32_e32 vcc, 46, v124
	v_add_u32_e32 v122, 8, v122
	v_add_u32_e32 v123, 8, v123
	s_or_b64 s[10:11], vcc, s[10:11]
	s_waitcnt vmcnt(0) lgkmcnt(0)
	v_fmac_f64_e32 v[118:119], v[126:127], v[128:129]
	s_andn2_b64 exec, exec, s[10:11]
	s_cbranch_execnz .LBB121_1037
; %bb.1038:
	s_or_b64 exec, exec, s[10:11]
.LBB121_1039:
	s_or_b64 exec, exec, s[8:9]
	v_mov_b32_e32 v122, 0
	ds_read_b64 v[122:123], v122 offset:384
	s_waitcnt lgkmcnt(0)
	v_mul_f64 v[118:119], v[118:119], v[122:123]
	buffer_store_dword v119, off, s[0:3], 0 offset:388
	buffer_store_dword v118, off, s[0:3], 0 offset:384
.LBB121_1040:
	s_or_b64 exec, exec, s[6:7]
	buffer_load_dword v118, off, s[0:3], 0 offset:392
	buffer_load_dword v119, off, s[0:3], 0 offset:396
	v_cmp_gt_u32_e32 vcc, 49, v0
	s_waitcnt vmcnt(0)
	ds_write_b64 v120, v[118:119]
	s_waitcnt lgkmcnt(0)
	; wave barrier
	s_waitcnt lgkmcnt(0)
	s_and_saveexec_b64 s[6:7], vcc
	s_cbranch_execz .LBB121_1050
; %bb.1041:
	s_and_b64 vcc, exec, s[4:5]
	s_cbranch_vccnz .LBB121_1043
; %bb.1042:
	buffer_load_dword v118, v121, s[0:3], 0 offen
	buffer_load_dword v119, v121, s[0:3], 0 offen offset:4
	ds_read_b64 v[122:123], v120
	s_waitcnt vmcnt(0) lgkmcnt(0)
	v_mul_f64 v[118:119], v[118:119], v[122:123]
	s_cbranch_execz .LBB121_1044
	s_branch .LBB121_1045
.LBB121_1043:
                                        ; implicit-def: $vgpr118_vgpr119
.LBB121_1044:
	ds_read_b64 v[118:119], v120
.LBB121_1045:
	v_cmp_ne_u32_e32 vcc, 48, v0
	s_and_saveexec_b64 s[8:9], vcc
	s_cbranch_execz .LBB121_1049
; %bb.1046:
	v_mov_b32_e32 v123, 0
	v_add_u32_e32 v122, 0x1d8, v1
	v_add3_u32 v123, v1, v123, 8
	s_mov_b64 s[10:11], 0
	v_mov_b32_e32 v124, v0
.LBB121_1047:                           ; =>This Inner Loop Header: Depth=1
	buffer_load_dword v126, v123, s[0:3], 0 offen
	buffer_load_dword v127, v123, s[0:3], 0 offen offset:4
	ds_read_b64 v[128:129], v122
	v_add_u32_e32 v124, 1, v124
	v_cmp_lt_u32_e32 vcc, 47, v124
	v_add_u32_e32 v122, 8, v122
	v_add_u32_e32 v123, 8, v123
	s_or_b64 s[10:11], vcc, s[10:11]
	s_waitcnt vmcnt(0) lgkmcnt(0)
	v_fmac_f64_e32 v[118:119], v[126:127], v[128:129]
	s_andn2_b64 exec, exec, s[10:11]
	s_cbranch_execnz .LBB121_1047
; %bb.1048:
	s_or_b64 exec, exec, s[10:11]
.LBB121_1049:
	s_or_b64 exec, exec, s[8:9]
	v_mov_b32_e32 v122, 0
	ds_read_b64 v[122:123], v122 offset:392
	s_waitcnt lgkmcnt(0)
	v_mul_f64 v[118:119], v[118:119], v[122:123]
	buffer_store_dword v119, off, s[0:3], 0 offset:396
	buffer_store_dword v118, off, s[0:3], 0 offset:392
.LBB121_1050:
	s_or_b64 exec, exec, s[6:7]
	buffer_load_dword v118, off, s[0:3], 0 offset:400
	buffer_load_dword v119, off, s[0:3], 0 offset:404
	v_cmp_gt_u32_e32 vcc, 50, v0
	s_waitcnt vmcnt(0)
	ds_write_b64 v120, v[118:119]
	s_waitcnt lgkmcnt(0)
	; wave barrier
	s_waitcnt lgkmcnt(0)
	s_and_saveexec_b64 s[6:7], vcc
	s_cbranch_execz .LBB121_1060
; %bb.1051:
	s_and_b64 vcc, exec, s[4:5]
	s_cbranch_vccnz .LBB121_1053
; %bb.1052:
	buffer_load_dword v118, v121, s[0:3], 0 offen
	buffer_load_dword v119, v121, s[0:3], 0 offen offset:4
	ds_read_b64 v[122:123], v120
	s_waitcnt vmcnt(0) lgkmcnt(0)
	v_mul_f64 v[118:119], v[118:119], v[122:123]
	s_cbranch_execz .LBB121_1054
	s_branch .LBB121_1055
.LBB121_1053:
                                        ; implicit-def: $vgpr118_vgpr119
.LBB121_1054:
	ds_read_b64 v[118:119], v120
.LBB121_1055:
	v_cmp_ne_u32_e32 vcc, 49, v0
	s_and_saveexec_b64 s[8:9], vcc
	s_cbranch_execz .LBB121_1059
; %bb.1056:
	v_mov_b32_e32 v123, 0
	v_add_u32_e32 v122, 0x1d8, v1
	v_add3_u32 v123, v1, v123, 8
	s_mov_b64 s[10:11], 0
	v_mov_b32_e32 v124, v0
.LBB121_1057:                           ; =>This Inner Loop Header: Depth=1
	buffer_load_dword v126, v123, s[0:3], 0 offen
	buffer_load_dword v127, v123, s[0:3], 0 offen offset:4
	ds_read_b64 v[128:129], v122
	v_add_u32_e32 v124, 1, v124
	v_cmp_lt_u32_e32 vcc, 48, v124
	v_add_u32_e32 v122, 8, v122
	v_add_u32_e32 v123, 8, v123
	s_or_b64 s[10:11], vcc, s[10:11]
	s_waitcnt vmcnt(0) lgkmcnt(0)
	v_fmac_f64_e32 v[118:119], v[126:127], v[128:129]
	s_andn2_b64 exec, exec, s[10:11]
	s_cbranch_execnz .LBB121_1057
; %bb.1058:
	s_or_b64 exec, exec, s[10:11]
.LBB121_1059:
	s_or_b64 exec, exec, s[8:9]
	v_mov_b32_e32 v122, 0
	ds_read_b64 v[122:123], v122 offset:400
	s_waitcnt lgkmcnt(0)
	v_mul_f64 v[118:119], v[118:119], v[122:123]
	buffer_store_dword v119, off, s[0:3], 0 offset:404
	buffer_store_dword v118, off, s[0:3], 0 offset:400
.LBB121_1060:
	s_or_b64 exec, exec, s[6:7]
	buffer_load_dword v118, off, s[0:3], 0 offset:408
	buffer_load_dword v119, off, s[0:3], 0 offset:412
	v_cmp_gt_u32_e32 vcc, 51, v0
	s_waitcnt vmcnt(0)
	ds_write_b64 v120, v[118:119]
	s_waitcnt lgkmcnt(0)
	; wave barrier
	s_waitcnt lgkmcnt(0)
	s_and_saveexec_b64 s[6:7], vcc
	s_cbranch_execz .LBB121_1070
; %bb.1061:
	s_and_b64 vcc, exec, s[4:5]
	s_cbranch_vccnz .LBB121_1063
; %bb.1062:
	buffer_load_dword v118, v121, s[0:3], 0 offen
	buffer_load_dword v119, v121, s[0:3], 0 offen offset:4
	ds_read_b64 v[122:123], v120
	s_waitcnt vmcnt(0) lgkmcnt(0)
	v_mul_f64 v[118:119], v[118:119], v[122:123]
	s_cbranch_execz .LBB121_1064
	s_branch .LBB121_1065
.LBB121_1063:
                                        ; implicit-def: $vgpr118_vgpr119
.LBB121_1064:
	ds_read_b64 v[118:119], v120
.LBB121_1065:
	v_cmp_ne_u32_e32 vcc, 50, v0
	s_and_saveexec_b64 s[8:9], vcc
	s_cbranch_execz .LBB121_1069
; %bb.1066:
	v_mov_b32_e32 v123, 0
	v_add_u32_e32 v122, 0x1d8, v1
	v_add3_u32 v123, v1, v123, 8
	s_mov_b64 s[10:11], 0
	v_mov_b32_e32 v124, v0
.LBB121_1067:                           ; =>This Inner Loop Header: Depth=1
	buffer_load_dword v126, v123, s[0:3], 0 offen
	buffer_load_dword v127, v123, s[0:3], 0 offen offset:4
	ds_read_b64 v[128:129], v122
	v_add_u32_e32 v124, 1, v124
	v_cmp_lt_u32_e32 vcc, 49, v124
	v_add_u32_e32 v122, 8, v122
	v_add_u32_e32 v123, 8, v123
	s_or_b64 s[10:11], vcc, s[10:11]
	s_waitcnt vmcnt(0) lgkmcnt(0)
	v_fmac_f64_e32 v[118:119], v[126:127], v[128:129]
	s_andn2_b64 exec, exec, s[10:11]
	s_cbranch_execnz .LBB121_1067
; %bb.1068:
	s_or_b64 exec, exec, s[10:11]
.LBB121_1069:
	s_or_b64 exec, exec, s[8:9]
	v_mov_b32_e32 v122, 0
	ds_read_b64 v[122:123], v122 offset:408
	s_waitcnt lgkmcnt(0)
	v_mul_f64 v[118:119], v[118:119], v[122:123]
	buffer_store_dword v119, off, s[0:3], 0 offset:412
	buffer_store_dword v118, off, s[0:3], 0 offset:408
.LBB121_1070:
	s_or_b64 exec, exec, s[6:7]
	buffer_load_dword v118, off, s[0:3], 0 offset:416
	buffer_load_dword v119, off, s[0:3], 0 offset:420
	v_cmp_gt_u32_e32 vcc, 52, v0
	s_waitcnt vmcnt(0)
	ds_write_b64 v120, v[118:119]
	s_waitcnt lgkmcnt(0)
	; wave barrier
	s_waitcnt lgkmcnt(0)
	s_and_saveexec_b64 s[6:7], vcc
	s_cbranch_execz .LBB121_1080
; %bb.1071:
	s_and_b64 vcc, exec, s[4:5]
	s_cbranch_vccnz .LBB121_1073
; %bb.1072:
	buffer_load_dword v118, v121, s[0:3], 0 offen
	buffer_load_dword v119, v121, s[0:3], 0 offen offset:4
	ds_read_b64 v[122:123], v120
	s_waitcnt vmcnt(0) lgkmcnt(0)
	v_mul_f64 v[118:119], v[118:119], v[122:123]
	s_cbranch_execz .LBB121_1074
	s_branch .LBB121_1075
.LBB121_1073:
                                        ; implicit-def: $vgpr118_vgpr119
.LBB121_1074:
	ds_read_b64 v[118:119], v120
.LBB121_1075:
	v_cmp_ne_u32_e32 vcc, 51, v0
	s_and_saveexec_b64 s[8:9], vcc
	s_cbranch_execz .LBB121_1079
; %bb.1076:
	v_mov_b32_e32 v123, 0
	v_add_u32_e32 v122, 0x1d8, v1
	v_add3_u32 v123, v1, v123, 8
	s_mov_b64 s[10:11], 0
	v_mov_b32_e32 v124, v0
.LBB121_1077:                           ; =>This Inner Loop Header: Depth=1
	buffer_load_dword v126, v123, s[0:3], 0 offen
	buffer_load_dword v127, v123, s[0:3], 0 offen offset:4
	ds_read_b64 v[128:129], v122
	v_add_u32_e32 v124, 1, v124
	v_cmp_lt_u32_e32 vcc, 50, v124
	v_add_u32_e32 v122, 8, v122
	v_add_u32_e32 v123, 8, v123
	s_or_b64 s[10:11], vcc, s[10:11]
	s_waitcnt vmcnt(0) lgkmcnt(0)
	v_fmac_f64_e32 v[118:119], v[126:127], v[128:129]
	s_andn2_b64 exec, exec, s[10:11]
	s_cbranch_execnz .LBB121_1077
; %bb.1078:
	s_or_b64 exec, exec, s[10:11]
.LBB121_1079:
	s_or_b64 exec, exec, s[8:9]
	v_mov_b32_e32 v122, 0
	ds_read_b64 v[122:123], v122 offset:416
	s_waitcnt lgkmcnt(0)
	v_mul_f64 v[118:119], v[118:119], v[122:123]
	buffer_store_dword v119, off, s[0:3], 0 offset:420
	buffer_store_dword v118, off, s[0:3], 0 offset:416
.LBB121_1080:
	s_or_b64 exec, exec, s[6:7]
	buffer_load_dword v118, off, s[0:3], 0 offset:424
	buffer_load_dword v119, off, s[0:3], 0 offset:428
	v_cmp_gt_u32_e32 vcc, 53, v0
	s_waitcnt vmcnt(0)
	ds_write_b64 v120, v[118:119]
	s_waitcnt lgkmcnt(0)
	; wave barrier
	s_waitcnt lgkmcnt(0)
	s_and_saveexec_b64 s[6:7], vcc
	s_cbranch_execz .LBB121_1090
; %bb.1081:
	s_and_b64 vcc, exec, s[4:5]
	s_cbranch_vccnz .LBB121_1083
; %bb.1082:
	buffer_load_dword v118, v121, s[0:3], 0 offen
	buffer_load_dword v119, v121, s[0:3], 0 offen offset:4
	ds_read_b64 v[122:123], v120
	s_waitcnt vmcnt(0) lgkmcnt(0)
	v_mul_f64 v[118:119], v[118:119], v[122:123]
	s_cbranch_execz .LBB121_1084
	s_branch .LBB121_1085
.LBB121_1083:
                                        ; implicit-def: $vgpr118_vgpr119
.LBB121_1084:
	ds_read_b64 v[118:119], v120
.LBB121_1085:
	v_cmp_ne_u32_e32 vcc, 52, v0
	s_and_saveexec_b64 s[8:9], vcc
	s_cbranch_execz .LBB121_1089
; %bb.1086:
	v_mov_b32_e32 v123, 0
	v_add_u32_e32 v122, 0x1d8, v1
	v_add3_u32 v123, v1, v123, 8
	s_mov_b64 s[10:11], 0
	v_mov_b32_e32 v124, v0
.LBB121_1087:                           ; =>This Inner Loop Header: Depth=1
	buffer_load_dword v126, v123, s[0:3], 0 offen
	buffer_load_dword v127, v123, s[0:3], 0 offen offset:4
	ds_read_b64 v[128:129], v122
	v_add_u32_e32 v124, 1, v124
	v_cmp_lt_u32_e32 vcc, 51, v124
	v_add_u32_e32 v122, 8, v122
	v_add_u32_e32 v123, 8, v123
	s_or_b64 s[10:11], vcc, s[10:11]
	s_waitcnt vmcnt(0) lgkmcnt(0)
	v_fmac_f64_e32 v[118:119], v[126:127], v[128:129]
	s_andn2_b64 exec, exec, s[10:11]
	s_cbranch_execnz .LBB121_1087
; %bb.1088:
	s_or_b64 exec, exec, s[10:11]
.LBB121_1089:
	s_or_b64 exec, exec, s[8:9]
	v_mov_b32_e32 v122, 0
	ds_read_b64 v[122:123], v122 offset:424
	s_waitcnt lgkmcnt(0)
	v_mul_f64 v[118:119], v[118:119], v[122:123]
	buffer_store_dword v119, off, s[0:3], 0 offset:428
	buffer_store_dword v118, off, s[0:3], 0 offset:424
.LBB121_1090:
	s_or_b64 exec, exec, s[6:7]
	buffer_load_dword v118, off, s[0:3], 0 offset:432
	buffer_load_dword v119, off, s[0:3], 0 offset:436
	v_cmp_gt_u32_e32 vcc, 54, v0
	s_waitcnt vmcnt(0)
	ds_write_b64 v120, v[118:119]
	s_waitcnt lgkmcnt(0)
	; wave barrier
	s_waitcnt lgkmcnt(0)
	s_and_saveexec_b64 s[6:7], vcc
	s_cbranch_execz .LBB121_1100
; %bb.1091:
	s_and_b64 vcc, exec, s[4:5]
	s_cbranch_vccnz .LBB121_1093
; %bb.1092:
	buffer_load_dword v118, v121, s[0:3], 0 offen
	buffer_load_dword v119, v121, s[0:3], 0 offen offset:4
	ds_read_b64 v[122:123], v120
	s_waitcnt vmcnt(0) lgkmcnt(0)
	v_mul_f64 v[118:119], v[118:119], v[122:123]
	s_cbranch_execz .LBB121_1094
	s_branch .LBB121_1095
.LBB121_1093:
                                        ; implicit-def: $vgpr118_vgpr119
.LBB121_1094:
	ds_read_b64 v[118:119], v120
.LBB121_1095:
	v_cmp_ne_u32_e32 vcc, 53, v0
	s_and_saveexec_b64 s[8:9], vcc
	s_cbranch_execz .LBB121_1099
; %bb.1096:
	v_mov_b32_e32 v123, 0
	v_add_u32_e32 v122, 0x1d8, v1
	v_add3_u32 v123, v1, v123, 8
	s_mov_b64 s[10:11], 0
	v_mov_b32_e32 v124, v0
.LBB121_1097:                           ; =>This Inner Loop Header: Depth=1
	buffer_load_dword v126, v123, s[0:3], 0 offen
	buffer_load_dword v127, v123, s[0:3], 0 offen offset:4
	ds_read_b64 v[128:129], v122
	v_add_u32_e32 v124, 1, v124
	v_cmp_lt_u32_e32 vcc, 52, v124
	v_add_u32_e32 v122, 8, v122
	v_add_u32_e32 v123, 8, v123
	s_or_b64 s[10:11], vcc, s[10:11]
	s_waitcnt vmcnt(0) lgkmcnt(0)
	v_fmac_f64_e32 v[118:119], v[126:127], v[128:129]
	s_andn2_b64 exec, exec, s[10:11]
	s_cbranch_execnz .LBB121_1097
; %bb.1098:
	s_or_b64 exec, exec, s[10:11]
.LBB121_1099:
	s_or_b64 exec, exec, s[8:9]
	v_mov_b32_e32 v122, 0
	ds_read_b64 v[122:123], v122 offset:432
	s_waitcnt lgkmcnt(0)
	v_mul_f64 v[118:119], v[118:119], v[122:123]
	buffer_store_dword v119, off, s[0:3], 0 offset:436
	buffer_store_dword v118, off, s[0:3], 0 offset:432
.LBB121_1100:
	s_or_b64 exec, exec, s[6:7]
	buffer_load_dword v118, off, s[0:3], 0 offset:440
	buffer_load_dword v119, off, s[0:3], 0 offset:444
	v_cmp_gt_u32_e32 vcc, 55, v0
	s_waitcnt vmcnt(0)
	ds_write_b64 v120, v[118:119]
	s_waitcnt lgkmcnt(0)
	; wave barrier
	s_waitcnt lgkmcnt(0)
	s_and_saveexec_b64 s[6:7], vcc
	s_cbranch_execz .LBB121_1110
; %bb.1101:
	s_and_b64 vcc, exec, s[4:5]
	s_cbranch_vccnz .LBB121_1103
; %bb.1102:
	buffer_load_dword v118, v121, s[0:3], 0 offen
	buffer_load_dword v119, v121, s[0:3], 0 offen offset:4
	ds_read_b64 v[122:123], v120
	s_waitcnt vmcnt(0) lgkmcnt(0)
	v_mul_f64 v[118:119], v[118:119], v[122:123]
	s_cbranch_execz .LBB121_1104
	s_branch .LBB121_1105
.LBB121_1103:
                                        ; implicit-def: $vgpr118_vgpr119
.LBB121_1104:
	ds_read_b64 v[118:119], v120
.LBB121_1105:
	v_cmp_ne_u32_e32 vcc, 54, v0
	s_and_saveexec_b64 s[8:9], vcc
	s_cbranch_execz .LBB121_1109
; %bb.1106:
	v_mov_b32_e32 v123, 0
	v_add_u32_e32 v122, 0x1d8, v1
	v_add3_u32 v123, v1, v123, 8
	s_mov_b64 s[10:11], 0
	v_mov_b32_e32 v124, v0
.LBB121_1107:                           ; =>This Inner Loop Header: Depth=1
	buffer_load_dword v126, v123, s[0:3], 0 offen
	buffer_load_dword v127, v123, s[0:3], 0 offen offset:4
	ds_read_b64 v[128:129], v122
	v_add_u32_e32 v124, 1, v124
	v_cmp_lt_u32_e32 vcc, 53, v124
	v_add_u32_e32 v122, 8, v122
	v_add_u32_e32 v123, 8, v123
	s_or_b64 s[10:11], vcc, s[10:11]
	s_waitcnt vmcnt(0) lgkmcnt(0)
	v_fmac_f64_e32 v[118:119], v[126:127], v[128:129]
	s_andn2_b64 exec, exec, s[10:11]
	s_cbranch_execnz .LBB121_1107
; %bb.1108:
	s_or_b64 exec, exec, s[10:11]
.LBB121_1109:
	s_or_b64 exec, exec, s[8:9]
	v_mov_b32_e32 v122, 0
	ds_read_b64 v[122:123], v122 offset:440
	s_waitcnt lgkmcnt(0)
	v_mul_f64 v[118:119], v[118:119], v[122:123]
	buffer_store_dword v119, off, s[0:3], 0 offset:444
	buffer_store_dword v118, off, s[0:3], 0 offset:440
.LBB121_1110:
	s_or_b64 exec, exec, s[6:7]
	buffer_load_dword v118, off, s[0:3], 0 offset:448
	buffer_load_dword v119, off, s[0:3], 0 offset:452
	v_cmp_gt_u32_e64 s[6:7], 56, v0
	s_waitcnt vmcnt(0)
	ds_write_b64 v120, v[118:119]
	s_waitcnt lgkmcnt(0)
	; wave barrier
	s_waitcnt lgkmcnt(0)
	s_and_saveexec_b64 s[8:9], s[6:7]
	s_cbranch_execz .LBB121_1120
; %bb.1111:
	s_and_b64 vcc, exec, s[4:5]
	s_cbranch_vccnz .LBB121_1113
; %bb.1112:
	buffer_load_dword v118, v121, s[0:3], 0 offen
	buffer_load_dword v119, v121, s[0:3], 0 offen offset:4
	ds_read_b64 v[122:123], v120
	s_waitcnt vmcnt(0) lgkmcnt(0)
	v_mul_f64 v[118:119], v[118:119], v[122:123]
	s_cbranch_execz .LBB121_1114
	s_branch .LBB121_1115
.LBB121_1113:
                                        ; implicit-def: $vgpr118_vgpr119
.LBB121_1114:
	ds_read_b64 v[118:119], v120
.LBB121_1115:
	v_cmp_ne_u32_e32 vcc, 55, v0
	s_and_saveexec_b64 s[10:11], vcc
	s_cbranch_execz .LBB121_1119
; %bb.1116:
	v_mov_b32_e32 v123, 0
	v_add_u32_e32 v122, 0x1d8, v1
	v_add3_u32 v123, v1, v123, 8
	s_mov_b64 s[12:13], 0
	v_mov_b32_e32 v124, v0
.LBB121_1117:                           ; =>This Inner Loop Header: Depth=1
	buffer_load_dword v126, v123, s[0:3], 0 offen
	buffer_load_dword v127, v123, s[0:3], 0 offen offset:4
	ds_read_b64 v[128:129], v122
	v_add_u32_e32 v124, 1, v124
	v_cmp_lt_u32_e32 vcc, 54, v124
	v_add_u32_e32 v122, 8, v122
	v_add_u32_e32 v123, 8, v123
	s_or_b64 s[12:13], vcc, s[12:13]
	s_waitcnt vmcnt(0) lgkmcnt(0)
	v_fmac_f64_e32 v[118:119], v[126:127], v[128:129]
	s_andn2_b64 exec, exec, s[12:13]
	s_cbranch_execnz .LBB121_1117
; %bb.1118:
	s_or_b64 exec, exec, s[12:13]
.LBB121_1119:
	s_or_b64 exec, exec, s[10:11]
	v_mov_b32_e32 v122, 0
	ds_read_b64 v[122:123], v122 offset:448
	s_waitcnt lgkmcnt(0)
	v_mul_f64 v[118:119], v[118:119], v[122:123]
	buffer_store_dword v119, off, s[0:3], 0 offset:452
	buffer_store_dword v118, off, s[0:3], 0 offset:448
.LBB121_1120:
	s_or_b64 exec, exec, s[8:9]
	buffer_load_dword v118, off, s[0:3], 0 offset:456
	buffer_load_dword v119, off, s[0:3], 0 offset:460
	v_cmp_ne_u32_e32 vcc, 57, v0
	s_waitcnt vmcnt(0)
	ds_write_b64 v120, v[118:119]
	s_waitcnt lgkmcnt(0)
	; wave barrier
	s_waitcnt lgkmcnt(0)
	s_and_saveexec_b64 s[8:9], vcc
	s_cbranch_execz .LBB121_1130
; %bb.1121:
	s_and_b64 vcc, exec, s[4:5]
	s_cbranch_vccnz .LBB121_1123
; %bb.1122:
	buffer_load_dword v118, v121, s[0:3], 0 offen
	buffer_load_dword v119, v121, s[0:3], 0 offen offset:4
	ds_read_b64 v[122:123], v120
	s_waitcnt vmcnt(0) lgkmcnt(0)
	v_mul_f64 v[118:119], v[118:119], v[122:123]
	s_cbranch_execz .LBB121_1124
	s_branch .LBB121_1125
.LBB121_1123:
                                        ; implicit-def: $vgpr118_vgpr119
.LBB121_1124:
	ds_read_b64 v[118:119], v120
.LBB121_1125:
	s_and_saveexec_b64 s[4:5], s[6:7]
	s_cbranch_execz .LBB121_1129
; %bb.1126:
	v_mov_b32_e32 v121, 0
	v_add_u32_e32 v120, 0x1d8, v1
	v_add3_u32 v1, v1, v121, 8
	s_mov_b64 s[6:7], 0
.LBB121_1127:                           ; =>This Inner Loop Header: Depth=1
	buffer_load_dword v122, v1, s[0:3], 0 offen
	buffer_load_dword v123, v1, s[0:3], 0 offen offset:4
	ds_read_b64 v[124:125], v120
	v_add_u32_e32 v0, 1, v0
	v_cmp_lt_u32_e32 vcc, 55, v0
	v_add_u32_e32 v120, 8, v120
	v_add_u32_e32 v1, 8, v1
	s_or_b64 s[6:7], vcc, s[6:7]
	s_waitcnt vmcnt(0) lgkmcnt(0)
	v_fmac_f64_e32 v[118:119], v[122:123], v[124:125]
	s_andn2_b64 exec, exec, s[6:7]
	s_cbranch_execnz .LBB121_1127
; %bb.1128:
	s_or_b64 exec, exec, s[6:7]
.LBB121_1129:
	s_or_b64 exec, exec, s[4:5]
	v_mov_b32_e32 v0, 0
	ds_read_b64 v[0:1], v0 offset:456
	s_waitcnt lgkmcnt(0)
	v_mul_f64 v[0:1], v[118:119], v[0:1]
	buffer_store_dword v1, off, s[0:3], 0 offset:460
	buffer_store_dword v0, off, s[0:3], 0 offset:456
.LBB121_1130:
	s_or_b64 exec, exec, s[8:9]
.LBB121_1131:
	buffer_load_dword v0, off, s[0:3], 0
	buffer_load_dword v1, off, s[0:3], 0 offset:4
	buffer_load_dword v118, off, s[0:3], 0 offset:8
	;; [unrolled: 1-line block ×115, first 2 shown]
	s_waitcnt vmcnt(62)
	global_store_dwordx2 v[108:109], v[0:1], off
	global_store_dwordx2 v[110:111], v[118:119], off
	;; [unrolled: 1-line block ×27, first 2 shown]
	s_waitcnt vmcnt(62)
	global_store_dwordx2 v[52:53], v[170:171], off
	global_store_dwordx2 v[54:55], v[172:173], off
	;; [unrolled: 1-line block ×13, first 2 shown]
	s_waitcnt vmcnt(62)
	global_store_dwordx2 v[78:79], v[196:197], off
	global_store_dwordx2 v[80:81], v[198:199], off
	;; [unrolled: 1-line block ×7, first 2 shown]
	s_waitcnt vmcnt(62)
	global_store_dwordx2 v[92:93], v[210:211], off
	global_store_dwordx2 v[94:95], v[212:213], off
	;; [unrolled: 1-line block ×3, first 2 shown]
	s_waitcnt vmcnt(62)
	global_store_dwordx2 v[98:99], v[216:217], off
	global_store_dwordx2 v[100:101], v[218:219], off
	s_waitcnt vmcnt(62)
	global_store_dwordx2 v[102:103], v[220:221], off
	s_waitcnt vmcnt(61)
	;; [unrolled: 2-line block ×6, first 2 shown]
	global_store_dwordx2 v[116:117], v[230:231], off
.LBB121_1132:
	s_endpgm
	.section	.rodata,"a",@progbits
	.p2align	6, 0x0
	.amdhsa_kernel _ZN9rocsolver6v33100L18trti2_kernel_smallILi58EdPKPdEEv13rocblas_fill_17rocblas_diagonal_T1_iil
		.amdhsa_group_segment_fixed_size 928
		.amdhsa_private_segment_fixed_size 480
		.amdhsa_kernarg_size 32
		.amdhsa_user_sgpr_count 8
		.amdhsa_user_sgpr_private_segment_buffer 1
		.amdhsa_user_sgpr_dispatch_ptr 0
		.amdhsa_user_sgpr_queue_ptr 0
		.amdhsa_user_sgpr_kernarg_segment_ptr 1
		.amdhsa_user_sgpr_dispatch_id 0
		.amdhsa_user_sgpr_flat_scratch_init 1
		.amdhsa_user_sgpr_kernarg_preload_length 0
		.amdhsa_user_sgpr_kernarg_preload_offset 0
		.amdhsa_user_sgpr_private_segment_size 0
		.amdhsa_uses_dynamic_stack 0
		.amdhsa_system_sgpr_private_segment_wavefront_offset 1
		.amdhsa_system_sgpr_workgroup_id_x 1
		.amdhsa_system_sgpr_workgroup_id_y 0
		.amdhsa_system_sgpr_workgroup_id_z 0
		.amdhsa_system_sgpr_workgroup_info 0
		.amdhsa_system_vgpr_workitem_id 0
		.amdhsa_next_free_vgpr 232
		.amdhsa_next_free_sgpr 16
		.amdhsa_accum_offset 232
		.amdhsa_reserve_vcc 1
		.amdhsa_reserve_flat_scratch 0
		.amdhsa_float_round_mode_32 0
		.amdhsa_float_round_mode_16_64 0
		.amdhsa_float_denorm_mode_32 3
		.amdhsa_float_denorm_mode_16_64 3
		.amdhsa_dx10_clamp 1
		.amdhsa_ieee_mode 1
		.amdhsa_fp16_overflow 0
		.amdhsa_tg_split 0
		.amdhsa_exception_fp_ieee_invalid_op 0
		.amdhsa_exception_fp_denorm_src 0
		.amdhsa_exception_fp_ieee_div_zero 0
		.amdhsa_exception_fp_ieee_overflow 0
		.amdhsa_exception_fp_ieee_underflow 0
		.amdhsa_exception_fp_ieee_inexact 0
		.amdhsa_exception_int_div_zero 0
	.end_amdhsa_kernel
	.section	.text._ZN9rocsolver6v33100L18trti2_kernel_smallILi58EdPKPdEEv13rocblas_fill_17rocblas_diagonal_T1_iil,"axG",@progbits,_ZN9rocsolver6v33100L18trti2_kernel_smallILi58EdPKPdEEv13rocblas_fill_17rocblas_diagonal_T1_iil,comdat
.Lfunc_end121:
	.size	_ZN9rocsolver6v33100L18trti2_kernel_smallILi58EdPKPdEEv13rocblas_fill_17rocblas_diagonal_T1_iil, .Lfunc_end121-_ZN9rocsolver6v33100L18trti2_kernel_smallILi58EdPKPdEEv13rocblas_fill_17rocblas_diagonal_T1_iil
                                        ; -- End function
	.section	.AMDGPU.csdata,"",@progbits
; Kernel info:
; codeLenInByte = 33700
; NumSgprs: 20
; NumVgprs: 232
; NumAgprs: 0
; TotalNumVgprs: 232
; ScratchSize: 480
; MemoryBound: 0
; FloatMode: 240
; IeeeMode: 1
; LDSByteSize: 928 bytes/workgroup (compile time only)
; SGPRBlocks: 2
; VGPRBlocks: 28
; NumSGPRsForWavesPerEU: 20
; NumVGPRsForWavesPerEU: 232
; AccumOffset: 232
; Occupancy: 2
; WaveLimiterHint : 1
; COMPUTE_PGM_RSRC2:SCRATCH_EN: 1
; COMPUTE_PGM_RSRC2:USER_SGPR: 8
; COMPUTE_PGM_RSRC2:TRAP_HANDLER: 0
; COMPUTE_PGM_RSRC2:TGID_X_EN: 1
; COMPUTE_PGM_RSRC2:TGID_Y_EN: 0
; COMPUTE_PGM_RSRC2:TGID_Z_EN: 0
; COMPUTE_PGM_RSRC2:TIDIG_COMP_CNT: 0
; COMPUTE_PGM_RSRC3_GFX90A:ACCUM_OFFSET: 57
; COMPUTE_PGM_RSRC3_GFX90A:TG_SPLIT: 0
	.section	.text._ZN9rocsolver6v33100L18trti2_kernel_smallILi59EdPKPdEEv13rocblas_fill_17rocblas_diagonal_T1_iil,"axG",@progbits,_ZN9rocsolver6v33100L18trti2_kernel_smallILi59EdPKPdEEv13rocblas_fill_17rocblas_diagonal_T1_iil,comdat
	.globl	_ZN9rocsolver6v33100L18trti2_kernel_smallILi59EdPKPdEEv13rocblas_fill_17rocblas_diagonal_T1_iil ; -- Begin function _ZN9rocsolver6v33100L18trti2_kernel_smallILi59EdPKPdEEv13rocblas_fill_17rocblas_diagonal_T1_iil
	.p2align	8
	.type	_ZN9rocsolver6v33100L18trti2_kernel_smallILi59EdPKPdEEv13rocblas_fill_17rocblas_diagonal_T1_iil,@function
_ZN9rocsolver6v33100L18trti2_kernel_smallILi59EdPKPdEEv13rocblas_fill_17rocblas_diagonal_T1_iil: ; @_ZN9rocsolver6v33100L18trti2_kernel_smallILi59EdPKPdEEv13rocblas_fill_17rocblas_diagonal_T1_iil
; %bb.0:
	s_add_u32 s0, s0, s9
	s_addc_u32 s1, s1, 0
	v_cmp_gt_u32_e32 vcc, 59, v0
	s_and_saveexec_b64 s[6:7], vcc
	s_cbranch_execz .LBB122_1152
; %bb.1:
	s_load_dwordx2 s[6:7], s[4:5], 0x10
	s_load_dwordx4 s[12:15], s[4:5], 0x0
	s_ashr_i32 s9, s8, 31
	s_lshl_b64 s[4:5], s[8:9], 3
	v_lshlrev_b32_e32 v1, 3, v0
	s_waitcnt lgkmcnt(0)
	s_ashr_i32 s9, s6, 31
	s_add_u32 s4, s14, s4
	s_addc_u32 s5, s15, s5
	s_load_dwordx2 s[4:5], s[4:5], 0x0
	s_mov_b32 s8, s6
	s_lshl_b64 s[8:9], s[8:9], 3
	v_mov_b32_e32 v175, 0
	s_waitcnt lgkmcnt(0)
	s_add_u32 s4, s4, s8
	s_addc_u32 s5, s5, s9
	v_mov_b32_e32 v3, s5
	v_add_co_u32_e32 v2, vcc, s4, v1
	s_ashr_i32 s9, s7, 31
	s_mov_b32 s8, s7
	s_add_i32 s6, s7, s7
	v_addc_co_u32_e32 v3, vcc, 0, v3, vcc
	s_lshl_b64 s[8:9], s[8:9], 3
	v_add_u32_e32 v8, s6, v0
	v_mov_b32_e32 v5, s9
	v_add_co_u32_e32 v4, vcc, s8, v2
	v_ashrrev_i32_e32 v9, 31, v8
	v_addc_co_u32_e32 v5, vcc, v3, v5, vcc
	v_lshlrev_b64 v[6:7], 3, v[8:9]
	v_add_u32_e32 v10, s7, v8
	v_mov_b32_e32 v9, s5
	v_add_co_u32_e32 v6, vcc, s4, v6
	v_ashrrev_i32_e32 v11, 31, v10
	v_addc_co_u32_e32 v7, vcc, v9, v7, vcc
	v_lshlrev_b64 v[8:9], 3, v[10:11]
	;; [unrolled: 6-line block ×15, first 2 shown]
	global_load_dwordx2 v[40:41], v1, s[4:5]
	v_mov_b32_e32 v37, s5
	v_add_co_u32_e32 v34, vcc, s4, v34
	global_load_dwordx2 v[48:49], v[4:5], off
	global_load_dwordx2 v[46:47], v[6:7], off
	;; [unrolled: 1-line block ×12, first 2 shown]
	v_addc_co_u32_e32 v35, vcc, v37, v35, vcc
	global_load_dwordx2 v[70:71], v[28:29], off
	global_load_dwordx2 v[68:69], v[30:31], off
	;; [unrolled: 1-line block ×4, first 2 shown]
	v_add_u32_e32 v72, s7, v36
	v_add_u32_e32 v74, s7, v72
	;; [unrolled: 1-line block ×41, first 2 shown]
	v_ashrrev_i32_e32 v39, 31, v38
	v_lshlrev_b64 v[36:37], 3, v[38:39]
	v_mov_b32_e32 v39, s5
	v_add_co_u32_e32 v36, vcc, s4, v36
	v_add_u32_e32 v38, s7, v38
	v_addc_co_u32_e32 v37, vcc, v39, v37, vcc
	v_ashrrev_i32_e32 v39, 31, v38
	v_lshlrev_b64 v[38:39], 3, v[38:39]
	v_mov_b32_e32 v73, s5
	v_add_co_u32_e32 v38, vcc, s4, v38
	v_addc_co_u32_e32 v39, vcc, v73, v39, vcc
	v_ashrrev_i32_e32 v73, 31, v72
	global_load_dwordx2 v[146:147], v[36:37], off
	global_load_dwordx2 v[122:123], v[38:39], off
	s_waitcnt vmcnt(18)
	buffer_store_dword v41, off, s[0:3], 0 offset:4
	buffer_store_dword v40, off, s[0:3], 0
	v_lshlrev_b64 v[40:41], 3, v[72:73]
	s_waitcnt vmcnt(19)
	buffer_store_dword v49, off, s[0:3], 0 offset:12
	buffer_store_dword v48, off, s[0:3], 0 offset:8
	s_waitcnt vmcnt(20)
	buffer_store_dword v47, off, s[0:3], 0 offset:20
	buffer_store_dword v46, off, s[0:3], 0 offset:16
	;; [unrolled: 3-line block ×15, first 2 shown]
	s_waitcnt vmcnt(34)
	buffer_store_dword v120, off, s[0:3], 0 offset:128
	v_mov_b32_e32 v42, s5
	v_add_co_u32_e32 v40, vcc, s4, v40
	v_ashrrev_i32_e32 v75, 31, v74
	v_addc_co_u32_e32 v41, vcc, v42, v41, vcc
	v_lshlrev_b64 v[42:43], 3, v[74:75]
	v_mov_b32_e32 v44, s5
	v_add_co_u32_e32 v42, vcc, s4, v42
	v_ashrrev_i32_e32 v77, 31, v76
	v_addc_co_u32_e32 v43, vcc, v44, v43, vcc
	v_lshlrev_b64 v[44:45], 3, v[76:77]
	;; [unrolled: 5-line block ×38, first 2 shown]
	v_mov_b32_e32 v118, s5
	v_add_co_u32_e32 v116, vcc, s4, v116
	global_load_dwordx2 v[158:159], v[40:41], off
	global_load_dwordx2 v[160:161], v[42:43], off
	;; [unrolled: 1-line block ×36, first 2 shown]
	v_addc_co_u32_e32 v117, vcc, v118, v117, vcc
	global_load_dwordx2 v[150:151], v[112:113], off
	global_load_dwordx2 v[152:153], v[114:115], off
	;; [unrolled: 1-line block ×3, first 2 shown]
	v_ashrrev_i32_e32 v157, 31, v156
	v_lshlrev_b64 v[118:119], 3, v[156:157]
	v_mov_b32_e32 v120, s5
	v_add_co_u32_e32 v118, vcc, s4, v118
	v_addc_co_u32_e32 v119, vcc, v120, v119, vcc
	global_load_dwordx2 v[156:157], v[118:119], off
	s_nop 0
	buffer_store_dword v121, off, s[0:3], 0 offset:132
	s_waitcnt vmcnt(40)
	buffer_store_dword v158, off, s[0:3], 0 offset:136
	buffer_store_dword v159, off, s[0:3], 0 offset:140
	s_waitcnt vmcnt(41)
	buffer_store_dword v160, off, s[0:3], 0 offset:144
	;; [unrolled: 3-line block ×24, first 2 shown]
	buffer_store_dword v207, off, s[0:3], 0 offset:324
	buffer_store_dword v124, off, s[0:3], 0 offset:328
	;; [unrolled: 1-line block ×3, first 2 shown]
	s_waitcnt vmcnt(62)
	buffer_store_dword v126, off, s[0:3], 0 offset:336
	buffer_store_dword v127, off, s[0:3], 0 offset:340
	;; [unrolled: 1-line block ×8, first 2 shown]
	s_waitcnt vmcnt(62)
	buffer_store_dword v134, off, s[0:3], 0 offset:368
	buffer_store_dword v135, off, s[0:3], 0 offset:372
	;; [unrolled: 1-line block ×16, first 2 shown]
	s_waitcnt vmcnt(62)
	buffer_store_dword v152, off, s[0:3], 0 offset:432
	buffer_store_dword v153, off, s[0:3], 0 offset:436
	;; [unrolled: 1-line block ×10, first 2 shown]
	s_cmpk_lg_i32 s13, 0x84
	v_mov_b32_e32 v120, 0
	s_cselect_b64 s[8:9], -1, 0
	s_cmpk_eq_i32 s13, 0x84
	v_mov_b32_e32 v121, 0xbff00000
	s_cbranch_scc1 .LBB122_3
; %bb.2:
	v_lshl_add_u32 v130, v0, 3, v175
	buffer_load_dword v120, v130, s[0:3], 0 offen
	buffer_load_dword v121, v130, s[0:3], 0 offen offset:4
	s_waitcnt vmcnt(0)
	v_div_scale_f64 v[122:123], s[4:5], v[120:121], v[120:121], 1.0
	v_rcp_f64_e32 v[124:125], v[122:123]
	v_div_scale_f64 v[126:127], vcc, 1.0, v[120:121], 1.0
	v_fma_f64 v[128:129], -v[122:123], v[124:125], 1.0
	v_fmac_f64_e32 v[124:125], v[124:125], v[128:129]
	v_fma_f64 v[128:129], -v[122:123], v[124:125], 1.0
	v_fmac_f64_e32 v[124:125], v[124:125], v[128:129]
	v_mul_f64 v[128:129], v[126:127], v[124:125]
	v_fma_f64 v[122:123], -v[122:123], v[128:129], v[126:127]
	v_div_fmas_f64 v[122:123], v[122:123], v[124:125], v[128:129]
	v_div_fixup_f64 v[120:121], v[122:123], v[120:121], 1.0
	buffer_store_dword v120, v130, s[0:3], 0 offen
	buffer_store_dword v121, v130, s[0:3], 0 offen offset:4
	v_xor_b32_e32 v121, 0x80000000, v121
.LBB122_3:
	s_cmpk_eq_i32 s12, 0x79
	v_add_u32_e32 v122, 0x1e0, v1
	v_add_u32_e32 v123, 0, v1
	s_mov_b64 s[4:5], -1
	ds_write_b64 v1, v[120:121]
	s_cbranch_scc1 .LBB122_577
; %bb.4:
	buffer_load_dword v120, off, s[0:3], 0 offset:456
	buffer_load_dword v121, off, s[0:3], 0 offset:460
	v_cmp_eq_u32_e64 s[4:5], 58, v0
	s_waitcnt vmcnt(0)
	ds_write_b64 v122, v[120:121]
	s_waitcnt lgkmcnt(0)
	; wave barrier
	s_waitcnt lgkmcnt(0)
	s_and_saveexec_b64 s[6:7], s[4:5]
	s_cbranch_execz .LBB122_10
; %bb.5:
	s_and_b64 vcc, exec, s[8:9]
	s_cbranch_vccz .LBB122_7
; %bb.6:
	buffer_load_dword v120, v123, s[0:3], 0 offen
	buffer_load_dword v121, v123, s[0:3], 0 offen offset:4
	ds_read_b64 v[124:125], v122
	s_waitcnt vmcnt(0) lgkmcnt(0)
	v_mul_f64 v[120:121], v[120:121], v[124:125]
	s_cbranch_execz .LBB122_8
	s_branch .LBB122_9
.LBB122_7:
                                        ; implicit-def: $vgpr120_vgpr121
.LBB122_8:
	ds_read_b64 v[120:121], v122
.LBB122_9:
	v_mov_b32_e32 v124, 0
	ds_read_b64 v[124:125], v124 offset:456
	s_waitcnt lgkmcnt(0)
	v_mul_f64 v[120:121], v[120:121], v[124:125]
	buffer_store_dword v121, off, s[0:3], 0 offset:460
	buffer_store_dword v120, off, s[0:3], 0 offset:456
.LBB122_10:
	s_or_b64 exec, exec, s[6:7]
	buffer_load_dword v120, off, s[0:3], 0 offset:448
	buffer_load_dword v121, off, s[0:3], 0 offset:452
	v_or_b32_e32 v124, 8, v175
	v_add_u32_e32 v125, 16, v175
	v_add_u32_e32 v126, 24, v175
	;; [unrolled: 1-line block ×55, first 2 shown]
	v_cmp_lt_u32_e64 s[6:7], 56, v0
	s_waitcnt vmcnt(0)
	ds_write_b64 v122, v[120:121]
	s_waitcnt lgkmcnt(0)
	; wave barrier
	s_waitcnt lgkmcnt(0)
	s_and_saveexec_b64 s[10:11], s[6:7]
	s_cbranch_execz .LBB122_16
; %bb.11:
	s_andn2_b64 vcc, exec, s[8:9]
	s_cbranch_vccnz .LBB122_13
; %bb.12:
	buffer_load_dword v120, v123, s[0:3], 0 offen
	buffer_load_dword v121, v123, s[0:3], 0 offen offset:4
	ds_read_b64 v[180:181], v122
	s_waitcnt vmcnt(0) lgkmcnt(0)
	v_mul_f64 v[120:121], v[120:121], v[180:181]
	s_cbranch_execz .LBB122_14
	s_branch .LBB122_15
.LBB122_13:
                                        ; implicit-def: $vgpr120_vgpr121
.LBB122_14:
	ds_read_b64 v[120:121], v122
.LBB122_15:
	buffer_load_dword v184, off, s[0:3], 0 offset:456
	buffer_load_dword v185, off, s[0:3], 0 offset:460
	v_mov_b32_e32 v180, 0
	ds_read2_b64 v[180:183], v180 offset0:56 offset1:117
	s_waitcnt vmcnt(0) lgkmcnt(0)
	v_fma_f64 v[182:183], v[184:185], v[182:183], v[120:121]
	v_cndmask_b32_e64 v121, v121, v183, s[4:5]
	v_cndmask_b32_e64 v120, v120, v182, s[4:5]
	v_mul_f64 v[120:121], v[120:121], v[180:181]
	buffer_store_dword v121, off, s[0:3], 0 offset:452
	buffer_store_dword v120, off, s[0:3], 0 offset:448
.LBB122_16:
	s_or_b64 exec, exec, s[10:11]
	buffer_load_dword v120, off, s[0:3], 0 offset:440
	buffer_load_dword v121, off, s[0:3], 0 offset:444
	v_cmp_lt_u32_e64 s[4:5], 55, v0
	s_waitcnt vmcnt(0)
	ds_write_b64 v122, v[120:121]
	s_waitcnt lgkmcnt(0)
	; wave barrier
	s_waitcnt lgkmcnt(0)
	s_and_saveexec_b64 s[10:11], s[4:5]
	s_cbranch_execz .LBB122_26
; %bb.17:
	s_andn2_b64 vcc, exec, s[8:9]
	s_cbranch_vccnz .LBB122_19
; %bb.18:
	buffer_load_dword v120, v123, s[0:3], 0 offen
	buffer_load_dword v121, v123, s[0:3], 0 offen offset:4
	ds_read_b64 v[180:181], v122
	s_waitcnt vmcnt(0) lgkmcnt(0)
	v_mul_f64 v[120:121], v[120:121], v[180:181]
	s_cbranch_execz .LBB122_20
	s_branch .LBB122_21
.LBB122_19:
                                        ; implicit-def: $vgpr120_vgpr121
.LBB122_20:
	ds_read_b64 v[120:121], v122
.LBB122_21:
	s_and_saveexec_b64 s[12:13], s[6:7]
	s_cbranch_execz .LBB122_25
; %bb.22:
	v_subrev_u32_e32 v180, 56, v0
	s_movk_i32 s14, 0x3a0
	s_mov_b64 s[6:7], 0
.LBB122_23:                             ; =>This Inner Loop Header: Depth=1
	buffer_load_dword v182, v175, s[0:3], 0 offen
	buffer_load_dword v183, v175, s[0:3], 0 offen offset:4
	v_mov_b32_e32 v181, s14
	ds_read_b64 v[184:185], v181
	v_add_u32_e32 v180, -1, v180
	s_add_i32 s14, s14, 8
	v_cmp_eq_u32_e32 vcc, 0, v180
	v_add_u32_e32 v175, 8, v175
	s_or_b64 s[6:7], vcc, s[6:7]
	s_waitcnt vmcnt(0) lgkmcnt(0)
	v_fmac_f64_e32 v[120:121], v[182:183], v[184:185]
	s_andn2_b64 exec, exec, s[6:7]
	s_cbranch_execnz .LBB122_23
; %bb.24:
	s_or_b64 exec, exec, s[6:7]
.LBB122_25:
	s_or_b64 exec, exec, s[12:13]
	v_mov_b32_e32 v175, 0
	ds_read_b64 v[180:181], v175 offset:440
	s_waitcnt lgkmcnt(0)
	v_mul_f64 v[120:121], v[120:121], v[180:181]
	buffer_store_dword v121, off, s[0:3], 0 offset:444
	buffer_store_dword v120, off, s[0:3], 0 offset:440
.LBB122_26:
	s_or_b64 exec, exec, s[10:11]
	buffer_load_dword v120, off, s[0:3], 0 offset:432
	buffer_load_dword v121, off, s[0:3], 0 offset:436
	v_cmp_lt_u32_e64 s[6:7], 54, v0
	s_waitcnt vmcnt(0)
	ds_write_b64 v122, v[120:121]
	s_waitcnt lgkmcnt(0)
	; wave barrier
	s_waitcnt lgkmcnt(0)
	s_and_saveexec_b64 s[10:11], s[6:7]
	s_cbranch_execz .LBB122_36
; %bb.27:
	s_andn2_b64 vcc, exec, s[8:9]
	s_cbranch_vccnz .LBB122_29
; %bb.28:
	buffer_load_dword v120, v123, s[0:3], 0 offen
	buffer_load_dword v121, v123, s[0:3], 0 offen offset:4
	ds_read_b64 v[180:181], v122
	s_waitcnt vmcnt(0) lgkmcnt(0)
	v_mul_f64 v[120:121], v[120:121], v[180:181]
	s_cbranch_execz .LBB122_30
	s_branch .LBB122_31
.LBB122_29:
                                        ; implicit-def: $vgpr120_vgpr121
.LBB122_30:
	ds_read_b64 v[120:121], v122
.LBB122_31:
	s_and_saveexec_b64 s[12:13], s[4:5]
	s_cbranch_execz .LBB122_35
; %bb.32:
	v_subrev_u32_e32 v175, 55, v0
	s_movk_i32 s14, 0x398
	s_mov_b64 s[4:5], 0
.LBB122_33:                             ; =>This Inner Loop Header: Depth=1
	buffer_load_dword v180, v179, s[0:3], 0 offen
	buffer_load_dword v181, v179, s[0:3], 0 offen offset:4
	v_mov_b32_e32 v182, s14
	ds_read_b64 v[182:183], v182
	v_add_u32_e32 v175, -1, v175
	s_add_i32 s14, s14, 8
	v_cmp_eq_u32_e32 vcc, 0, v175
	v_add_u32_e32 v179, 8, v179
	s_or_b64 s[4:5], vcc, s[4:5]
	s_waitcnt vmcnt(0) lgkmcnt(0)
	v_fmac_f64_e32 v[120:121], v[180:181], v[182:183]
	s_andn2_b64 exec, exec, s[4:5]
	s_cbranch_execnz .LBB122_33
; %bb.34:
	s_or_b64 exec, exec, s[4:5]
.LBB122_35:
	s_or_b64 exec, exec, s[12:13]
	v_mov_b32_e32 v175, 0
	ds_read_b64 v[180:181], v175 offset:432
	s_waitcnt lgkmcnt(0)
	v_mul_f64 v[120:121], v[120:121], v[180:181]
	buffer_store_dword v121, off, s[0:3], 0 offset:436
	buffer_store_dword v120, off, s[0:3], 0 offset:432
.LBB122_36:
	;; [unrolled: 58-line block ×8, first 2 shown]
	s_or_b64 exec, exec, s[10:11]
	buffer_load_dword v120, off, s[0:3], 0 offset:376
	buffer_load_dword v121, off, s[0:3], 0 offset:380
	v_cmp_lt_u32_e64 s[4:5], 47, v0
	s_waitcnt vmcnt(0)
	ds_write_b64 v122, v[120:121]
	s_waitcnt lgkmcnt(0)
	; wave barrier
	s_waitcnt lgkmcnt(0)
	s_and_saveexec_b64 s[10:11], s[4:5]
	s_cbranch_execz .LBB122_106
; %bb.97:
	s_andn2_b64 vcc, exec, s[8:9]
	s_cbranch_vccnz .LBB122_99
; %bb.98:
	buffer_load_dword v120, v123, s[0:3], 0 offen
	buffer_load_dword v121, v123, s[0:3], 0 offen offset:4
	ds_read_b64 v[172:173], v122
	s_waitcnt vmcnt(0) lgkmcnt(0)
	v_mul_f64 v[120:121], v[120:121], v[172:173]
	s_cbranch_execz .LBB122_100
	s_branch .LBB122_101
.LBB122_99:
                                        ; implicit-def: $vgpr120_vgpr121
.LBB122_100:
	ds_read_b64 v[120:121], v122
.LBB122_101:
	s_and_saveexec_b64 s[12:13], s[6:7]
	s_cbranch_execz .LBB122_105
; %bb.102:
	v_subrev_u32_e32 v172, 48, v0
	s_movk_i32 s14, 0x360
	s_mov_b64 s[6:7], 0
.LBB122_103:                            ; =>This Inner Loop Header: Depth=1
	buffer_load_dword v174, v171, s[0:3], 0 offen
	buffer_load_dword v175, v171, s[0:3], 0 offen offset:4
	v_mov_b32_e32 v173, s14
	ds_read_b64 v[176:177], v173
	v_add_u32_e32 v172, -1, v172
	s_add_i32 s14, s14, 8
	v_cmp_eq_u32_e32 vcc, 0, v172
	v_add_u32_e32 v171, 8, v171
	s_or_b64 s[6:7], vcc, s[6:7]
	s_waitcnt vmcnt(0) lgkmcnt(0)
	v_fmac_f64_e32 v[120:121], v[174:175], v[176:177]
	s_andn2_b64 exec, exec, s[6:7]
	s_cbranch_execnz .LBB122_103
; %bb.104:
	s_or_b64 exec, exec, s[6:7]
.LBB122_105:
	s_or_b64 exec, exec, s[12:13]
	v_mov_b32_e32 v171, 0
	ds_read_b64 v[172:173], v171 offset:376
	s_waitcnt lgkmcnt(0)
	v_mul_f64 v[120:121], v[120:121], v[172:173]
	buffer_store_dword v121, off, s[0:3], 0 offset:380
	buffer_store_dword v120, off, s[0:3], 0 offset:376
.LBB122_106:
	s_or_b64 exec, exec, s[10:11]
	buffer_load_dword v120, off, s[0:3], 0 offset:368
	buffer_load_dword v121, off, s[0:3], 0 offset:372
	v_cmp_lt_u32_e64 s[6:7], 46, v0
	s_waitcnt vmcnt(0)
	ds_write_b64 v122, v[120:121]
	s_waitcnt lgkmcnt(0)
	; wave barrier
	s_waitcnt lgkmcnt(0)
	s_and_saveexec_b64 s[10:11], s[6:7]
	s_cbranch_execz .LBB122_116
; %bb.107:
	s_andn2_b64 vcc, exec, s[8:9]
	s_cbranch_vccnz .LBB122_109
; %bb.108:
	buffer_load_dword v120, v123, s[0:3], 0 offen
	buffer_load_dword v121, v123, s[0:3], 0 offen offset:4
	ds_read_b64 v[172:173], v122
	s_waitcnt vmcnt(0) lgkmcnt(0)
	v_mul_f64 v[120:121], v[120:121], v[172:173]
	s_cbranch_execz .LBB122_110
	s_branch .LBB122_111
.LBB122_109:
                                        ; implicit-def: $vgpr120_vgpr121
.LBB122_110:
	ds_read_b64 v[120:121], v122
.LBB122_111:
	s_and_saveexec_b64 s[12:13], s[4:5]
	s_cbranch_execz .LBB122_115
; %bb.112:
	v_subrev_u32_e32 v171, 47, v0
	s_movk_i32 s14, 0x358
	s_mov_b64 s[4:5], 0
.LBB122_113:                            ; =>This Inner Loop Header: Depth=1
	buffer_load_dword v172, v170, s[0:3], 0 offen
	buffer_load_dword v173, v170, s[0:3], 0 offen offset:4
	v_mov_b32_e32 v174, s14
	ds_read_b64 v[174:175], v174
	v_add_u32_e32 v171, -1, v171
	s_add_i32 s14, s14, 8
	v_cmp_eq_u32_e32 vcc, 0, v171
	v_add_u32_e32 v170, 8, v170
	s_or_b64 s[4:5], vcc, s[4:5]
	s_waitcnt vmcnt(0) lgkmcnt(0)
	v_fmac_f64_e32 v[120:121], v[172:173], v[174:175]
	s_andn2_b64 exec, exec, s[4:5]
	s_cbranch_execnz .LBB122_113
; %bb.114:
	s_or_b64 exec, exec, s[4:5]
.LBB122_115:
	s_or_b64 exec, exec, s[12:13]
	v_mov_b32_e32 v170, 0
	ds_read_b64 v[170:171], v170 offset:368
	s_waitcnt lgkmcnt(0)
	v_mul_f64 v[120:121], v[120:121], v[170:171]
	buffer_store_dword v121, off, s[0:3], 0 offset:372
	buffer_store_dword v120, off, s[0:3], 0 offset:368
.LBB122_116:
	;; [unrolled: 58-line block ×32, first 2 shown]
	s_or_b64 exec, exec, s[10:11]
	buffer_load_dword v120, off, s[0:3], 0 offset:120
	buffer_load_dword v121, off, s[0:3], 0 offset:124
	v_cmp_lt_u32_e64 s[4:5], 15, v0
	s_waitcnt vmcnt(0)
	ds_write_b64 v122, v[120:121]
	s_waitcnt lgkmcnt(0)
	; wave barrier
	s_waitcnt lgkmcnt(0)
	s_and_saveexec_b64 s[10:11], s[4:5]
	s_cbranch_execz .LBB122_426
; %bb.417:
	s_andn2_b64 vcc, exec, s[8:9]
	s_cbranch_vccnz .LBB122_419
; %bb.418:
	buffer_load_dword v120, v123, s[0:3], 0 offen
	buffer_load_dword v121, v123, s[0:3], 0 offen offset:4
	ds_read_b64 v[140:141], v122
	s_waitcnt vmcnt(0) lgkmcnt(0)
	v_mul_f64 v[120:121], v[120:121], v[140:141]
	s_cbranch_execz .LBB122_420
	s_branch .LBB122_421
.LBB122_419:
                                        ; implicit-def: $vgpr120_vgpr121
.LBB122_420:
	ds_read_b64 v[120:121], v122
.LBB122_421:
	s_and_saveexec_b64 s[12:13], s[6:7]
	s_cbranch_execz .LBB122_425
; %bb.422:
	v_add_u32_e32 v140, -16, v0
	s_movk_i32 s14, 0x260
	s_mov_b64 s[6:7], 0
.LBB122_423:                            ; =>This Inner Loop Header: Depth=1
	buffer_load_dword v142, v139, s[0:3], 0 offen
	buffer_load_dword v143, v139, s[0:3], 0 offen offset:4
	v_mov_b32_e32 v141, s14
	ds_read_b64 v[144:145], v141
	v_add_u32_e32 v140, -1, v140
	s_add_i32 s14, s14, 8
	v_cmp_eq_u32_e32 vcc, 0, v140
	v_add_u32_e32 v139, 8, v139
	s_or_b64 s[6:7], vcc, s[6:7]
	s_waitcnt vmcnt(0) lgkmcnt(0)
	v_fmac_f64_e32 v[120:121], v[142:143], v[144:145]
	s_andn2_b64 exec, exec, s[6:7]
	s_cbranch_execnz .LBB122_423
; %bb.424:
	s_or_b64 exec, exec, s[6:7]
.LBB122_425:
	s_or_b64 exec, exec, s[12:13]
	v_mov_b32_e32 v139, 0
	ds_read_b64 v[140:141], v139 offset:120
	s_waitcnt lgkmcnt(0)
	v_mul_f64 v[120:121], v[120:121], v[140:141]
	buffer_store_dword v121, off, s[0:3], 0 offset:124
	buffer_store_dword v120, off, s[0:3], 0 offset:120
.LBB122_426:
	s_or_b64 exec, exec, s[10:11]
	buffer_load_dword v120, off, s[0:3], 0 offset:112
	buffer_load_dword v121, off, s[0:3], 0 offset:116
	v_cmp_lt_u32_e64 s[6:7], 14, v0
	s_waitcnt vmcnt(0)
	ds_write_b64 v122, v[120:121]
	s_waitcnt lgkmcnt(0)
	; wave barrier
	s_waitcnt lgkmcnt(0)
	s_and_saveexec_b64 s[10:11], s[6:7]
	s_cbranch_execz .LBB122_436
; %bb.427:
	s_andn2_b64 vcc, exec, s[8:9]
	s_cbranch_vccnz .LBB122_429
; %bb.428:
	buffer_load_dword v120, v123, s[0:3], 0 offen
	buffer_load_dword v121, v123, s[0:3], 0 offen offset:4
	ds_read_b64 v[140:141], v122
	s_waitcnt vmcnt(0) lgkmcnt(0)
	v_mul_f64 v[120:121], v[120:121], v[140:141]
	s_cbranch_execz .LBB122_430
	s_branch .LBB122_431
.LBB122_429:
                                        ; implicit-def: $vgpr120_vgpr121
.LBB122_430:
	ds_read_b64 v[120:121], v122
.LBB122_431:
	s_and_saveexec_b64 s[12:13], s[4:5]
	s_cbranch_execz .LBB122_435
; %bb.432:
	v_add_u32_e32 v139, -15, v0
	s_movk_i32 s14, 0x258
	s_mov_b64 s[4:5], 0
.LBB122_433:                            ; =>This Inner Loop Header: Depth=1
	buffer_load_dword v140, v138, s[0:3], 0 offen
	buffer_load_dword v141, v138, s[0:3], 0 offen offset:4
	v_mov_b32_e32 v142, s14
	ds_read_b64 v[142:143], v142
	v_add_u32_e32 v139, -1, v139
	s_add_i32 s14, s14, 8
	v_cmp_eq_u32_e32 vcc, 0, v139
	v_add_u32_e32 v138, 8, v138
	s_or_b64 s[4:5], vcc, s[4:5]
	s_waitcnt vmcnt(0) lgkmcnt(0)
	v_fmac_f64_e32 v[120:121], v[140:141], v[142:143]
	s_andn2_b64 exec, exec, s[4:5]
	s_cbranch_execnz .LBB122_433
; %bb.434:
	s_or_b64 exec, exec, s[4:5]
.LBB122_435:
	s_or_b64 exec, exec, s[12:13]
	v_mov_b32_e32 v138, 0
	ds_read_b64 v[138:139], v138 offset:112
	s_waitcnt lgkmcnt(0)
	v_mul_f64 v[120:121], v[120:121], v[138:139]
	buffer_store_dword v121, off, s[0:3], 0 offset:116
	buffer_store_dword v120, off, s[0:3], 0 offset:112
.LBB122_436:
	;; [unrolled: 58-line block ×15, first 2 shown]
	s_or_b64 exec, exec, s[10:11]
	buffer_load_dword v120, off, s[0:3], 0
	buffer_load_dword v121, off, s[0:3], 0 offset:4
	v_cmp_ne_u32_e32 vcc, 0, v0
	s_waitcnt vmcnt(0)
	ds_write_b64 v122, v[120:121]
	s_waitcnt lgkmcnt(0)
	; wave barrier
	s_waitcnt lgkmcnt(0)
	s_and_saveexec_b64 s[6:7], vcc
	s_cbranch_execz .LBB122_576
; %bb.567:
	s_andn2_b64 vcc, exec, s[8:9]
	s_cbranch_vccnz .LBB122_569
; %bb.568:
	buffer_load_dword v120, v123, s[0:3], 0 offen
	buffer_load_dword v121, v123, s[0:3], 0 offen offset:4
	ds_read_b64 v[126:127], v122
	s_waitcnt vmcnt(0) lgkmcnt(0)
	v_mul_f64 v[120:121], v[120:121], v[126:127]
	s_cbranch_execz .LBB122_570
	s_branch .LBB122_571
.LBB122_569:
                                        ; implicit-def: $vgpr120_vgpr121
.LBB122_570:
	ds_read_b64 v[120:121], v122
.LBB122_571:
	s_and_saveexec_b64 s[10:11], s[4:5]
	s_cbranch_execz .LBB122_575
; %bb.572:
	v_add_u32_e32 v125, -1, v0
	s_movk_i32 s12, 0x1e8
	s_mov_b64 s[4:5], 0
.LBB122_573:                            ; =>This Inner Loop Header: Depth=1
	buffer_load_dword v126, v124, s[0:3], 0 offen
	buffer_load_dword v127, v124, s[0:3], 0 offen offset:4
	v_mov_b32_e32 v128, s12
	ds_read_b64 v[128:129], v128
	v_add_u32_e32 v125, -1, v125
	s_add_i32 s12, s12, 8
	v_cmp_eq_u32_e32 vcc, 0, v125
	v_add_u32_e32 v124, 8, v124
	s_or_b64 s[4:5], vcc, s[4:5]
	s_waitcnt vmcnt(0) lgkmcnt(0)
	v_fmac_f64_e32 v[120:121], v[126:127], v[128:129]
	s_andn2_b64 exec, exec, s[4:5]
	s_cbranch_execnz .LBB122_573
; %bb.574:
	s_or_b64 exec, exec, s[4:5]
.LBB122_575:
	s_or_b64 exec, exec, s[10:11]
	v_mov_b32_e32 v124, 0
	ds_read_b64 v[124:125], v124
	s_waitcnt lgkmcnt(0)
	v_mul_f64 v[120:121], v[120:121], v[124:125]
	buffer_store_dword v121, off, s[0:3], 0 offset:4
	buffer_store_dword v120, off, s[0:3], 0
.LBB122_576:
	s_or_b64 exec, exec, s[6:7]
	s_mov_b64 s[4:5], 0
.LBB122_577:
	s_and_b64 vcc, exec, s[4:5]
	s_cbranch_vccz .LBB122_1151
; %bb.578:
	buffer_load_dword v120, off, s[0:3], 0 offset:8
	buffer_load_dword v121, off, s[0:3], 0 offset:12
	v_cmp_eq_u32_e64 s[6:7], 0, v0
	s_waitcnt vmcnt(0)
	ds_write_b64 v122, v[120:121]
	s_waitcnt lgkmcnt(0)
	; wave barrier
	s_waitcnt lgkmcnt(0)
	s_and_saveexec_b64 s[4:5], s[6:7]
	s_cbranch_execz .LBB122_584
; %bb.579:
	s_and_b64 vcc, exec, s[8:9]
	s_cbranch_vccz .LBB122_581
; %bb.580:
	buffer_load_dword v120, v123, s[0:3], 0 offen
	buffer_load_dword v121, v123, s[0:3], 0 offen offset:4
	ds_read_b64 v[124:125], v122
	s_waitcnt vmcnt(0) lgkmcnt(0)
	v_mul_f64 v[120:121], v[120:121], v[124:125]
	s_cbranch_execz .LBB122_582
	s_branch .LBB122_583
.LBB122_581:
                                        ; implicit-def: $vgpr120_vgpr121
.LBB122_582:
	ds_read_b64 v[120:121], v122
.LBB122_583:
	v_mov_b32_e32 v124, 0
	ds_read_b64 v[124:125], v124 offset:8
	s_waitcnt lgkmcnt(0)
	v_mul_f64 v[120:121], v[120:121], v[124:125]
	buffer_store_dword v121, off, s[0:3], 0 offset:12
	buffer_store_dword v120, off, s[0:3], 0 offset:8
.LBB122_584:
	s_or_b64 exec, exec, s[4:5]
	buffer_load_dword v120, off, s[0:3], 0 offset:16
	buffer_load_dword v121, off, s[0:3], 0 offset:20
	v_cndmask_b32_e64 v124, 0, 1, s[8:9]
	v_cmp_gt_u32_e32 vcc, 2, v0
	v_cmp_ne_u32_e64 s[4:5], 1, v124
	s_waitcnt vmcnt(0)
	ds_write_b64 v122, v[120:121]
	s_waitcnt lgkmcnt(0)
	; wave barrier
	s_waitcnt lgkmcnt(0)
	s_and_saveexec_b64 s[8:9], vcc
	s_cbranch_execz .LBB122_592
; %bb.585:
	s_and_b64 vcc, exec, s[4:5]
	s_cbranch_vccnz .LBB122_587
; %bb.586:
	buffer_load_dword v120, v123, s[0:3], 0 offen
	buffer_load_dword v121, v123, s[0:3], 0 offen offset:4
	ds_read_b64 v[124:125], v122
	s_waitcnt vmcnt(0) lgkmcnt(0)
	v_mul_f64 v[120:121], v[120:121], v[124:125]
	s_cbranch_execz .LBB122_588
	s_branch .LBB122_589
.LBB122_587:
                                        ; implicit-def: $vgpr120_vgpr121
.LBB122_588:
	ds_read_b64 v[120:121], v122
.LBB122_589:
	s_and_saveexec_b64 s[10:11], s[6:7]
	s_cbranch_execz .LBB122_591
; %bb.590:
	buffer_load_dword v124, v123, s[0:3], 0 offen offset:8
	buffer_load_dword v125, v123, s[0:3], 0 offen offset:12
	ds_read_b64 v[126:127], v122 offset:8
	s_waitcnt vmcnt(0) lgkmcnt(0)
	v_fmac_f64_e32 v[120:121], v[124:125], v[126:127]
.LBB122_591:
	s_or_b64 exec, exec, s[10:11]
	v_mov_b32_e32 v124, 0
	ds_read_b64 v[124:125], v124 offset:16
	s_waitcnt lgkmcnt(0)
	v_mul_f64 v[120:121], v[120:121], v[124:125]
	buffer_store_dword v121, off, s[0:3], 0 offset:20
	buffer_store_dword v120, off, s[0:3], 0 offset:16
.LBB122_592:
	s_or_b64 exec, exec, s[8:9]
	buffer_load_dword v120, off, s[0:3], 0 offset:24
	buffer_load_dword v121, off, s[0:3], 0 offset:28
	v_cmp_gt_u32_e32 vcc, 3, v0
	s_waitcnt vmcnt(0)
	ds_write_b64 v122, v[120:121]
	s_waitcnt lgkmcnt(0)
	; wave barrier
	s_waitcnt lgkmcnt(0)
	s_and_saveexec_b64 s[8:9], vcc
	s_cbranch_execz .LBB122_600
; %bb.593:
	s_and_b64 vcc, exec, s[4:5]
	s_cbranch_vccnz .LBB122_595
; %bb.594:
	buffer_load_dword v120, v123, s[0:3], 0 offen
	buffer_load_dword v121, v123, s[0:3], 0 offen offset:4
	ds_read_b64 v[124:125], v122
	s_waitcnt vmcnt(0) lgkmcnt(0)
	v_mul_f64 v[120:121], v[120:121], v[124:125]
	s_cbranch_execz .LBB122_596
	s_branch .LBB122_597
.LBB122_595:
                                        ; implicit-def: $vgpr120_vgpr121
.LBB122_596:
	ds_read_b64 v[120:121], v122
.LBB122_597:
	v_cmp_ne_u32_e32 vcc, 2, v0
	s_and_saveexec_b64 s[10:11], vcc
	s_cbranch_execz .LBB122_599
; %bb.598:
	buffer_load_dword v125, v123, s[0:3], 0 offen offset:12
	buffer_load_dword v126, off, s[0:3], 0 offset:16
	buffer_load_dword v124, v123, s[0:3], 0 offen offset:8
	buffer_load_dword v127, off, s[0:3], 0 offset:20
	v_mov_b32_e32 v130, 0
	ds_read_b64 v[128:129], v122 offset:8
	ds_read_b64 v[130:131], v130 offset:496
	s_waitcnt vmcnt(1) lgkmcnt(1)
	v_fmac_f64_e32 v[120:121], v[124:125], v[128:129]
	s_waitcnt vmcnt(0) lgkmcnt(0)
	v_fma_f64 v[124:125], v[126:127], v[130:131], v[120:121]
	v_cndmask_b32_e64 v121, v121, v125, s[6:7]
	v_cndmask_b32_e64 v120, v120, v124, s[6:7]
.LBB122_599:
	s_or_b64 exec, exec, s[10:11]
	v_mov_b32_e32 v124, 0
	ds_read_b64 v[124:125], v124 offset:24
	s_waitcnt lgkmcnt(0)
	v_mul_f64 v[120:121], v[120:121], v[124:125]
	buffer_store_dword v121, off, s[0:3], 0 offset:28
	buffer_store_dword v120, off, s[0:3], 0 offset:24
.LBB122_600:
	s_or_b64 exec, exec, s[8:9]
	buffer_load_dword v120, off, s[0:3], 0 offset:32
	buffer_load_dword v121, off, s[0:3], 0 offset:36
	v_cmp_gt_u32_e32 vcc, 4, v0
	s_waitcnt vmcnt(0)
	ds_write_b64 v122, v[120:121]
	s_waitcnt lgkmcnt(0)
	; wave barrier
	s_waitcnt lgkmcnt(0)
	s_and_saveexec_b64 s[6:7], vcc
	s_cbranch_execz .LBB122_610
; %bb.601:
	s_and_b64 vcc, exec, s[4:5]
	s_cbranch_vccnz .LBB122_603
; %bb.602:
	buffer_load_dword v120, v123, s[0:3], 0 offen
	buffer_load_dword v121, v123, s[0:3], 0 offen offset:4
	ds_read_b64 v[124:125], v122
	s_waitcnt vmcnt(0) lgkmcnt(0)
	v_mul_f64 v[120:121], v[120:121], v[124:125]
	s_cbranch_execz .LBB122_604
	s_branch .LBB122_605
.LBB122_603:
                                        ; implicit-def: $vgpr120_vgpr121
.LBB122_604:
	ds_read_b64 v[120:121], v122
.LBB122_605:
	v_cmp_ne_u32_e32 vcc, 3, v0
	s_and_saveexec_b64 s[8:9], vcc
	s_cbranch_execz .LBB122_609
; %bb.606:
	v_mov_b32_e32 v125, 0
	v_add_u32_e32 v124, 0x1e8, v1
	v_add3_u32 v125, v1, v125, 8
	s_mov_b64 s[10:11], 0
	v_mov_b32_e32 v126, v0
.LBB122_607:                            ; =>This Inner Loop Header: Depth=1
	buffer_load_dword v128, v125, s[0:3], 0 offen
	buffer_load_dword v129, v125, s[0:3], 0 offen offset:4
	ds_read_b64 v[130:131], v124
	v_add_u32_e32 v126, 1, v126
	v_cmp_lt_u32_e32 vcc, 2, v126
	v_add_u32_e32 v124, 8, v124
	v_add_u32_e32 v125, 8, v125
	s_or_b64 s[10:11], vcc, s[10:11]
	s_waitcnt vmcnt(0) lgkmcnt(0)
	v_fmac_f64_e32 v[120:121], v[128:129], v[130:131]
	s_andn2_b64 exec, exec, s[10:11]
	s_cbranch_execnz .LBB122_607
; %bb.608:
	s_or_b64 exec, exec, s[10:11]
.LBB122_609:
	s_or_b64 exec, exec, s[8:9]
	v_mov_b32_e32 v124, 0
	ds_read_b64 v[124:125], v124 offset:32
	s_waitcnt lgkmcnt(0)
	v_mul_f64 v[120:121], v[120:121], v[124:125]
	buffer_store_dword v121, off, s[0:3], 0 offset:36
	buffer_store_dword v120, off, s[0:3], 0 offset:32
.LBB122_610:
	s_or_b64 exec, exec, s[6:7]
	buffer_load_dword v120, off, s[0:3], 0 offset:40
	buffer_load_dword v121, off, s[0:3], 0 offset:44
	v_cmp_gt_u32_e32 vcc, 5, v0
	s_waitcnt vmcnt(0)
	ds_write_b64 v122, v[120:121]
	s_waitcnt lgkmcnt(0)
	; wave barrier
	s_waitcnt lgkmcnt(0)
	s_and_saveexec_b64 s[6:7], vcc
	s_cbranch_execz .LBB122_620
; %bb.611:
	s_and_b64 vcc, exec, s[4:5]
	s_cbranch_vccnz .LBB122_613
; %bb.612:
	buffer_load_dword v120, v123, s[0:3], 0 offen
	buffer_load_dword v121, v123, s[0:3], 0 offen offset:4
	ds_read_b64 v[124:125], v122
	s_waitcnt vmcnt(0) lgkmcnt(0)
	v_mul_f64 v[120:121], v[120:121], v[124:125]
	s_cbranch_execz .LBB122_614
	s_branch .LBB122_615
.LBB122_613:
                                        ; implicit-def: $vgpr120_vgpr121
.LBB122_614:
	ds_read_b64 v[120:121], v122
.LBB122_615:
	v_cmp_ne_u32_e32 vcc, 4, v0
	s_and_saveexec_b64 s[8:9], vcc
	s_cbranch_execz .LBB122_619
; %bb.616:
	v_mov_b32_e32 v125, 0
	v_add_u32_e32 v124, 0x1e8, v1
	v_add3_u32 v125, v1, v125, 8
	s_mov_b64 s[10:11], 0
	v_mov_b32_e32 v126, v0
.LBB122_617:                            ; =>This Inner Loop Header: Depth=1
	buffer_load_dword v128, v125, s[0:3], 0 offen
	buffer_load_dword v129, v125, s[0:3], 0 offen offset:4
	ds_read_b64 v[130:131], v124
	v_add_u32_e32 v126, 1, v126
	v_cmp_lt_u32_e32 vcc, 3, v126
	v_add_u32_e32 v124, 8, v124
	v_add_u32_e32 v125, 8, v125
	s_or_b64 s[10:11], vcc, s[10:11]
	s_waitcnt vmcnt(0) lgkmcnt(0)
	v_fmac_f64_e32 v[120:121], v[128:129], v[130:131]
	s_andn2_b64 exec, exec, s[10:11]
	s_cbranch_execnz .LBB122_617
; %bb.618:
	s_or_b64 exec, exec, s[10:11]
.LBB122_619:
	s_or_b64 exec, exec, s[8:9]
	v_mov_b32_e32 v124, 0
	ds_read_b64 v[124:125], v124 offset:40
	s_waitcnt lgkmcnt(0)
	v_mul_f64 v[120:121], v[120:121], v[124:125]
	buffer_store_dword v121, off, s[0:3], 0 offset:44
	buffer_store_dword v120, off, s[0:3], 0 offset:40
.LBB122_620:
	;; [unrolled: 60-line block ×40, first 2 shown]
	s_or_b64 exec, exec, s[6:7]
	buffer_load_dword v120, off, s[0:3], 0 offset:352
	buffer_load_dword v121, off, s[0:3], 0 offset:356
	v_cmp_gt_u32_e32 vcc, 44, v0
	s_waitcnt vmcnt(0)
	ds_write_b64 v122, v[120:121]
	s_waitcnt lgkmcnt(0)
	; wave barrier
	s_waitcnt lgkmcnt(0)
	s_and_saveexec_b64 s[6:7], vcc
	s_cbranch_execz .LBB122_1010
; %bb.1001:
	s_and_b64 vcc, exec, s[4:5]
	s_cbranch_vccnz .LBB122_1003
; %bb.1002:
	buffer_load_dword v120, v123, s[0:3], 0 offen
	buffer_load_dword v121, v123, s[0:3], 0 offen offset:4
	ds_read_b64 v[124:125], v122
	s_waitcnt vmcnt(0) lgkmcnt(0)
	v_mul_f64 v[120:121], v[120:121], v[124:125]
	s_cbranch_execz .LBB122_1004
	s_branch .LBB122_1005
.LBB122_1003:
                                        ; implicit-def: $vgpr120_vgpr121
.LBB122_1004:
	ds_read_b64 v[120:121], v122
.LBB122_1005:
	v_cmp_ne_u32_e32 vcc, 43, v0
	s_and_saveexec_b64 s[8:9], vcc
	s_cbranch_execz .LBB122_1009
; %bb.1006:
	v_mov_b32_e32 v125, 0
	v_add_u32_e32 v124, 0x1e8, v1
	v_add3_u32 v125, v1, v125, 8
	s_mov_b64 s[10:11], 0
	v_mov_b32_e32 v126, v0
.LBB122_1007:                           ; =>This Inner Loop Header: Depth=1
	buffer_load_dword v128, v125, s[0:3], 0 offen
	buffer_load_dword v129, v125, s[0:3], 0 offen offset:4
	ds_read_b64 v[130:131], v124
	v_add_u32_e32 v126, 1, v126
	v_cmp_lt_u32_e32 vcc, 42, v126
	v_add_u32_e32 v124, 8, v124
	v_add_u32_e32 v125, 8, v125
	s_or_b64 s[10:11], vcc, s[10:11]
	s_waitcnt vmcnt(0) lgkmcnt(0)
	v_fmac_f64_e32 v[120:121], v[128:129], v[130:131]
	s_andn2_b64 exec, exec, s[10:11]
	s_cbranch_execnz .LBB122_1007
; %bb.1008:
	s_or_b64 exec, exec, s[10:11]
.LBB122_1009:
	s_or_b64 exec, exec, s[8:9]
	v_mov_b32_e32 v124, 0
	ds_read_b64 v[124:125], v124 offset:352
	s_waitcnt lgkmcnt(0)
	v_mul_f64 v[120:121], v[120:121], v[124:125]
	buffer_store_dword v121, off, s[0:3], 0 offset:356
	buffer_store_dword v120, off, s[0:3], 0 offset:352
.LBB122_1010:
	s_or_b64 exec, exec, s[6:7]
	buffer_load_dword v120, off, s[0:3], 0 offset:360
	buffer_load_dword v121, off, s[0:3], 0 offset:364
	v_cmp_gt_u32_e32 vcc, 45, v0
	s_waitcnt vmcnt(0)
	ds_write_b64 v122, v[120:121]
	s_waitcnt lgkmcnt(0)
	; wave barrier
	s_waitcnt lgkmcnt(0)
	s_and_saveexec_b64 s[6:7], vcc
	s_cbranch_execz .LBB122_1020
; %bb.1011:
	s_and_b64 vcc, exec, s[4:5]
	s_cbranch_vccnz .LBB122_1013
; %bb.1012:
	buffer_load_dword v120, v123, s[0:3], 0 offen
	buffer_load_dword v121, v123, s[0:3], 0 offen offset:4
	ds_read_b64 v[124:125], v122
	s_waitcnt vmcnt(0) lgkmcnt(0)
	v_mul_f64 v[120:121], v[120:121], v[124:125]
	s_cbranch_execz .LBB122_1014
	s_branch .LBB122_1015
.LBB122_1013:
                                        ; implicit-def: $vgpr120_vgpr121
.LBB122_1014:
	ds_read_b64 v[120:121], v122
.LBB122_1015:
	v_cmp_ne_u32_e32 vcc, 44, v0
	s_and_saveexec_b64 s[8:9], vcc
	s_cbranch_execz .LBB122_1019
; %bb.1016:
	v_mov_b32_e32 v125, 0
	v_add_u32_e32 v124, 0x1e8, v1
	v_add3_u32 v125, v1, v125, 8
	s_mov_b64 s[10:11], 0
	v_mov_b32_e32 v126, v0
.LBB122_1017:                           ; =>This Inner Loop Header: Depth=1
	buffer_load_dword v128, v125, s[0:3], 0 offen
	buffer_load_dword v129, v125, s[0:3], 0 offen offset:4
	ds_read_b64 v[130:131], v124
	v_add_u32_e32 v126, 1, v126
	v_cmp_lt_u32_e32 vcc, 43, v126
	v_add_u32_e32 v124, 8, v124
	v_add_u32_e32 v125, 8, v125
	s_or_b64 s[10:11], vcc, s[10:11]
	s_waitcnt vmcnt(0) lgkmcnt(0)
	v_fmac_f64_e32 v[120:121], v[128:129], v[130:131]
	s_andn2_b64 exec, exec, s[10:11]
	s_cbranch_execnz .LBB122_1017
; %bb.1018:
	s_or_b64 exec, exec, s[10:11]
.LBB122_1019:
	s_or_b64 exec, exec, s[8:9]
	v_mov_b32_e32 v124, 0
	ds_read_b64 v[124:125], v124 offset:360
	s_waitcnt lgkmcnt(0)
	v_mul_f64 v[120:121], v[120:121], v[124:125]
	buffer_store_dword v121, off, s[0:3], 0 offset:364
	buffer_store_dword v120, off, s[0:3], 0 offset:360
.LBB122_1020:
	;; [unrolled: 60-line block ×13, first 2 shown]
	s_or_b64 exec, exec, s[6:7]
	buffer_load_dword v120, off, s[0:3], 0 offset:456
	buffer_load_dword v121, off, s[0:3], 0 offset:460
	v_cmp_gt_u32_e64 s[6:7], 57, v0
	s_waitcnt vmcnt(0)
	ds_write_b64 v122, v[120:121]
	s_waitcnt lgkmcnt(0)
	; wave barrier
	s_waitcnt lgkmcnt(0)
	s_and_saveexec_b64 s[8:9], s[6:7]
	s_cbranch_execz .LBB122_1140
; %bb.1131:
	s_and_b64 vcc, exec, s[4:5]
	s_cbranch_vccnz .LBB122_1133
; %bb.1132:
	buffer_load_dword v120, v123, s[0:3], 0 offen
	buffer_load_dword v121, v123, s[0:3], 0 offen offset:4
	ds_read_b64 v[124:125], v122
	s_waitcnt vmcnt(0) lgkmcnt(0)
	v_mul_f64 v[120:121], v[120:121], v[124:125]
	s_cbranch_execz .LBB122_1134
	s_branch .LBB122_1135
.LBB122_1133:
                                        ; implicit-def: $vgpr120_vgpr121
.LBB122_1134:
	ds_read_b64 v[120:121], v122
.LBB122_1135:
	v_cmp_ne_u32_e32 vcc, 56, v0
	s_and_saveexec_b64 s[10:11], vcc
	s_cbranch_execz .LBB122_1139
; %bb.1136:
	v_mov_b32_e32 v125, 0
	v_add_u32_e32 v124, 0x1e8, v1
	v_add3_u32 v125, v1, v125, 8
	s_mov_b64 s[12:13], 0
	v_mov_b32_e32 v126, v0
.LBB122_1137:                           ; =>This Inner Loop Header: Depth=1
	buffer_load_dword v128, v125, s[0:3], 0 offen
	buffer_load_dword v129, v125, s[0:3], 0 offen offset:4
	ds_read_b64 v[130:131], v124
	v_add_u32_e32 v126, 1, v126
	v_cmp_lt_u32_e32 vcc, 55, v126
	v_add_u32_e32 v124, 8, v124
	v_add_u32_e32 v125, 8, v125
	s_or_b64 s[12:13], vcc, s[12:13]
	s_waitcnt vmcnt(0) lgkmcnt(0)
	v_fmac_f64_e32 v[120:121], v[128:129], v[130:131]
	s_andn2_b64 exec, exec, s[12:13]
	s_cbranch_execnz .LBB122_1137
; %bb.1138:
	s_or_b64 exec, exec, s[12:13]
.LBB122_1139:
	s_or_b64 exec, exec, s[10:11]
	v_mov_b32_e32 v124, 0
	ds_read_b64 v[124:125], v124 offset:456
	s_waitcnt lgkmcnt(0)
	v_mul_f64 v[120:121], v[120:121], v[124:125]
	buffer_store_dword v121, off, s[0:3], 0 offset:460
	buffer_store_dword v120, off, s[0:3], 0 offset:456
.LBB122_1140:
	s_or_b64 exec, exec, s[8:9]
	buffer_load_dword v120, off, s[0:3], 0 offset:464
	buffer_load_dword v121, off, s[0:3], 0 offset:468
	v_cmp_ne_u32_e32 vcc, 58, v0
	s_waitcnt vmcnt(0)
	ds_write_b64 v122, v[120:121]
	s_waitcnt lgkmcnt(0)
	; wave barrier
	s_waitcnt lgkmcnt(0)
	s_and_saveexec_b64 s[8:9], vcc
	s_cbranch_execz .LBB122_1150
; %bb.1141:
	s_and_b64 vcc, exec, s[4:5]
	s_cbranch_vccnz .LBB122_1143
; %bb.1142:
	buffer_load_dword v120, v123, s[0:3], 0 offen
	buffer_load_dword v121, v123, s[0:3], 0 offen offset:4
	ds_read_b64 v[124:125], v122
	s_waitcnt vmcnt(0) lgkmcnt(0)
	v_mul_f64 v[120:121], v[120:121], v[124:125]
	s_cbranch_execz .LBB122_1144
	s_branch .LBB122_1145
.LBB122_1143:
                                        ; implicit-def: $vgpr120_vgpr121
.LBB122_1144:
	ds_read_b64 v[120:121], v122
.LBB122_1145:
	s_and_saveexec_b64 s[4:5], s[6:7]
	s_cbranch_execz .LBB122_1149
; %bb.1146:
	v_mov_b32_e32 v123, 0
	v_add_u32_e32 v122, 0x1e8, v1
	v_add3_u32 v1, v1, v123, 8
	s_mov_b64 s[6:7], 0
.LBB122_1147:                           ; =>This Inner Loop Header: Depth=1
	buffer_load_dword v124, v1, s[0:3], 0 offen
	buffer_load_dword v125, v1, s[0:3], 0 offen offset:4
	ds_read_b64 v[126:127], v122
	v_add_u32_e32 v0, 1, v0
	v_cmp_lt_u32_e32 vcc, 56, v0
	v_add_u32_e32 v122, 8, v122
	v_add_u32_e32 v1, 8, v1
	s_or_b64 s[6:7], vcc, s[6:7]
	s_waitcnt vmcnt(0) lgkmcnt(0)
	v_fmac_f64_e32 v[120:121], v[124:125], v[126:127]
	s_andn2_b64 exec, exec, s[6:7]
	s_cbranch_execnz .LBB122_1147
; %bb.1148:
	s_or_b64 exec, exec, s[6:7]
.LBB122_1149:
	s_or_b64 exec, exec, s[4:5]
	v_mov_b32_e32 v0, 0
	ds_read_b64 v[0:1], v0 offset:464
	s_waitcnt lgkmcnt(0)
	v_mul_f64 v[0:1], v[120:121], v[0:1]
	buffer_store_dword v1, off, s[0:3], 0 offset:468
	buffer_store_dword v0, off, s[0:3], 0 offset:464
.LBB122_1150:
	s_or_b64 exec, exec, s[8:9]
.LBB122_1151:
	buffer_load_dword v0, off, s[0:3], 0
	buffer_load_dword v1, off, s[0:3], 0 offset:4
	buffer_load_dword v120, off, s[0:3], 0 offset:8
	;; [unrolled: 1-line block ×117, first 2 shown]
	s_waitcnt vmcnt(62)
	global_store_dwordx2 v[2:3], v[0:1], off
	global_store_dwordx2 v[4:5], v[120:121], off
	;; [unrolled: 1-line block ×28, first 2 shown]
	s_waitcnt vmcnt(62)
	global_store_dwordx2 v[62:63], v[174:175], off
	global_store_dwordx2 v[64:65], v[176:177], off
	;; [unrolled: 1-line block ×14, first 2 shown]
	s_waitcnt vmcnt(62)
	global_store_dwordx2 v[90:91], v[202:203], off
	global_store_dwordx2 v[92:93], v[204:205], off
	;; [unrolled: 1-line block ×7, first 2 shown]
	s_waitcnt vmcnt(62)
	global_store_dwordx2 v[104:105], v[216:217], off
	global_store_dwordx2 v[106:107], v[218:219], off
	;; [unrolled: 1-line block ×3, first 2 shown]
	s_waitcnt vmcnt(62)
	global_store_dwordx2 v[110:111], v[222:223], off
	global_store_dwordx2 v[112:113], v[224:225], off
	s_waitcnt vmcnt(62)
	global_store_dwordx2 v[114:115], v[226:227], off
	s_waitcnt vmcnt(61)
	;; [unrolled: 2-line block ×5, first 2 shown]
	global_store_dwordx2 v[38:39], v[234:235], off
.LBB122_1152:
	s_endpgm
	.section	.rodata,"a",@progbits
	.p2align	6, 0x0
	.amdhsa_kernel _ZN9rocsolver6v33100L18trti2_kernel_smallILi59EdPKPdEEv13rocblas_fill_17rocblas_diagonal_T1_iil
		.amdhsa_group_segment_fixed_size 952
		.amdhsa_private_segment_fixed_size 480
		.amdhsa_kernarg_size 32
		.amdhsa_user_sgpr_count 8
		.amdhsa_user_sgpr_private_segment_buffer 1
		.amdhsa_user_sgpr_dispatch_ptr 0
		.amdhsa_user_sgpr_queue_ptr 0
		.amdhsa_user_sgpr_kernarg_segment_ptr 1
		.amdhsa_user_sgpr_dispatch_id 0
		.amdhsa_user_sgpr_flat_scratch_init 1
		.amdhsa_user_sgpr_kernarg_preload_length 0
		.amdhsa_user_sgpr_kernarg_preload_offset 0
		.amdhsa_user_sgpr_private_segment_size 0
		.amdhsa_uses_dynamic_stack 0
		.amdhsa_system_sgpr_private_segment_wavefront_offset 1
		.amdhsa_system_sgpr_workgroup_id_x 1
		.amdhsa_system_sgpr_workgroup_id_y 0
		.amdhsa_system_sgpr_workgroup_id_z 0
		.amdhsa_system_sgpr_workgroup_info 0
		.amdhsa_system_vgpr_workitem_id 0
		.amdhsa_next_free_vgpr 236
		.amdhsa_next_free_sgpr 16
		.amdhsa_accum_offset 236
		.amdhsa_reserve_vcc 1
		.amdhsa_reserve_flat_scratch 0
		.amdhsa_float_round_mode_32 0
		.amdhsa_float_round_mode_16_64 0
		.amdhsa_float_denorm_mode_32 3
		.amdhsa_float_denorm_mode_16_64 3
		.amdhsa_dx10_clamp 1
		.amdhsa_ieee_mode 1
		.amdhsa_fp16_overflow 0
		.amdhsa_tg_split 0
		.amdhsa_exception_fp_ieee_invalid_op 0
		.amdhsa_exception_fp_denorm_src 0
		.amdhsa_exception_fp_ieee_div_zero 0
		.amdhsa_exception_fp_ieee_overflow 0
		.amdhsa_exception_fp_ieee_underflow 0
		.amdhsa_exception_fp_ieee_inexact 0
		.amdhsa_exception_int_div_zero 0
	.end_amdhsa_kernel
	.section	.text._ZN9rocsolver6v33100L18trti2_kernel_smallILi59EdPKPdEEv13rocblas_fill_17rocblas_diagonal_T1_iil,"axG",@progbits,_ZN9rocsolver6v33100L18trti2_kernel_smallILi59EdPKPdEEv13rocblas_fill_17rocblas_diagonal_T1_iil,comdat
.Lfunc_end122:
	.size	_ZN9rocsolver6v33100L18trti2_kernel_smallILi59EdPKPdEEv13rocblas_fill_17rocblas_diagonal_T1_iil, .Lfunc_end122-_ZN9rocsolver6v33100L18trti2_kernel_smallILi59EdPKPdEEv13rocblas_fill_17rocblas_diagonal_T1_iil
                                        ; -- End function
	.section	.AMDGPU.csdata,"",@progbits
; Kernel info:
; codeLenInByte = 34560
; NumSgprs: 20
; NumVgprs: 236
; NumAgprs: 0
; TotalNumVgprs: 236
; ScratchSize: 480
; MemoryBound: 0
; FloatMode: 240
; IeeeMode: 1
; LDSByteSize: 952 bytes/workgroup (compile time only)
; SGPRBlocks: 2
; VGPRBlocks: 29
; NumSGPRsForWavesPerEU: 20
; NumVGPRsForWavesPerEU: 236
; AccumOffset: 236
; Occupancy: 2
; WaveLimiterHint : 1
; COMPUTE_PGM_RSRC2:SCRATCH_EN: 1
; COMPUTE_PGM_RSRC2:USER_SGPR: 8
; COMPUTE_PGM_RSRC2:TRAP_HANDLER: 0
; COMPUTE_PGM_RSRC2:TGID_X_EN: 1
; COMPUTE_PGM_RSRC2:TGID_Y_EN: 0
; COMPUTE_PGM_RSRC2:TGID_Z_EN: 0
; COMPUTE_PGM_RSRC2:TIDIG_COMP_CNT: 0
; COMPUTE_PGM_RSRC3_GFX90A:ACCUM_OFFSET: 58
; COMPUTE_PGM_RSRC3_GFX90A:TG_SPLIT: 0
	.section	.text._ZN9rocsolver6v33100L18trti2_kernel_smallILi60EdPKPdEEv13rocblas_fill_17rocblas_diagonal_T1_iil,"axG",@progbits,_ZN9rocsolver6v33100L18trti2_kernel_smallILi60EdPKPdEEv13rocblas_fill_17rocblas_diagonal_T1_iil,comdat
	.globl	_ZN9rocsolver6v33100L18trti2_kernel_smallILi60EdPKPdEEv13rocblas_fill_17rocblas_diagonal_T1_iil ; -- Begin function _ZN9rocsolver6v33100L18trti2_kernel_smallILi60EdPKPdEEv13rocblas_fill_17rocblas_diagonal_T1_iil
	.p2align	8
	.type	_ZN9rocsolver6v33100L18trti2_kernel_smallILi60EdPKPdEEv13rocblas_fill_17rocblas_diagonal_T1_iil,@function
_ZN9rocsolver6v33100L18trti2_kernel_smallILi60EdPKPdEEv13rocblas_fill_17rocblas_diagonal_T1_iil: ; @_ZN9rocsolver6v33100L18trti2_kernel_smallILi60EdPKPdEEv13rocblas_fill_17rocblas_diagonal_T1_iil
; %bb.0:
	s_add_u32 s0, s0, s9
	s_addc_u32 s1, s1, 0
	v_cmp_gt_u32_e32 vcc, 60, v0
	s_and_saveexec_b64 s[6:7], vcc
	s_cbranch_execz .LBB123_1172
; %bb.1:
	s_load_dwordx2 s[6:7], s[4:5], 0x10
	s_load_dwordx4 s[12:15], s[4:5], 0x0
	s_ashr_i32 s9, s8, 31
	s_lshl_b64 s[4:5], s[8:9], 3
	v_lshlrev_b32_e32 v1, 3, v0
	s_waitcnt lgkmcnt(0)
	s_ashr_i32 s9, s6, 31
	s_add_u32 s4, s14, s4
	s_addc_u32 s5, s15, s5
	s_load_dwordx2 s[4:5], s[4:5], 0x0
	s_mov_b32 s8, s6
	s_lshl_b64 s[8:9], s[8:9], 3
	v_mov_b32_e32 v178, 0
	s_waitcnt lgkmcnt(0)
	s_add_u32 s4, s4, s8
	s_addc_u32 s5, s5, s9
	v_mov_b32_e32 v3, s5
	v_add_co_u32_e32 v2, vcc, s4, v1
	s_ashr_i32 s9, s7, 31
	s_mov_b32 s8, s7
	s_add_i32 s6, s7, s7
	v_addc_co_u32_e32 v3, vcc, 0, v3, vcc
	s_lshl_b64 s[8:9], s[8:9], 3
	v_add_u32_e32 v8, s6, v0
	v_mov_b32_e32 v5, s9
	v_add_co_u32_e32 v4, vcc, s8, v2
	v_ashrrev_i32_e32 v9, 31, v8
	v_addc_co_u32_e32 v5, vcc, v3, v5, vcc
	v_lshlrev_b64 v[6:7], 3, v[8:9]
	v_add_u32_e32 v10, s7, v8
	v_mov_b32_e32 v9, s5
	v_add_co_u32_e32 v6, vcc, s4, v6
	v_ashrrev_i32_e32 v11, 31, v10
	v_addc_co_u32_e32 v7, vcc, v9, v7, vcc
	v_lshlrev_b64 v[8:9], 3, v[10:11]
	;; [unrolled: 6-line block ×15, first 2 shown]
	global_load_dwordx2 v[42:43], v1, s[4:5]
	v_mov_b32_e32 v37, s5
	v_add_co_u32_e32 v34, vcc, s4, v34
	global_load_dwordx2 v[50:51], v[4:5], off
	global_load_dwordx2 v[48:49], v[6:7], off
	global_load_dwordx2 v[46:47], v[8:9], off
	global_load_dwordx2 v[44:45], v[10:11], off
	global_load_dwordx2 v[58:59], v[12:13], off
	global_load_dwordx2 v[56:57], v[14:15], off
	global_load_dwordx2 v[54:55], v[16:17], off
	global_load_dwordx2 v[52:53], v[18:19], off
	global_load_dwordx2 v[66:67], v[20:21], off
	global_load_dwordx2 v[64:65], v[22:23], off
	global_load_dwordx2 v[62:63], v[24:25], off
	global_load_dwordx2 v[60:61], v[26:27], off
	v_addc_co_u32_e32 v35, vcc, v37, v35, vcc
	global_load_dwordx2 v[72:73], v[28:29], off
	global_load_dwordx2 v[70:71], v[30:31], off
	;; [unrolled: 1-line block ×4, first 2 shown]
	v_add_u32_e32 v74, s7, v36
	v_add_u32_e32 v76, s7, v74
	;; [unrolled: 1-line block ×41, first 2 shown]
	v_ashrrev_i32_e32 v39, 31, v38
	v_lshlrev_b64 v[36:37], 3, v[38:39]
	v_add_u32_e32 v40, s7, v38
	v_mov_b32_e32 v39, s5
	v_add_co_u32_e32 v36, vcc, s4, v36
	v_ashrrev_i32_e32 v41, 31, v40
	v_addc_co_u32_e32 v37, vcc, v39, v37, vcc
	v_lshlrev_b64 v[38:39], 3, v[40:41]
	v_mov_b32_e32 v41, s5
	v_add_co_u32_e32 v38, vcc, s4, v38
	v_add_u32_e32 v40, s7, v40
	v_addc_co_u32_e32 v39, vcc, v41, v39, vcc
	v_ashrrev_i32_e32 v41, 31, v40
	v_lshlrev_b64 v[40:41], 3, v[40:41]
	v_mov_b32_e32 v75, s5
	v_add_co_u32_e32 v40, vcc, s4, v40
	v_addc_co_u32_e32 v41, vcc, v75, v41, vcc
	v_ashrrev_i32_e32 v75, 31, v74
	global_load_dwordx2 v[154:155], v[36:37], off
	global_load_dwordx2 v[152:153], v[38:39], off
	;; [unrolled: 1-line block ×3, first 2 shown]
	s_waitcnt vmcnt(19)
	buffer_store_dword v43, off, s[0:3], 0 offset:4
	buffer_store_dword v42, off, s[0:3], 0
	v_lshlrev_b64 v[42:43], 3, v[74:75]
	s_waitcnt vmcnt(20)
	buffer_store_dword v51, off, s[0:3], 0 offset:12
	buffer_store_dword v50, off, s[0:3], 0 offset:8
	s_waitcnt vmcnt(21)
	buffer_store_dword v49, off, s[0:3], 0 offset:20
	buffer_store_dword v48, off, s[0:3], 0 offset:16
	;; [unrolled: 3-line block ×15, first 2 shown]
	s_waitcnt vmcnt(35)
	buffer_store_dword v122, off, s[0:3], 0 offset:128
	v_mov_b32_e32 v44, s5
	v_add_co_u32_e32 v42, vcc, s4, v42
	v_ashrrev_i32_e32 v77, 31, v76
	v_addc_co_u32_e32 v43, vcc, v44, v43, vcc
	v_lshlrev_b64 v[44:45], 3, v[76:77]
	v_mov_b32_e32 v46, s5
	v_add_co_u32_e32 v44, vcc, s4, v44
	v_ashrrev_i32_e32 v79, 31, v78
	v_addc_co_u32_e32 v45, vcc, v46, v45, vcc
	v_lshlrev_b64 v[46:47], 3, v[78:79]
	v_mov_b32_e32 v48, s5
	v_add_co_u32_e32 v46, vcc, s4, v46
	v_ashrrev_i32_e32 v81, 31, v80
	v_addc_co_u32_e32 v47, vcc, v48, v47, vcc
	v_lshlrev_b64 v[48:49], 3, v[80:81]
	v_mov_b32_e32 v50, s5
	v_add_co_u32_e32 v48, vcc, s4, v48
	v_ashrrev_i32_e32 v83, 31, v82
	v_addc_co_u32_e32 v49, vcc, v50, v49, vcc
	v_lshlrev_b64 v[50:51], 3, v[82:83]
	v_mov_b32_e32 v52, s5
	v_add_co_u32_e32 v50, vcc, s4, v50
	v_ashrrev_i32_e32 v85, 31, v84
	v_addc_co_u32_e32 v51, vcc, v52, v51, vcc
	v_lshlrev_b64 v[52:53], 3, v[84:85]
	v_mov_b32_e32 v54, s5
	v_add_co_u32_e32 v52, vcc, s4, v52
	v_ashrrev_i32_e32 v87, 31, v86
	v_addc_co_u32_e32 v53, vcc, v54, v53, vcc
	v_lshlrev_b64 v[54:55], 3, v[86:87]
	v_mov_b32_e32 v56, s5
	v_add_co_u32_e32 v54, vcc, s4, v54
	v_ashrrev_i32_e32 v89, 31, v88
	v_addc_co_u32_e32 v55, vcc, v56, v55, vcc
	v_lshlrev_b64 v[56:57], 3, v[88:89]
	v_mov_b32_e32 v58, s5
	v_add_co_u32_e32 v56, vcc, s4, v56
	v_ashrrev_i32_e32 v91, 31, v90
	v_addc_co_u32_e32 v57, vcc, v58, v57, vcc
	v_lshlrev_b64 v[58:59], 3, v[90:91]
	v_mov_b32_e32 v60, s5
	v_add_co_u32_e32 v58, vcc, s4, v58
	v_ashrrev_i32_e32 v93, 31, v92
	v_addc_co_u32_e32 v59, vcc, v60, v59, vcc
	v_lshlrev_b64 v[60:61], 3, v[92:93]
	v_mov_b32_e32 v62, s5
	v_add_co_u32_e32 v60, vcc, s4, v60
	v_ashrrev_i32_e32 v95, 31, v94
	v_addc_co_u32_e32 v61, vcc, v62, v61, vcc
	v_lshlrev_b64 v[62:63], 3, v[94:95]
	v_mov_b32_e32 v64, s5
	v_add_co_u32_e32 v62, vcc, s4, v62
	v_ashrrev_i32_e32 v97, 31, v96
	v_addc_co_u32_e32 v63, vcc, v64, v63, vcc
	v_lshlrev_b64 v[64:65], 3, v[96:97]
	v_mov_b32_e32 v66, s5
	v_add_co_u32_e32 v64, vcc, s4, v64
	v_ashrrev_i32_e32 v99, 31, v98
	v_addc_co_u32_e32 v65, vcc, v66, v65, vcc
	v_lshlrev_b64 v[66:67], 3, v[98:99]
	v_mov_b32_e32 v68, s5
	v_add_co_u32_e32 v66, vcc, s4, v66
	v_ashrrev_i32_e32 v101, 31, v100
	v_addc_co_u32_e32 v67, vcc, v68, v67, vcc
	v_lshlrev_b64 v[68:69], 3, v[100:101]
	v_mov_b32_e32 v70, s5
	v_add_co_u32_e32 v68, vcc, s4, v68
	v_ashrrev_i32_e32 v103, 31, v102
	v_addc_co_u32_e32 v69, vcc, v70, v69, vcc
	v_lshlrev_b64 v[70:71], 3, v[102:103]
	v_mov_b32_e32 v72, s5
	v_add_co_u32_e32 v70, vcc, s4, v70
	v_ashrrev_i32_e32 v105, 31, v104
	v_addc_co_u32_e32 v71, vcc, v72, v71, vcc
	v_lshlrev_b64 v[72:73], 3, v[104:105]
	v_mov_b32_e32 v74, s5
	v_add_co_u32_e32 v72, vcc, s4, v72
	v_ashrrev_i32_e32 v107, 31, v106
	v_addc_co_u32_e32 v73, vcc, v74, v73, vcc
	v_lshlrev_b64 v[74:75], 3, v[106:107]
	v_mov_b32_e32 v76, s5
	v_add_co_u32_e32 v74, vcc, s4, v74
	v_ashrrev_i32_e32 v109, 31, v108
	v_addc_co_u32_e32 v75, vcc, v76, v75, vcc
	v_lshlrev_b64 v[76:77], 3, v[108:109]
	v_mov_b32_e32 v78, s5
	v_add_co_u32_e32 v76, vcc, s4, v76
	v_ashrrev_i32_e32 v111, 31, v110
	v_addc_co_u32_e32 v77, vcc, v78, v77, vcc
	v_lshlrev_b64 v[78:79], 3, v[110:111]
	v_mov_b32_e32 v80, s5
	v_add_co_u32_e32 v78, vcc, s4, v78
	v_ashrrev_i32_e32 v113, 31, v112
	v_addc_co_u32_e32 v79, vcc, v80, v79, vcc
	v_lshlrev_b64 v[80:81], 3, v[112:113]
	v_mov_b32_e32 v82, s5
	v_add_co_u32_e32 v80, vcc, s4, v80
	v_ashrrev_i32_e32 v115, 31, v114
	v_addc_co_u32_e32 v81, vcc, v82, v81, vcc
	v_lshlrev_b64 v[82:83], 3, v[114:115]
	v_mov_b32_e32 v84, s5
	v_add_co_u32_e32 v82, vcc, s4, v82
	v_ashrrev_i32_e32 v117, 31, v116
	v_addc_co_u32_e32 v83, vcc, v84, v83, vcc
	v_lshlrev_b64 v[84:85], 3, v[116:117]
	v_mov_b32_e32 v86, s5
	v_add_co_u32_e32 v84, vcc, s4, v84
	v_ashrrev_i32_e32 v119, 31, v118
	v_addc_co_u32_e32 v85, vcc, v86, v85, vcc
	v_lshlrev_b64 v[86:87], 3, v[118:119]
	v_mov_b32_e32 v88, s5
	v_add_co_u32_e32 v86, vcc, s4, v86
	v_ashrrev_i32_e32 v121, 31, v120
	v_addc_co_u32_e32 v87, vcc, v88, v87, vcc
	v_lshlrev_b64 v[88:89], 3, v[120:121]
	v_mov_b32_e32 v90, s5
	v_add_co_u32_e32 v88, vcc, s4, v88
	v_ashrrev_i32_e32 v125, 31, v124
	v_addc_co_u32_e32 v89, vcc, v90, v89, vcc
	v_lshlrev_b64 v[90:91], 3, v[124:125]
	v_mov_b32_e32 v92, s5
	v_add_co_u32_e32 v90, vcc, s4, v90
	v_ashrrev_i32_e32 v129, 31, v128
	v_addc_co_u32_e32 v91, vcc, v92, v91, vcc
	v_lshlrev_b64 v[92:93], 3, v[128:129]
	v_mov_b32_e32 v94, s5
	v_add_co_u32_e32 v92, vcc, s4, v92
	v_ashrrev_i32_e32 v131, 31, v130
	v_addc_co_u32_e32 v93, vcc, v94, v93, vcc
	v_lshlrev_b64 v[94:95], 3, v[130:131]
	v_mov_b32_e32 v96, s5
	v_add_co_u32_e32 v94, vcc, s4, v94
	v_ashrrev_i32_e32 v133, 31, v132
	v_addc_co_u32_e32 v95, vcc, v96, v95, vcc
	v_lshlrev_b64 v[96:97], 3, v[132:133]
	v_mov_b32_e32 v98, s5
	v_add_co_u32_e32 v96, vcc, s4, v96
	v_ashrrev_i32_e32 v135, 31, v134
	v_addc_co_u32_e32 v97, vcc, v98, v97, vcc
	v_lshlrev_b64 v[98:99], 3, v[134:135]
	v_mov_b32_e32 v100, s5
	v_add_co_u32_e32 v98, vcc, s4, v98
	v_ashrrev_i32_e32 v137, 31, v136
	v_addc_co_u32_e32 v99, vcc, v100, v99, vcc
	v_lshlrev_b64 v[100:101], 3, v[136:137]
	v_mov_b32_e32 v102, s5
	v_add_co_u32_e32 v100, vcc, s4, v100
	v_ashrrev_i32_e32 v139, 31, v138
	v_addc_co_u32_e32 v101, vcc, v102, v101, vcc
	v_lshlrev_b64 v[102:103], 3, v[138:139]
	v_mov_b32_e32 v104, s5
	v_add_co_u32_e32 v102, vcc, s4, v102
	v_ashrrev_i32_e32 v141, 31, v140
	v_addc_co_u32_e32 v103, vcc, v104, v103, vcc
	v_lshlrev_b64 v[104:105], 3, v[140:141]
	v_mov_b32_e32 v106, s5
	v_add_co_u32_e32 v104, vcc, s4, v104
	v_ashrrev_i32_e32 v143, 31, v142
	v_addc_co_u32_e32 v105, vcc, v106, v105, vcc
	v_lshlrev_b64 v[106:107], 3, v[142:143]
	v_mov_b32_e32 v108, s5
	v_add_co_u32_e32 v106, vcc, s4, v106
	v_ashrrev_i32_e32 v145, 31, v144
	v_addc_co_u32_e32 v107, vcc, v108, v107, vcc
	v_lshlrev_b64 v[108:109], 3, v[144:145]
	v_mov_b32_e32 v110, s5
	v_add_co_u32_e32 v108, vcc, s4, v108
	v_ashrrev_i32_e32 v147, 31, v146
	v_addc_co_u32_e32 v109, vcc, v110, v109, vcc
	v_lshlrev_b64 v[110:111], 3, v[146:147]
	v_mov_b32_e32 v112, s5
	v_add_co_u32_e32 v110, vcc, s4, v110
	v_ashrrev_i32_e32 v149, 31, v148
	v_addc_co_u32_e32 v111, vcc, v112, v111, vcc
	v_lshlrev_b64 v[112:113], 3, v[148:149]
	v_mov_b32_e32 v114, s5
	v_add_co_u32_e32 v112, vcc, s4, v112
	v_ashrrev_i32_e32 v151, 31, v150
	v_addc_co_u32_e32 v113, vcc, v114, v113, vcc
	v_lshlrev_b64 v[114:115], 3, v[150:151]
	v_mov_b32_e32 v116, s5
	v_add_co_u32_e32 v114, vcc, s4, v114
	v_ashrrev_i32_e32 v157, 31, v156
	v_addc_co_u32_e32 v115, vcc, v116, v115, vcc
	v_lshlrev_b64 v[116:117], 3, v[156:157]
	v_mov_b32_e32 v118, s5
	v_add_co_u32_e32 v116, vcc, s4, v116
	v_ashrrev_i32_e32 v159, 31, v158
	v_addc_co_u32_e32 v117, vcc, v118, v117, vcc
	v_lshlrev_b64 v[118:119], 3, v[158:159]
	v_mov_b32_e32 v120, s5
	v_add_co_u32_e32 v118, vcc, s4, v118
	global_load_dwordx2 v[162:163], v[42:43], off
	global_load_dwordx2 v[164:165], v[44:45], off
	;; [unrolled: 1-line block ×36, first 2 shown]
	v_addc_co_u32_e32 v119, vcc, v120, v119, vcc
	global_load_dwordx2 v[150:151], v[114:115], off
	global_load_dwordx2 v[156:157], v[116:117], off
	;; [unrolled: 1-line block ×3, first 2 shown]
	v_ashrrev_i32_e32 v161, 31, v160
	v_lshlrev_b64 v[120:121], 3, v[160:161]
	v_mov_b32_e32 v122, s5
	v_add_co_u32_e32 v120, vcc, s4, v120
	v_addc_co_u32_e32 v121, vcc, v122, v121, vcc
	global_load_dwordx2 v[160:161], v[120:121], off
	s_nop 0
	buffer_store_dword v123, off, s[0:3], 0 offset:132
	s_waitcnt vmcnt(40)
	buffer_store_dword v162, off, s[0:3], 0 offset:136
	buffer_store_dword v163, off, s[0:3], 0 offset:140
	s_waitcnt vmcnt(41)
	buffer_store_dword v164, off, s[0:3], 0 offset:144
	buffer_store_dword v165, off, s[0:3], 0 offset:148
	s_waitcnt vmcnt(42)
	buffer_store_dword v167, off, s[0:3], 0 offset:156
	buffer_store_dword v166, off, s[0:3], 0 offset:152
	s_waitcnt vmcnt(43)
	buffer_store_dword v169, off, s[0:3], 0 offset:164
	buffer_store_dword v168, off, s[0:3], 0 offset:160
	s_waitcnt vmcnt(44)
	buffer_store_dword v170, off, s[0:3], 0 offset:168
	buffer_store_dword v171, off, s[0:3], 0 offset:172
	s_waitcnt vmcnt(45)
	buffer_store_dword v172, off, s[0:3], 0 offset:176
	buffer_store_dword v173, off, s[0:3], 0 offset:180
	s_waitcnt vmcnt(46)
	buffer_store_dword v174, off, s[0:3], 0 offset:184
	buffer_store_dword v175, off, s[0:3], 0 offset:188
	s_waitcnt vmcnt(47)
	buffer_store_dword v176, off, s[0:3], 0 offset:192
	buffer_store_dword v177, off, s[0:3], 0 offset:196
	s_waitcnt vmcnt(48)
	buffer_store_dword v181, off, s[0:3], 0 offset:204
	buffer_store_dword v180, off, s[0:3], 0 offset:200
	s_waitcnt vmcnt(49)
	buffer_store_dword v183, off, s[0:3], 0 offset:212
	buffer_store_dword v182, off, s[0:3], 0 offset:208
	s_waitcnt vmcnt(50)
	buffer_store_dword v184, off, s[0:3], 0 offset:216
	buffer_store_dword v185, off, s[0:3], 0 offset:220
	s_waitcnt vmcnt(51)
	buffer_store_dword v186, off, s[0:3], 0 offset:224
	buffer_store_dword v187, off, s[0:3], 0 offset:228
	s_waitcnt vmcnt(52)
	buffer_store_dword v188, off, s[0:3], 0 offset:232
	buffer_store_dword v189, off, s[0:3], 0 offset:236
	s_waitcnt vmcnt(53)
	buffer_store_dword v190, off, s[0:3], 0 offset:240
	buffer_store_dword v191, off, s[0:3], 0 offset:244
	s_waitcnt vmcnt(54)
	buffer_store_dword v193, off, s[0:3], 0 offset:252
	buffer_store_dword v192, off, s[0:3], 0 offset:248
	s_waitcnt vmcnt(55)
	buffer_store_dword v195, off, s[0:3], 0 offset:260
	buffer_store_dword v194, off, s[0:3], 0 offset:256
	s_waitcnt vmcnt(56)
	buffer_store_dword v196, off, s[0:3], 0 offset:264
	buffer_store_dword v197, off, s[0:3], 0 offset:268
	s_waitcnt vmcnt(57)
	buffer_store_dword v198, off, s[0:3], 0 offset:272
	buffer_store_dword v199, off, s[0:3], 0 offset:276
	s_waitcnt vmcnt(58)
	buffer_store_dword v200, off, s[0:3], 0 offset:280
	buffer_store_dword v201, off, s[0:3], 0 offset:284
	s_waitcnt vmcnt(59)
	buffer_store_dword v202, off, s[0:3], 0 offset:288
	buffer_store_dword v203, off, s[0:3], 0 offset:292
	s_waitcnt vmcnt(60)
	buffer_store_dword v205, off, s[0:3], 0 offset:300
	buffer_store_dword v204, off, s[0:3], 0 offset:296
	s_waitcnt vmcnt(61)
	buffer_store_dword v207, off, s[0:3], 0 offset:308
	buffer_store_dword v206, off, s[0:3], 0 offset:304
	s_waitcnt vmcnt(62)
	buffer_store_dword v208, off, s[0:3], 0 offset:312
	buffer_store_dword v209, off, s[0:3], 0 offset:316
	s_waitcnt vmcnt(62)
	buffer_store_dword v210, off, s[0:3], 0 offset:320
	buffer_store_dword v211, off, s[0:3], 0 offset:324
	buffer_store_dword v124, off, s[0:3], 0 offset:328
	;; [unrolled: 1-line block ×3, first 2 shown]
	s_waitcnt vmcnt(62)
	buffer_store_dword v128, off, s[0:3], 0 offset:336
	buffer_store_dword v129, off, s[0:3], 0 offset:340
	;; [unrolled: 1-line block ×8, first 2 shown]
	s_waitcnt vmcnt(62)
	buffer_store_dword v136, off, s[0:3], 0 offset:368
	buffer_store_dword v137, off, s[0:3], 0 offset:372
	;; [unrolled: 1-line block ×16, first 2 shown]
	s_waitcnt vmcnt(62)
	buffer_store_dword v156, off, s[0:3], 0 offset:432
	buffer_store_dword v157, off, s[0:3], 0 offset:436
	;; [unrolled: 1-line block ×12, first 2 shown]
	s_cmpk_lg_i32 s13, 0x84
	v_mov_b32_e32 v122, 0
	s_cselect_b64 s[8:9], -1, 0
	s_cmpk_eq_i32 s13, 0x84
	v_mov_b32_e32 v123, 0xbff00000
	s_cbranch_scc1 .LBB123_3
; %bb.2:
	v_lshl_add_u32 v132, v0, 3, v178
	buffer_load_dword v122, v132, s[0:3], 0 offen
	buffer_load_dword v123, v132, s[0:3], 0 offen offset:4
	s_waitcnt vmcnt(0)
	v_div_scale_f64 v[124:125], s[4:5], v[122:123], v[122:123], 1.0
	v_rcp_f64_e32 v[126:127], v[124:125]
	v_div_scale_f64 v[128:129], vcc, 1.0, v[122:123], 1.0
	v_fma_f64 v[130:131], -v[124:125], v[126:127], 1.0
	v_fmac_f64_e32 v[126:127], v[126:127], v[130:131]
	v_fma_f64 v[130:131], -v[124:125], v[126:127], 1.0
	v_fmac_f64_e32 v[126:127], v[126:127], v[130:131]
	v_mul_f64 v[130:131], v[128:129], v[126:127]
	v_fma_f64 v[124:125], -v[124:125], v[130:131], v[128:129]
	v_div_fmas_f64 v[124:125], v[124:125], v[126:127], v[130:131]
	v_div_fixup_f64 v[122:123], v[124:125], v[122:123], 1.0
	buffer_store_dword v122, v132, s[0:3], 0 offen
	buffer_store_dword v123, v132, s[0:3], 0 offen offset:4
	v_xor_b32_e32 v123, 0x80000000, v123
.LBB123_3:
	s_cmpk_eq_i32 s12, 0x79
	v_add_u32_e32 v124, 0x1e0, v1
	v_add_u32_e32 v125, 0, v1
	s_mov_b64 s[4:5], -1
	ds_write_b64 v1, v[122:123]
	s_cbranch_scc1 .LBB123_587
; %bb.4:
	buffer_load_dword v122, off, s[0:3], 0 offset:464
	buffer_load_dword v123, off, s[0:3], 0 offset:468
	v_cmp_eq_u32_e64 s[4:5], 59, v0
	s_waitcnt vmcnt(0)
	ds_write_b64 v124, v[122:123]
	s_waitcnt lgkmcnt(0)
	; wave barrier
	s_waitcnt lgkmcnt(0)
	s_and_saveexec_b64 s[6:7], s[4:5]
	s_cbranch_execz .LBB123_10
; %bb.5:
	s_and_b64 vcc, exec, s[8:9]
	s_cbranch_vccz .LBB123_7
; %bb.6:
	buffer_load_dword v122, v125, s[0:3], 0 offen
	buffer_load_dword v123, v125, s[0:3], 0 offen offset:4
	ds_read_b64 v[126:127], v124
	s_waitcnt vmcnt(0) lgkmcnt(0)
	v_mul_f64 v[122:123], v[122:123], v[126:127]
	s_cbranch_execz .LBB123_8
	s_branch .LBB123_9
.LBB123_7:
                                        ; implicit-def: $vgpr122_vgpr123
.LBB123_8:
	ds_read_b64 v[122:123], v124
.LBB123_9:
	v_mov_b32_e32 v126, 0
	ds_read_b64 v[126:127], v126 offset:464
	s_waitcnt lgkmcnt(0)
	v_mul_f64 v[122:123], v[122:123], v[126:127]
	buffer_store_dword v123, off, s[0:3], 0 offset:468
	buffer_store_dword v122, off, s[0:3], 0 offset:464
.LBB123_10:
	s_or_b64 exec, exec, s[6:7]
	buffer_load_dword v122, off, s[0:3], 0 offset:456
	buffer_load_dword v123, off, s[0:3], 0 offset:460
	v_or_b32_e32 v126, 8, v178
	v_add_u32_e32 v127, 16, v178
	v_add_u32_e32 v128, 24, v178
	;; [unrolled: 1-line block ×56, first 2 shown]
	v_cmp_lt_u32_e64 s[6:7], 57, v0
	s_waitcnt vmcnt(0)
	ds_write_b64 v124, v[122:123]
	s_waitcnt lgkmcnt(0)
	; wave barrier
	s_waitcnt lgkmcnt(0)
	s_and_saveexec_b64 s[10:11], s[6:7]
	s_cbranch_execz .LBB123_16
; %bb.11:
	s_andn2_b64 vcc, exec, s[8:9]
	s_cbranch_vccnz .LBB123_13
; %bb.12:
	buffer_load_dword v122, v125, s[0:3], 0 offen
	buffer_load_dword v123, v125, s[0:3], 0 offen offset:4
	ds_read_b64 v[184:185], v124
	s_waitcnt vmcnt(0) lgkmcnt(0)
	v_mul_f64 v[122:123], v[122:123], v[184:185]
	s_cbranch_execz .LBB123_14
	s_branch .LBB123_15
.LBB123_13:
                                        ; implicit-def: $vgpr122_vgpr123
.LBB123_14:
	ds_read_b64 v[122:123], v124
.LBB123_15:
	buffer_load_dword v188, off, s[0:3], 0 offset:464
	buffer_load_dword v189, off, s[0:3], 0 offset:468
	v_mov_b32_e32 v183, 0
	ds_read2_b64 v[184:187], v183 offset0:57 offset1:118
	s_waitcnt vmcnt(0) lgkmcnt(0)
	v_fma_f64 v[186:187], v[188:189], v[186:187], v[122:123]
	v_cndmask_b32_e64 v123, v123, v187, s[4:5]
	v_cndmask_b32_e64 v122, v122, v186, s[4:5]
	v_mul_f64 v[122:123], v[122:123], v[184:185]
	buffer_store_dword v123, off, s[0:3], 0 offset:460
	buffer_store_dword v122, off, s[0:3], 0 offset:456
.LBB123_16:
	s_or_b64 exec, exec, s[10:11]
	buffer_load_dword v122, off, s[0:3], 0 offset:448
	buffer_load_dword v123, off, s[0:3], 0 offset:452
	v_cmp_lt_u32_e64 s[4:5], 56, v0
	s_waitcnt vmcnt(0)
	ds_write_b64 v124, v[122:123]
	s_waitcnt lgkmcnt(0)
	; wave barrier
	s_waitcnt lgkmcnt(0)
	s_and_saveexec_b64 s[10:11], s[4:5]
	s_cbranch_execz .LBB123_26
; %bb.17:
	s_andn2_b64 vcc, exec, s[8:9]
	s_cbranch_vccnz .LBB123_19
; %bb.18:
	buffer_load_dword v122, v125, s[0:3], 0 offen
	buffer_load_dword v123, v125, s[0:3], 0 offen offset:4
	ds_read_b64 v[184:185], v124
	s_waitcnt vmcnt(0) lgkmcnt(0)
	v_mul_f64 v[122:123], v[122:123], v[184:185]
	s_cbranch_execz .LBB123_20
	s_branch .LBB123_21
.LBB123_19:
                                        ; implicit-def: $vgpr122_vgpr123
.LBB123_20:
	ds_read_b64 v[122:123], v124
.LBB123_21:
	s_and_saveexec_b64 s[12:13], s[6:7]
	s_cbranch_execz .LBB123_25
; %bb.22:
	v_subrev_u32_e32 v183, 57, v0
	s_movk_i32 s14, 0x3a8
	s_mov_b64 s[6:7], 0
.LBB123_23:                             ; =>This Inner Loop Header: Depth=1
	buffer_load_dword v184, v178, s[0:3], 0 offen
	buffer_load_dword v185, v178, s[0:3], 0 offen offset:4
	v_mov_b32_e32 v186, s14
	ds_read_b64 v[186:187], v186
	v_add_u32_e32 v183, -1, v183
	s_add_i32 s14, s14, 8
	v_cmp_eq_u32_e32 vcc, 0, v183
	v_add_u32_e32 v178, 8, v178
	s_or_b64 s[6:7], vcc, s[6:7]
	s_waitcnt vmcnt(0) lgkmcnt(0)
	v_fmac_f64_e32 v[122:123], v[184:185], v[186:187]
	s_andn2_b64 exec, exec, s[6:7]
	s_cbranch_execnz .LBB123_23
; %bb.24:
	s_or_b64 exec, exec, s[6:7]
.LBB123_25:
	s_or_b64 exec, exec, s[12:13]
	v_mov_b32_e32 v178, 0
	ds_read_b64 v[184:185], v178 offset:448
	s_waitcnt lgkmcnt(0)
	v_mul_f64 v[122:123], v[122:123], v[184:185]
	buffer_store_dword v123, off, s[0:3], 0 offset:452
	buffer_store_dword v122, off, s[0:3], 0 offset:448
.LBB123_26:
	s_or_b64 exec, exec, s[10:11]
	buffer_load_dword v122, off, s[0:3], 0 offset:440
	buffer_load_dword v123, off, s[0:3], 0 offset:444
	v_cmp_lt_u32_e64 s[6:7], 55, v0
	s_waitcnt vmcnt(0)
	ds_write_b64 v124, v[122:123]
	s_waitcnt lgkmcnt(0)
	; wave barrier
	s_waitcnt lgkmcnt(0)
	s_and_saveexec_b64 s[10:11], s[6:7]
	s_cbranch_execz .LBB123_36
; %bb.27:
	s_andn2_b64 vcc, exec, s[8:9]
	s_cbranch_vccnz .LBB123_29
; %bb.28:
	buffer_load_dword v122, v125, s[0:3], 0 offen
	buffer_load_dword v123, v125, s[0:3], 0 offen offset:4
	ds_read_b64 v[184:185], v124
	s_waitcnt vmcnt(0) lgkmcnt(0)
	v_mul_f64 v[122:123], v[122:123], v[184:185]
	s_cbranch_execz .LBB123_30
	s_branch .LBB123_31
.LBB123_29:
                                        ; implicit-def: $vgpr122_vgpr123
.LBB123_30:
	ds_read_b64 v[122:123], v124
.LBB123_31:
	s_and_saveexec_b64 s[12:13], s[4:5]
	s_cbranch_execz .LBB123_35
; %bb.32:
	v_subrev_u32_e32 v178, 56, v0
	s_movk_i32 s14, 0x3a0
	s_mov_b64 s[4:5], 0
.LBB123_33:                             ; =>This Inner Loop Header: Depth=1
	buffer_load_dword v184, v182, s[0:3], 0 offen
	buffer_load_dword v185, v182, s[0:3], 0 offen offset:4
	v_mov_b32_e32 v183, s14
	ds_read_b64 v[186:187], v183
	v_add_u32_e32 v178, -1, v178
	s_add_i32 s14, s14, 8
	v_cmp_eq_u32_e32 vcc, 0, v178
	v_add_u32_e32 v182, 8, v182
	s_or_b64 s[4:5], vcc, s[4:5]
	s_waitcnt vmcnt(0) lgkmcnt(0)
	v_fmac_f64_e32 v[122:123], v[184:185], v[186:187]
	s_andn2_b64 exec, exec, s[4:5]
	s_cbranch_execnz .LBB123_33
; %bb.34:
	s_or_b64 exec, exec, s[4:5]
.LBB123_35:
	s_or_b64 exec, exec, s[12:13]
	v_mov_b32_e32 v178, 0
	ds_read_b64 v[182:183], v178 offset:440
	s_waitcnt lgkmcnt(0)
	v_mul_f64 v[122:123], v[122:123], v[182:183]
	buffer_store_dword v123, off, s[0:3], 0 offset:444
	buffer_store_dword v122, off, s[0:3], 0 offset:440
.LBB123_36:
	;; [unrolled: 58-line block ×8, first 2 shown]
	s_or_b64 exec, exec, s[10:11]
	buffer_load_dword v122, off, s[0:3], 0 offset:384
	buffer_load_dword v123, off, s[0:3], 0 offset:388
	v_cmp_lt_u32_e64 s[4:5], 48, v0
	s_waitcnt vmcnt(0)
	ds_write_b64 v124, v[122:123]
	s_waitcnt lgkmcnt(0)
	; wave barrier
	s_waitcnt lgkmcnt(0)
	s_and_saveexec_b64 s[10:11], s[4:5]
	s_cbranch_execz .LBB123_106
; %bb.97:
	s_andn2_b64 vcc, exec, s[8:9]
	s_cbranch_vccnz .LBB123_99
; %bb.98:
	buffer_load_dword v122, v125, s[0:3], 0 offen
	buffer_load_dword v123, v125, s[0:3], 0 offen offset:4
	ds_read_b64 v[176:177], v124
	s_waitcnt vmcnt(0) lgkmcnt(0)
	v_mul_f64 v[122:123], v[122:123], v[176:177]
	s_cbranch_execz .LBB123_100
	s_branch .LBB123_101
.LBB123_99:
                                        ; implicit-def: $vgpr122_vgpr123
.LBB123_100:
	ds_read_b64 v[122:123], v124
.LBB123_101:
	s_and_saveexec_b64 s[12:13], s[6:7]
	s_cbranch_execz .LBB123_105
; %bb.102:
	v_subrev_u32_e32 v175, 49, v0
	s_movk_i32 s14, 0x368
	s_mov_b64 s[6:7], 0
.LBB123_103:                            ; =>This Inner Loop Header: Depth=1
	buffer_load_dword v176, v174, s[0:3], 0 offen
	buffer_load_dword v177, v174, s[0:3], 0 offen offset:4
	v_mov_b32_e32 v178, s14
	ds_read_b64 v[178:179], v178
	v_add_u32_e32 v175, -1, v175
	s_add_i32 s14, s14, 8
	v_cmp_eq_u32_e32 vcc, 0, v175
	v_add_u32_e32 v174, 8, v174
	s_or_b64 s[6:7], vcc, s[6:7]
	s_waitcnt vmcnt(0) lgkmcnt(0)
	v_fmac_f64_e32 v[122:123], v[176:177], v[178:179]
	s_andn2_b64 exec, exec, s[6:7]
	s_cbranch_execnz .LBB123_103
; %bb.104:
	s_or_b64 exec, exec, s[6:7]
.LBB123_105:
	s_or_b64 exec, exec, s[12:13]
	v_mov_b32_e32 v174, 0
	ds_read_b64 v[174:175], v174 offset:384
	s_waitcnt lgkmcnt(0)
	v_mul_f64 v[122:123], v[122:123], v[174:175]
	buffer_store_dword v123, off, s[0:3], 0 offset:388
	buffer_store_dword v122, off, s[0:3], 0 offset:384
.LBB123_106:
	s_or_b64 exec, exec, s[10:11]
	buffer_load_dword v122, off, s[0:3], 0 offset:376
	buffer_load_dword v123, off, s[0:3], 0 offset:380
	v_cmp_lt_u32_e64 s[6:7], 47, v0
	s_waitcnt vmcnt(0)
	ds_write_b64 v124, v[122:123]
	s_waitcnt lgkmcnt(0)
	; wave barrier
	s_waitcnt lgkmcnt(0)
	s_and_saveexec_b64 s[10:11], s[6:7]
	s_cbranch_execz .LBB123_116
; %bb.107:
	s_andn2_b64 vcc, exec, s[8:9]
	s_cbranch_vccnz .LBB123_109
; %bb.108:
	buffer_load_dword v122, v125, s[0:3], 0 offen
	buffer_load_dword v123, v125, s[0:3], 0 offen offset:4
	ds_read_b64 v[174:175], v124
	s_waitcnt vmcnt(0) lgkmcnt(0)
	v_mul_f64 v[122:123], v[122:123], v[174:175]
	s_cbranch_execz .LBB123_110
	s_branch .LBB123_111
.LBB123_109:
                                        ; implicit-def: $vgpr122_vgpr123
.LBB123_110:
	ds_read_b64 v[122:123], v124
.LBB123_111:
	s_and_saveexec_b64 s[12:13], s[4:5]
	s_cbranch_execz .LBB123_115
; %bb.112:
	v_subrev_u32_e32 v174, 48, v0
	s_movk_i32 s14, 0x360
	s_mov_b64 s[4:5], 0
.LBB123_113:                            ; =>This Inner Loop Header: Depth=1
	buffer_load_dword v176, v173, s[0:3], 0 offen
	buffer_load_dword v177, v173, s[0:3], 0 offen offset:4
	v_mov_b32_e32 v175, s14
	ds_read_b64 v[178:179], v175
	v_add_u32_e32 v174, -1, v174
	s_add_i32 s14, s14, 8
	v_cmp_eq_u32_e32 vcc, 0, v174
	v_add_u32_e32 v173, 8, v173
	s_or_b64 s[4:5], vcc, s[4:5]
	s_waitcnt vmcnt(0) lgkmcnt(0)
	v_fmac_f64_e32 v[122:123], v[176:177], v[178:179]
	s_andn2_b64 exec, exec, s[4:5]
	s_cbranch_execnz .LBB123_113
; %bb.114:
	s_or_b64 exec, exec, s[4:5]
.LBB123_115:
	s_or_b64 exec, exec, s[12:13]
	v_mov_b32_e32 v173, 0
	ds_read_b64 v[174:175], v173 offset:376
	s_waitcnt lgkmcnt(0)
	v_mul_f64 v[122:123], v[122:123], v[174:175]
	buffer_store_dword v123, off, s[0:3], 0 offset:380
	buffer_store_dword v122, off, s[0:3], 0 offset:376
.LBB123_116:
	;; [unrolled: 58-line block ×33, first 2 shown]
	s_or_b64 exec, exec, s[10:11]
	buffer_load_dword v122, off, s[0:3], 0 offset:120
	buffer_load_dword v123, off, s[0:3], 0 offset:124
	v_cmp_lt_u32_e64 s[6:7], 15, v0
	s_waitcnt vmcnt(0)
	ds_write_b64 v124, v[122:123]
	s_waitcnt lgkmcnt(0)
	; wave barrier
	s_waitcnt lgkmcnt(0)
	s_and_saveexec_b64 s[10:11], s[6:7]
	s_cbranch_execz .LBB123_436
; %bb.427:
	s_andn2_b64 vcc, exec, s[8:9]
	s_cbranch_vccnz .LBB123_429
; %bb.428:
	buffer_load_dword v122, v125, s[0:3], 0 offen
	buffer_load_dword v123, v125, s[0:3], 0 offen offset:4
	ds_read_b64 v[142:143], v124
	s_waitcnt vmcnt(0) lgkmcnt(0)
	v_mul_f64 v[122:123], v[122:123], v[142:143]
	s_cbranch_execz .LBB123_430
	s_branch .LBB123_431
.LBB123_429:
                                        ; implicit-def: $vgpr122_vgpr123
.LBB123_430:
	ds_read_b64 v[122:123], v124
.LBB123_431:
	s_and_saveexec_b64 s[12:13], s[4:5]
	s_cbranch_execz .LBB123_435
; %bb.432:
	v_add_u32_e32 v142, -16, v0
	s_movk_i32 s14, 0x260
	s_mov_b64 s[4:5], 0
.LBB123_433:                            ; =>This Inner Loop Header: Depth=1
	buffer_load_dword v144, v141, s[0:3], 0 offen
	buffer_load_dword v145, v141, s[0:3], 0 offen offset:4
	v_mov_b32_e32 v143, s14
	ds_read_b64 v[146:147], v143
	v_add_u32_e32 v142, -1, v142
	s_add_i32 s14, s14, 8
	v_cmp_eq_u32_e32 vcc, 0, v142
	v_add_u32_e32 v141, 8, v141
	s_or_b64 s[4:5], vcc, s[4:5]
	s_waitcnt vmcnt(0) lgkmcnt(0)
	v_fmac_f64_e32 v[122:123], v[144:145], v[146:147]
	s_andn2_b64 exec, exec, s[4:5]
	s_cbranch_execnz .LBB123_433
; %bb.434:
	s_or_b64 exec, exec, s[4:5]
.LBB123_435:
	s_or_b64 exec, exec, s[12:13]
	v_mov_b32_e32 v141, 0
	ds_read_b64 v[142:143], v141 offset:120
	s_waitcnt lgkmcnt(0)
	v_mul_f64 v[122:123], v[122:123], v[142:143]
	buffer_store_dword v123, off, s[0:3], 0 offset:124
	buffer_store_dword v122, off, s[0:3], 0 offset:120
.LBB123_436:
	s_or_b64 exec, exec, s[10:11]
	buffer_load_dword v122, off, s[0:3], 0 offset:112
	buffer_load_dword v123, off, s[0:3], 0 offset:116
	v_cmp_lt_u32_e64 s[4:5], 14, v0
	s_waitcnt vmcnt(0)
	ds_write_b64 v124, v[122:123]
	s_waitcnt lgkmcnt(0)
	; wave barrier
	s_waitcnt lgkmcnt(0)
	s_and_saveexec_b64 s[10:11], s[4:5]
	s_cbranch_execz .LBB123_446
; %bb.437:
	s_andn2_b64 vcc, exec, s[8:9]
	s_cbranch_vccnz .LBB123_439
; %bb.438:
	buffer_load_dword v122, v125, s[0:3], 0 offen
	buffer_load_dword v123, v125, s[0:3], 0 offen offset:4
	ds_read_b64 v[142:143], v124
	s_waitcnt vmcnt(0) lgkmcnt(0)
	v_mul_f64 v[122:123], v[122:123], v[142:143]
	s_cbranch_execz .LBB123_440
	s_branch .LBB123_441
.LBB123_439:
                                        ; implicit-def: $vgpr122_vgpr123
.LBB123_440:
	ds_read_b64 v[122:123], v124
.LBB123_441:
	s_and_saveexec_b64 s[12:13], s[6:7]
	s_cbranch_execz .LBB123_445
; %bb.442:
	v_add_u32_e32 v141, -15, v0
	s_movk_i32 s14, 0x258
	s_mov_b64 s[6:7], 0
.LBB123_443:                            ; =>This Inner Loop Header: Depth=1
	buffer_load_dword v142, v140, s[0:3], 0 offen
	buffer_load_dword v143, v140, s[0:3], 0 offen offset:4
	v_mov_b32_e32 v144, s14
	ds_read_b64 v[144:145], v144
	v_add_u32_e32 v141, -1, v141
	s_add_i32 s14, s14, 8
	v_cmp_eq_u32_e32 vcc, 0, v141
	v_add_u32_e32 v140, 8, v140
	s_or_b64 s[6:7], vcc, s[6:7]
	s_waitcnt vmcnt(0) lgkmcnt(0)
	v_fmac_f64_e32 v[122:123], v[142:143], v[144:145]
	s_andn2_b64 exec, exec, s[6:7]
	s_cbranch_execnz .LBB123_443
; %bb.444:
	s_or_b64 exec, exec, s[6:7]
.LBB123_445:
	s_or_b64 exec, exec, s[12:13]
	v_mov_b32_e32 v140, 0
	ds_read_b64 v[140:141], v140 offset:112
	s_waitcnt lgkmcnt(0)
	v_mul_f64 v[122:123], v[122:123], v[140:141]
	buffer_store_dword v123, off, s[0:3], 0 offset:116
	buffer_store_dword v122, off, s[0:3], 0 offset:112
.LBB123_446:
	;; [unrolled: 58-line block ×15, first 2 shown]
	s_or_b64 exec, exec, s[10:11]
	buffer_load_dword v122, off, s[0:3], 0
	buffer_load_dword v123, off, s[0:3], 0 offset:4
	v_cmp_ne_u32_e32 vcc, 0, v0
	s_waitcnt vmcnt(0)
	ds_write_b64 v124, v[122:123]
	s_waitcnt lgkmcnt(0)
	; wave barrier
	s_waitcnt lgkmcnt(0)
	s_and_saveexec_b64 s[4:5], vcc
	s_cbranch_execz .LBB123_586
; %bb.577:
	s_andn2_b64 vcc, exec, s[8:9]
	s_cbranch_vccnz .LBB123_579
; %bb.578:
	buffer_load_dword v122, v125, s[0:3], 0 offen
	buffer_load_dword v123, v125, s[0:3], 0 offen offset:4
	ds_read_b64 v[128:129], v124
	s_waitcnt vmcnt(0) lgkmcnt(0)
	v_mul_f64 v[122:123], v[122:123], v[128:129]
	s_cbranch_execz .LBB123_580
	s_branch .LBB123_581
.LBB123_579:
                                        ; implicit-def: $vgpr122_vgpr123
.LBB123_580:
	ds_read_b64 v[122:123], v124
.LBB123_581:
	s_and_saveexec_b64 s[10:11], s[6:7]
	s_cbranch_execz .LBB123_585
; %bb.582:
	v_add_u32_e32 v127, -1, v0
	s_movk_i32 s12, 0x1e8
	s_mov_b64 s[6:7], 0
.LBB123_583:                            ; =>This Inner Loop Header: Depth=1
	buffer_load_dword v128, v126, s[0:3], 0 offen
	buffer_load_dword v129, v126, s[0:3], 0 offen offset:4
	v_mov_b32_e32 v130, s12
	ds_read_b64 v[130:131], v130
	v_add_u32_e32 v127, -1, v127
	s_add_i32 s12, s12, 8
	v_cmp_eq_u32_e32 vcc, 0, v127
	v_add_u32_e32 v126, 8, v126
	s_or_b64 s[6:7], vcc, s[6:7]
	s_waitcnt vmcnt(0) lgkmcnt(0)
	v_fmac_f64_e32 v[122:123], v[128:129], v[130:131]
	s_andn2_b64 exec, exec, s[6:7]
	s_cbranch_execnz .LBB123_583
; %bb.584:
	s_or_b64 exec, exec, s[6:7]
.LBB123_585:
	s_or_b64 exec, exec, s[10:11]
	v_mov_b32_e32 v126, 0
	ds_read_b64 v[126:127], v126
	s_waitcnt lgkmcnt(0)
	v_mul_f64 v[122:123], v[122:123], v[126:127]
	buffer_store_dword v123, off, s[0:3], 0 offset:4
	buffer_store_dword v122, off, s[0:3], 0
.LBB123_586:
	s_or_b64 exec, exec, s[4:5]
	s_mov_b64 s[4:5], 0
.LBB123_587:
	s_and_b64 vcc, exec, s[4:5]
	s_cbranch_vccz .LBB123_1171
; %bb.588:
	buffer_load_dword v122, off, s[0:3], 0 offset:8
	buffer_load_dword v123, off, s[0:3], 0 offset:12
	v_cmp_eq_u32_e64 s[6:7], 0, v0
	s_waitcnt vmcnt(0)
	ds_write_b64 v124, v[122:123]
	s_waitcnt lgkmcnt(0)
	; wave barrier
	s_waitcnt lgkmcnt(0)
	s_and_saveexec_b64 s[4:5], s[6:7]
	s_cbranch_execz .LBB123_594
; %bb.589:
	s_and_b64 vcc, exec, s[8:9]
	s_cbranch_vccz .LBB123_591
; %bb.590:
	buffer_load_dword v122, v125, s[0:3], 0 offen
	buffer_load_dword v123, v125, s[0:3], 0 offen offset:4
	ds_read_b64 v[126:127], v124
	s_waitcnt vmcnt(0) lgkmcnt(0)
	v_mul_f64 v[122:123], v[122:123], v[126:127]
	s_cbranch_execz .LBB123_592
	s_branch .LBB123_593
.LBB123_591:
                                        ; implicit-def: $vgpr122_vgpr123
.LBB123_592:
	ds_read_b64 v[122:123], v124
.LBB123_593:
	v_mov_b32_e32 v126, 0
	ds_read_b64 v[126:127], v126 offset:8
	s_waitcnt lgkmcnt(0)
	v_mul_f64 v[122:123], v[122:123], v[126:127]
	buffer_store_dword v123, off, s[0:3], 0 offset:12
	buffer_store_dword v122, off, s[0:3], 0 offset:8
.LBB123_594:
	s_or_b64 exec, exec, s[4:5]
	buffer_load_dword v122, off, s[0:3], 0 offset:16
	buffer_load_dword v123, off, s[0:3], 0 offset:20
	v_cndmask_b32_e64 v126, 0, 1, s[8:9]
	v_cmp_gt_u32_e32 vcc, 2, v0
	v_cmp_ne_u32_e64 s[4:5], 1, v126
	s_waitcnt vmcnt(0)
	ds_write_b64 v124, v[122:123]
	s_waitcnt lgkmcnt(0)
	; wave barrier
	s_waitcnt lgkmcnt(0)
	s_and_saveexec_b64 s[8:9], vcc
	s_cbranch_execz .LBB123_602
; %bb.595:
	s_and_b64 vcc, exec, s[4:5]
	s_cbranch_vccnz .LBB123_597
; %bb.596:
	buffer_load_dword v122, v125, s[0:3], 0 offen
	buffer_load_dword v123, v125, s[0:3], 0 offen offset:4
	ds_read_b64 v[126:127], v124
	s_waitcnt vmcnt(0) lgkmcnt(0)
	v_mul_f64 v[122:123], v[122:123], v[126:127]
	s_cbranch_execz .LBB123_598
	s_branch .LBB123_599
.LBB123_597:
                                        ; implicit-def: $vgpr122_vgpr123
.LBB123_598:
	ds_read_b64 v[122:123], v124
.LBB123_599:
	s_and_saveexec_b64 s[10:11], s[6:7]
	s_cbranch_execz .LBB123_601
; %bb.600:
	buffer_load_dword v126, v125, s[0:3], 0 offen offset:8
	buffer_load_dword v127, v125, s[0:3], 0 offen offset:12
	ds_read_b64 v[128:129], v124 offset:8
	s_waitcnt vmcnt(0) lgkmcnt(0)
	v_fmac_f64_e32 v[122:123], v[126:127], v[128:129]
.LBB123_601:
	s_or_b64 exec, exec, s[10:11]
	v_mov_b32_e32 v126, 0
	ds_read_b64 v[126:127], v126 offset:16
	s_waitcnt lgkmcnt(0)
	v_mul_f64 v[122:123], v[122:123], v[126:127]
	buffer_store_dword v123, off, s[0:3], 0 offset:20
	buffer_store_dword v122, off, s[0:3], 0 offset:16
.LBB123_602:
	s_or_b64 exec, exec, s[8:9]
	buffer_load_dword v122, off, s[0:3], 0 offset:24
	buffer_load_dword v123, off, s[0:3], 0 offset:28
	v_cmp_gt_u32_e32 vcc, 3, v0
	s_waitcnt vmcnt(0)
	ds_write_b64 v124, v[122:123]
	s_waitcnt lgkmcnt(0)
	; wave barrier
	s_waitcnt lgkmcnt(0)
	s_and_saveexec_b64 s[8:9], vcc
	s_cbranch_execz .LBB123_610
; %bb.603:
	s_and_b64 vcc, exec, s[4:5]
	s_cbranch_vccnz .LBB123_605
; %bb.604:
	buffer_load_dword v122, v125, s[0:3], 0 offen
	buffer_load_dword v123, v125, s[0:3], 0 offen offset:4
	ds_read_b64 v[126:127], v124
	s_waitcnt vmcnt(0) lgkmcnt(0)
	v_mul_f64 v[122:123], v[122:123], v[126:127]
	s_cbranch_execz .LBB123_606
	s_branch .LBB123_607
.LBB123_605:
                                        ; implicit-def: $vgpr122_vgpr123
.LBB123_606:
	ds_read_b64 v[122:123], v124
.LBB123_607:
	v_cmp_ne_u32_e32 vcc, 2, v0
	s_and_saveexec_b64 s[10:11], vcc
	s_cbranch_execz .LBB123_609
; %bb.608:
	buffer_load_dword v127, v125, s[0:3], 0 offen offset:12
	buffer_load_dword v128, off, s[0:3], 0 offset:16
	buffer_load_dword v126, v125, s[0:3], 0 offen offset:8
	buffer_load_dword v129, off, s[0:3], 0 offset:20
	v_mov_b32_e32 v132, 0
	ds_read_b64 v[130:131], v124 offset:8
	ds_read_b64 v[132:133], v132 offset:496
	s_waitcnt vmcnt(1) lgkmcnt(1)
	v_fmac_f64_e32 v[122:123], v[126:127], v[130:131]
	s_waitcnt vmcnt(0) lgkmcnt(0)
	v_fma_f64 v[126:127], v[128:129], v[132:133], v[122:123]
	v_cndmask_b32_e64 v123, v123, v127, s[6:7]
	v_cndmask_b32_e64 v122, v122, v126, s[6:7]
.LBB123_609:
	s_or_b64 exec, exec, s[10:11]
	v_mov_b32_e32 v126, 0
	ds_read_b64 v[126:127], v126 offset:24
	s_waitcnt lgkmcnt(0)
	v_mul_f64 v[122:123], v[122:123], v[126:127]
	buffer_store_dword v123, off, s[0:3], 0 offset:28
	buffer_store_dword v122, off, s[0:3], 0 offset:24
.LBB123_610:
	s_or_b64 exec, exec, s[8:9]
	buffer_load_dword v122, off, s[0:3], 0 offset:32
	buffer_load_dword v123, off, s[0:3], 0 offset:36
	v_cmp_gt_u32_e32 vcc, 4, v0
	s_waitcnt vmcnt(0)
	ds_write_b64 v124, v[122:123]
	s_waitcnt lgkmcnt(0)
	; wave barrier
	s_waitcnt lgkmcnt(0)
	s_and_saveexec_b64 s[6:7], vcc
	s_cbranch_execz .LBB123_620
; %bb.611:
	s_and_b64 vcc, exec, s[4:5]
	s_cbranch_vccnz .LBB123_613
; %bb.612:
	buffer_load_dword v122, v125, s[0:3], 0 offen
	buffer_load_dword v123, v125, s[0:3], 0 offen offset:4
	ds_read_b64 v[126:127], v124
	s_waitcnt vmcnt(0) lgkmcnt(0)
	v_mul_f64 v[122:123], v[122:123], v[126:127]
	s_cbranch_execz .LBB123_614
	s_branch .LBB123_615
.LBB123_613:
                                        ; implicit-def: $vgpr122_vgpr123
.LBB123_614:
	ds_read_b64 v[122:123], v124
.LBB123_615:
	v_cmp_ne_u32_e32 vcc, 3, v0
	s_and_saveexec_b64 s[8:9], vcc
	s_cbranch_execz .LBB123_619
; %bb.616:
	v_mov_b32_e32 v127, 0
	v_add_u32_e32 v126, 0x1e8, v1
	v_add3_u32 v127, v1, v127, 8
	s_mov_b64 s[10:11], 0
	v_mov_b32_e32 v128, v0
.LBB123_617:                            ; =>This Inner Loop Header: Depth=1
	buffer_load_dword v130, v127, s[0:3], 0 offen
	buffer_load_dword v131, v127, s[0:3], 0 offen offset:4
	ds_read_b64 v[132:133], v126
	v_add_u32_e32 v128, 1, v128
	v_cmp_lt_u32_e32 vcc, 2, v128
	v_add_u32_e32 v126, 8, v126
	v_add_u32_e32 v127, 8, v127
	s_or_b64 s[10:11], vcc, s[10:11]
	s_waitcnt vmcnt(0) lgkmcnt(0)
	v_fmac_f64_e32 v[122:123], v[130:131], v[132:133]
	s_andn2_b64 exec, exec, s[10:11]
	s_cbranch_execnz .LBB123_617
; %bb.618:
	s_or_b64 exec, exec, s[10:11]
.LBB123_619:
	s_or_b64 exec, exec, s[8:9]
	v_mov_b32_e32 v126, 0
	ds_read_b64 v[126:127], v126 offset:32
	s_waitcnt lgkmcnt(0)
	v_mul_f64 v[122:123], v[122:123], v[126:127]
	buffer_store_dword v123, off, s[0:3], 0 offset:36
	buffer_store_dword v122, off, s[0:3], 0 offset:32
.LBB123_620:
	s_or_b64 exec, exec, s[6:7]
	buffer_load_dword v122, off, s[0:3], 0 offset:40
	buffer_load_dword v123, off, s[0:3], 0 offset:44
	v_cmp_gt_u32_e32 vcc, 5, v0
	s_waitcnt vmcnt(0)
	ds_write_b64 v124, v[122:123]
	s_waitcnt lgkmcnt(0)
	; wave barrier
	s_waitcnt lgkmcnt(0)
	s_and_saveexec_b64 s[6:7], vcc
	s_cbranch_execz .LBB123_630
; %bb.621:
	s_and_b64 vcc, exec, s[4:5]
	s_cbranch_vccnz .LBB123_623
; %bb.622:
	buffer_load_dword v122, v125, s[0:3], 0 offen
	buffer_load_dword v123, v125, s[0:3], 0 offen offset:4
	ds_read_b64 v[126:127], v124
	s_waitcnt vmcnt(0) lgkmcnt(0)
	v_mul_f64 v[122:123], v[122:123], v[126:127]
	s_cbranch_execz .LBB123_624
	s_branch .LBB123_625
.LBB123_623:
                                        ; implicit-def: $vgpr122_vgpr123
.LBB123_624:
	ds_read_b64 v[122:123], v124
.LBB123_625:
	v_cmp_ne_u32_e32 vcc, 4, v0
	s_and_saveexec_b64 s[8:9], vcc
	s_cbranch_execz .LBB123_629
; %bb.626:
	v_mov_b32_e32 v127, 0
	v_add_u32_e32 v126, 0x1e8, v1
	v_add3_u32 v127, v1, v127, 8
	s_mov_b64 s[10:11], 0
	v_mov_b32_e32 v128, v0
.LBB123_627:                            ; =>This Inner Loop Header: Depth=1
	buffer_load_dword v130, v127, s[0:3], 0 offen
	buffer_load_dword v131, v127, s[0:3], 0 offen offset:4
	ds_read_b64 v[132:133], v126
	v_add_u32_e32 v128, 1, v128
	v_cmp_lt_u32_e32 vcc, 3, v128
	v_add_u32_e32 v126, 8, v126
	v_add_u32_e32 v127, 8, v127
	s_or_b64 s[10:11], vcc, s[10:11]
	s_waitcnt vmcnt(0) lgkmcnt(0)
	v_fmac_f64_e32 v[122:123], v[130:131], v[132:133]
	s_andn2_b64 exec, exec, s[10:11]
	s_cbranch_execnz .LBB123_627
; %bb.628:
	s_or_b64 exec, exec, s[10:11]
.LBB123_629:
	s_or_b64 exec, exec, s[8:9]
	v_mov_b32_e32 v126, 0
	ds_read_b64 v[126:127], v126 offset:40
	s_waitcnt lgkmcnt(0)
	v_mul_f64 v[122:123], v[122:123], v[126:127]
	buffer_store_dword v123, off, s[0:3], 0 offset:44
	buffer_store_dword v122, off, s[0:3], 0 offset:40
.LBB123_630:
	;; [unrolled: 60-line block ×39, first 2 shown]
	s_or_b64 exec, exec, s[6:7]
	buffer_load_dword v122, off, s[0:3], 0 offset:344
	buffer_load_dword v123, off, s[0:3], 0 offset:348
	v_cmp_gt_u32_e32 vcc, 43, v0
	s_waitcnt vmcnt(0)
	ds_write_b64 v124, v[122:123]
	s_waitcnt lgkmcnt(0)
	; wave barrier
	s_waitcnt lgkmcnt(0)
	s_and_saveexec_b64 s[6:7], vcc
	s_cbranch_execz .LBB123_1010
; %bb.1001:
	s_and_b64 vcc, exec, s[4:5]
	s_cbranch_vccnz .LBB123_1003
; %bb.1002:
	buffer_load_dword v122, v125, s[0:3], 0 offen
	buffer_load_dword v123, v125, s[0:3], 0 offen offset:4
	ds_read_b64 v[126:127], v124
	s_waitcnt vmcnt(0) lgkmcnt(0)
	v_mul_f64 v[122:123], v[122:123], v[126:127]
	s_cbranch_execz .LBB123_1004
	s_branch .LBB123_1005
.LBB123_1003:
                                        ; implicit-def: $vgpr122_vgpr123
.LBB123_1004:
	ds_read_b64 v[122:123], v124
.LBB123_1005:
	v_cmp_ne_u32_e32 vcc, 42, v0
	s_and_saveexec_b64 s[8:9], vcc
	s_cbranch_execz .LBB123_1009
; %bb.1006:
	v_mov_b32_e32 v127, 0
	v_add_u32_e32 v126, 0x1e8, v1
	v_add3_u32 v127, v1, v127, 8
	s_mov_b64 s[10:11], 0
	v_mov_b32_e32 v128, v0
.LBB123_1007:                           ; =>This Inner Loop Header: Depth=1
	buffer_load_dword v130, v127, s[0:3], 0 offen
	buffer_load_dword v131, v127, s[0:3], 0 offen offset:4
	ds_read_b64 v[132:133], v126
	v_add_u32_e32 v128, 1, v128
	v_cmp_lt_u32_e32 vcc, 41, v128
	v_add_u32_e32 v126, 8, v126
	v_add_u32_e32 v127, 8, v127
	s_or_b64 s[10:11], vcc, s[10:11]
	s_waitcnt vmcnt(0) lgkmcnt(0)
	v_fmac_f64_e32 v[122:123], v[130:131], v[132:133]
	s_andn2_b64 exec, exec, s[10:11]
	s_cbranch_execnz .LBB123_1007
; %bb.1008:
	s_or_b64 exec, exec, s[10:11]
.LBB123_1009:
	s_or_b64 exec, exec, s[8:9]
	v_mov_b32_e32 v126, 0
	ds_read_b64 v[126:127], v126 offset:344
	s_waitcnt lgkmcnt(0)
	v_mul_f64 v[122:123], v[122:123], v[126:127]
	buffer_store_dword v123, off, s[0:3], 0 offset:348
	buffer_store_dword v122, off, s[0:3], 0 offset:344
.LBB123_1010:
	s_or_b64 exec, exec, s[6:7]
	buffer_load_dword v122, off, s[0:3], 0 offset:352
	buffer_load_dword v123, off, s[0:3], 0 offset:356
	v_cmp_gt_u32_e32 vcc, 44, v0
	s_waitcnt vmcnt(0)
	ds_write_b64 v124, v[122:123]
	s_waitcnt lgkmcnt(0)
	; wave barrier
	s_waitcnt lgkmcnt(0)
	s_and_saveexec_b64 s[6:7], vcc
	s_cbranch_execz .LBB123_1020
; %bb.1011:
	s_and_b64 vcc, exec, s[4:5]
	s_cbranch_vccnz .LBB123_1013
; %bb.1012:
	buffer_load_dword v122, v125, s[0:3], 0 offen
	buffer_load_dword v123, v125, s[0:3], 0 offen offset:4
	ds_read_b64 v[126:127], v124
	s_waitcnt vmcnt(0) lgkmcnt(0)
	v_mul_f64 v[122:123], v[122:123], v[126:127]
	s_cbranch_execz .LBB123_1014
	s_branch .LBB123_1015
.LBB123_1013:
                                        ; implicit-def: $vgpr122_vgpr123
.LBB123_1014:
	ds_read_b64 v[122:123], v124
.LBB123_1015:
	v_cmp_ne_u32_e32 vcc, 43, v0
	s_and_saveexec_b64 s[8:9], vcc
	s_cbranch_execz .LBB123_1019
; %bb.1016:
	v_mov_b32_e32 v127, 0
	v_add_u32_e32 v126, 0x1e8, v1
	v_add3_u32 v127, v1, v127, 8
	s_mov_b64 s[10:11], 0
	v_mov_b32_e32 v128, v0
.LBB123_1017:                           ; =>This Inner Loop Header: Depth=1
	buffer_load_dword v130, v127, s[0:3], 0 offen
	buffer_load_dword v131, v127, s[0:3], 0 offen offset:4
	ds_read_b64 v[132:133], v126
	v_add_u32_e32 v128, 1, v128
	v_cmp_lt_u32_e32 vcc, 42, v128
	v_add_u32_e32 v126, 8, v126
	v_add_u32_e32 v127, 8, v127
	s_or_b64 s[10:11], vcc, s[10:11]
	s_waitcnt vmcnt(0) lgkmcnt(0)
	v_fmac_f64_e32 v[122:123], v[130:131], v[132:133]
	s_andn2_b64 exec, exec, s[10:11]
	s_cbranch_execnz .LBB123_1017
; %bb.1018:
	s_or_b64 exec, exec, s[10:11]
.LBB123_1019:
	s_or_b64 exec, exec, s[8:9]
	v_mov_b32_e32 v126, 0
	ds_read_b64 v[126:127], v126 offset:352
	s_waitcnt lgkmcnt(0)
	v_mul_f64 v[122:123], v[122:123], v[126:127]
	buffer_store_dword v123, off, s[0:3], 0 offset:356
	buffer_store_dword v122, off, s[0:3], 0 offset:352
.LBB123_1020:
	;; [unrolled: 60-line block ×15, first 2 shown]
	s_or_b64 exec, exec, s[6:7]
	buffer_load_dword v122, off, s[0:3], 0 offset:464
	buffer_load_dword v123, off, s[0:3], 0 offset:468
	v_cmp_gt_u32_e64 s[6:7], 58, v0
	s_waitcnt vmcnt(0)
	ds_write_b64 v124, v[122:123]
	s_waitcnt lgkmcnt(0)
	; wave barrier
	s_waitcnt lgkmcnt(0)
	s_and_saveexec_b64 s[8:9], s[6:7]
	s_cbranch_execz .LBB123_1160
; %bb.1151:
	s_and_b64 vcc, exec, s[4:5]
	s_cbranch_vccnz .LBB123_1153
; %bb.1152:
	buffer_load_dword v122, v125, s[0:3], 0 offen
	buffer_load_dword v123, v125, s[0:3], 0 offen offset:4
	ds_read_b64 v[126:127], v124
	s_waitcnt vmcnt(0) lgkmcnt(0)
	v_mul_f64 v[122:123], v[122:123], v[126:127]
	s_cbranch_execz .LBB123_1154
	s_branch .LBB123_1155
.LBB123_1153:
                                        ; implicit-def: $vgpr122_vgpr123
.LBB123_1154:
	ds_read_b64 v[122:123], v124
.LBB123_1155:
	v_cmp_ne_u32_e32 vcc, 57, v0
	s_and_saveexec_b64 s[10:11], vcc
	s_cbranch_execz .LBB123_1159
; %bb.1156:
	v_mov_b32_e32 v127, 0
	v_add_u32_e32 v126, 0x1e8, v1
	v_add3_u32 v127, v1, v127, 8
	s_mov_b64 s[12:13], 0
	v_mov_b32_e32 v128, v0
.LBB123_1157:                           ; =>This Inner Loop Header: Depth=1
	buffer_load_dword v130, v127, s[0:3], 0 offen
	buffer_load_dword v131, v127, s[0:3], 0 offen offset:4
	ds_read_b64 v[132:133], v126
	v_add_u32_e32 v128, 1, v128
	v_cmp_lt_u32_e32 vcc, 56, v128
	v_add_u32_e32 v126, 8, v126
	v_add_u32_e32 v127, 8, v127
	s_or_b64 s[12:13], vcc, s[12:13]
	s_waitcnt vmcnt(0) lgkmcnt(0)
	v_fmac_f64_e32 v[122:123], v[130:131], v[132:133]
	s_andn2_b64 exec, exec, s[12:13]
	s_cbranch_execnz .LBB123_1157
; %bb.1158:
	s_or_b64 exec, exec, s[12:13]
.LBB123_1159:
	s_or_b64 exec, exec, s[10:11]
	v_mov_b32_e32 v126, 0
	ds_read_b64 v[126:127], v126 offset:464
	s_waitcnt lgkmcnt(0)
	v_mul_f64 v[122:123], v[122:123], v[126:127]
	buffer_store_dword v123, off, s[0:3], 0 offset:468
	buffer_store_dword v122, off, s[0:3], 0 offset:464
.LBB123_1160:
	s_or_b64 exec, exec, s[8:9]
	buffer_load_dword v122, off, s[0:3], 0 offset:472
	buffer_load_dword v123, off, s[0:3], 0 offset:476
	v_cmp_ne_u32_e32 vcc, 59, v0
	s_waitcnt vmcnt(0)
	ds_write_b64 v124, v[122:123]
	s_waitcnt lgkmcnt(0)
	; wave barrier
	s_waitcnt lgkmcnt(0)
	s_and_saveexec_b64 s[8:9], vcc
	s_cbranch_execz .LBB123_1170
; %bb.1161:
	s_and_b64 vcc, exec, s[4:5]
	s_cbranch_vccnz .LBB123_1163
; %bb.1162:
	buffer_load_dword v122, v125, s[0:3], 0 offen
	buffer_load_dword v123, v125, s[0:3], 0 offen offset:4
	ds_read_b64 v[126:127], v124
	s_waitcnt vmcnt(0) lgkmcnt(0)
	v_mul_f64 v[122:123], v[122:123], v[126:127]
	s_cbranch_execz .LBB123_1164
	s_branch .LBB123_1165
.LBB123_1163:
                                        ; implicit-def: $vgpr122_vgpr123
.LBB123_1164:
	ds_read_b64 v[122:123], v124
.LBB123_1165:
	s_and_saveexec_b64 s[4:5], s[6:7]
	s_cbranch_execz .LBB123_1169
; %bb.1166:
	v_mov_b32_e32 v125, 0
	v_add_u32_e32 v124, 0x1e8, v1
	v_add3_u32 v1, v1, v125, 8
	s_mov_b64 s[6:7], 0
.LBB123_1167:                           ; =>This Inner Loop Header: Depth=1
	buffer_load_dword v126, v1, s[0:3], 0 offen
	buffer_load_dword v127, v1, s[0:3], 0 offen offset:4
	ds_read_b64 v[128:129], v124
	v_add_u32_e32 v0, 1, v0
	v_cmp_lt_u32_e32 vcc, 57, v0
	v_add_u32_e32 v124, 8, v124
	v_add_u32_e32 v1, 8, v1
	s_or_b64 s[6:7], vcc, s[6:7]
	s_waitcnt vmcnt(0) lgkmcnt(0)
	v_fmac_f64_e32 v[122:123], v[126:127], v[128:129]
	s_andn2_b64 exec, exec, s[6:7]
	s_cbranch_execnz .LBB123_1167
; %bb.1168:
	s_or_b64 exec, exec, s[6:7]
.LBB123_1169:
	s_or_b64 exec, exec, s[4:5]
	v_mov_b32_e32 v0, 0
	ds_read_b64 v[0:1], v0 offset:472
	s_waitcnt lgkmcnt(0)
	v_mul_f64 v[0:1], v[122:123], v[0:1]
	buffer_store_dword v1, off, s[0:3], 0 offset:476
	buffer_store_dword v0, off, s[0:3], 0 offset:472
.LBB123_1170:
	s_or_b64 exec, exec, s[8:9]
.LBB123_1171:
	buffer_load_dword v0, off, s[0:3], 0
	buffer_load_dword v1, off, s[0:3], 0 offset:4
	buffer_load_dword v122, off, s[0:3], 0 offset:8
	;; [unrolled: 1-line block ×119, first 2 shown]
	s_waitcnt vmcnt(62)
	global_store_dwordx2 v[2:3], v[0:1], off
	global_store_dwordx2 v[4:5], v[122:123], off
	;; [unrolled: 1-line block ×29, first 2 shown]
	s_waitcnt vmcnt(62)
	global_store_dwordx2 v[66:67], v[178:179], off
	global_store_dwordx2 v[68:69], v[180:181], off
	;; [unrolled: 1-line block ×14, first 2 shown]
	s_waitcnt vmcnt(62)
	global_store_dwordx2 v[94:95], v[206:207], off
	global_store_dwordx2 v[96:97], v[208:209], off
	;; [unrolled: 1-line block ×7, first 2 shown]
	s_waitcnt vmcnt(62)
	global_store_dwordx2 v[108:109], v[220:221], off
	global_store_dwordx2 v[110:111], v[222:223], off
	;; [unrolled: 1-line block ×4, first 2 shown]
	s_waitcnt vmcnt(62)
	global_store_dwordx2 v[116:117], v[228:229], off
	global_store_dwordx2 v[118:119], v[230:231], off
	s_waitcnt vmcnt(62)
	global_store_dwordx2 v[120:121], v[232:233], off
	s_waitcnt vmcnt(61)
	;; [unrolled: 2-line block ×4, first 2 shown]
	global_store_dwordx2 v[40:41], v[238:239], off
.LBB123_1172:
	s_endpgm
	.section	.rodata,"a",@progbits
	.p2align	6, 0x0
	.amdhsa_kernel _ZN9rocsolver6v33100L18trti2_kernel_smallILi60EdPKPdEEv13rocblas_fill_17rocblas_diagonal_T1_iil
		.amdhsa_group_segment_fixed_size 960
		.amdhsa_private_segment_fixed_size 496
		.amdhsa_kernarg_size 32
		.amdhsa_user_sgpr_count 8
		.amdhsa_user_sgpr_private_segment_buffer 1
		.amdhsa_user_sgpr_dispatch_ptr 0
		.amdhsa_user_sgpr_queue_ptr 0
		.amdhsa_user_sgpr_kernarg_segment_ptr 1
		.amdhsa_user_sgpr_dispatch_id 0
		.amdhsa_user_sgpr_flat_scratch_init 1
		.amdhsa_user_sgpr_kernarg_preload_length 0
		.amdhsa_user_sgpr_kernarg_preload_offset 0
		.amdhsa_user_sgpr_private_segment_size 0
		.amdhsa_uses_dynamic_stack 0
		.amdhsa_system_sgpr_private_segment_wavefront_offset 1
		.amdhsa_system_sgpr_workgroup_id_x 1
		.amdhsa_system_sgpr_workgroup_id_y 0
		.amdhsa_system_sgpr_workgroup_id_z 0
		.amdhsa_system_sgpr_workgroup_info 0
		.amdhsa_system_vgpr_workitem_id 0
		.amdhsa_next_free_vgpr 240
		.amdhsa_next_free_sgpr 16
		.amdhsa_accum_offset 240
		.amdhsa_reserve_vcc 1
		.amdhsa_reserve_flat_scratch 0
		.amdhsa_float_round_mode_32 0
		.amdhsa_float_round_mode_16_64 0
		.amdhsa_float_denorm_mode_32 3
		.amdhsa_float_denorm_mode_16_64 3
		.amdhsa_dx10_clamp 1
		.amdhsa_ieee_mode 1
		.amdhsa_fp16_overflow 0
		.amdhsa_tg_split 0
		.amdhsa_exception_fp_ieee_invalid_op 0
		.amdhsa_exception_fp_denorm_src 0
		.amdhsa_exception_fp_ieee_div_zero 0
		.amdhsa_exception_fp_ieee_overflow 0
		.amdhsa_exception_fp_ieee_underflow 0
		.amdhsa_exception_fp_ieee_inexact 0
		.amdhsa_exception_int_div_zero 0
	.end_amdhsa_kernel
	.section	.text._ZN9rocsolver6v33100L18trti2_kernel_smallILi60EdPKPdEEv13rocblas_fill_17rocblas_diagonal_T1_iil,"axG",@progbits,_ZN9rocsolver6v33100L18trti2_kernel_smallILi60EdPKPdEEv13rocblas_fill_17rocblas_diagonal_T1_iil,comdat
.Lfunc_end123:
	.size	_ZN9rocsolver6v33100L18trti2_kernel_smallILi60EdPKPdEEv13rocblas_fill_17rocblas_diagonal_T1_iil, .Lfunc_end123-_ZN9rocsolver6v33100L18trti2_kernel_smallILi60EdPKPdEEv13rocblas_fill_17rocblas_diagonal_T1_iil
                                        ; -- End function
	.section	.AMDGPU.csdata,"",@progbits
; Kernel info:
; codeLenInByte = 35148
; NumSgprs: 20
; NumVgprs: 240
; NumAgprs: 0
; TotalNumVgprs: 240
; ScratchSize: 496
; MemoryBound: 0
; FloatMode: 240
; IeeeMode: 1
; LDSByteSize: 960 bytes/workgroup (compile time only)
; SGPRBlocks: 2
; VGPRBlocks: 29
; NumSGPRsForWavesPerEU: 20
; NumVGPRsForWavesPerEU: 240
; AccumOffset: 240
; Occupancy: 2
; WaveLimiterHint : 1
; COMPUTE_PGM_RSRC2:SCRATCH_EN: 1
; COMPUTE_PGM_RSRC2:USER_SGPR: 8
; COMPUTE_PGM_RSRC2:TRAP_HANDLER: 0
; COMPUTE_PGM_RSRC2:TGID_X_EN: 1
; COMPUTE_PGM_RSRC2:TGID_Y_EN: 0
; COMPUTE_PGM_RSRC2:TGID_Z_EN: 0
; COMPUTE_PGM_RSRC2:TIDIG_COMP_CNT: 0
; COMPUTE_PGM_RSRC3_GFX90A:ACCUM_OFFSET: 59
; COMPUTE_PGM_RSRC3_GFX90A:TG_SPLIT: 0
	.section	.text._ZN9rocsolver6v33100L18trti2_kernel_smallILi61EdPKPdEEv13rocblas_fill_17rocblas_diagonal_T1_iil,"axG",@progbits,_ZN9rocsolver6v33100L18trti2_kernel_smallILi61EdPKPdEEv13rocblas_fill_17rocblas_diagonal_T1_iil,comdat
	.globl	_ZN9rocsolver6v33100L18trti2_kernel_smallILi61EdPKPdEEv13rocblas_fill_17rocblas_diagonal_T1_iil ; -- Begin function _ZN9rocsolver6v33100L18trti2_kernel_smallILi61EdPKPdEEv13rocblas_fill_17rocblas_diagonal_T1_iil
	.p2align	8
	.type	_ZN9rocsolver6v33100L18trti2_kernel_smallILi61EdPKPdEEv13rocblas_fill_17rocblas_diagonal_T1_iil,@function
_ZN9rocsolver6v33100L18trti2_kernel_smallILi61EdPKPdEEv13rocblas_fill_17rocblas_diagonal_T1_iil: ; @_ZN9rocsolver6v33100L18trti2_kernel_smallILi61EdPKPdEEv13rocblas_fill_17rocblas_diagonal_T1_iil
; %bb.0:
	s_add_u32 s0, s0, s9
	s_addc_u32 s1, s1, 0
	v_cmp_gt_u32_e32 vcc, 61, v0
	s_and_saveexec_b64 s[6:7], vcc
	s_cbranch_execz .LBB124_1192
; %bb.1:
	s_load_dwordx2 s[6:7], s[4:5], 0x10
	s_load_dwordx4 s[12:15], s[4:5], 0x0
	s_ashr_i32 s9, s8, 31
	s_lshl_b64 s[4:5], s[8:9], 3
	v_lshlrev_b32_e32 v1, 3, v0
	s_waitcnt lgkmcnt(0)
	s_ashr_i32 s9, s6, 31
	s_add_u32 s4, s14, s4
	s_addc_u32 s5, s15, s5
	s_load_dwordx2 s[4:5], s[4:5], 0x0
	s_mov_b32 s8, s6
	s_lshl_b64 s[8:9], s[8:9], 3
	v_mov_b32_e32 v204, 0
	s_waitcnt lgkmcnt(0)
	s_add_u32 s4, s4, s8
	s_addc_u32 s5, s5, s9
	v_mov_b32_e32 v3, s5
	v_add_co_u32_e32 v2, vcc, s4, v1
	s_ashr_i32 s9, s7, 31
	s_mov_b32 s8, s7
	s_add_i32 s6, s7, s7
	v_addc_co_u32_e32 v3, vcc, 0, v3, vcc
	s_lshl_b64 s[8:9], s[8:9], 3
	v_add_u32_e32 v8, s6, v0
	v_mov_b32_e32 v5, s9
	v_add_co_u32_e32 v4, vcc, s8, v2
	v_ashrrev_i32_e32 v9, 31, v8
	v_addc_co_u32_e32 v5, vcc, v3, v5, vcc
	v_lshlrev_b64 v[6:7], 3, v[8:9]
	v_add_u32_e32 v10, s7, v8
	v_mov_b32_e32 v9, s5
	v_add_co_u32_e32 v6, vcc, s4, v6
	v_ashrrev_i32_e32 v11, 31, v10
	v_addc_co_u32_e32 v7, vcc, v9, v7, vcc
	v_lshlrev_b64 v[8:9], 3, v[10:11]
	;; [unrolled: 6-line block ×18, first 2 shown]
	v_mov_b32_e32 v43, s5
	v_add_co_u32_e32 v40, vcc, s4, v40
	global_load_dwordx2 v[44:45], v1, s[4:5]
	global_load_dwordx2 v[52:53], v[4:5], off
	global_load_dwordx2 v[50:51], v[6:7], off
	;; [unrolled: 1-line block ×16, first 2 shown]
	v_addc_co_u32_e32 v41, vcc, v43, v41, vcc
	global_load_dwordx2 v[78:79], v[36:37], off
	global_load_dwordx2 v[80:81], v[38:39], off
	global_load_dwordx2 v[82:83], v[40:41], off
	v_add_u32_e32 v84, s7, v42
	v_ashrrev_i32_e32 v85, 31, v84
	v_lshlrev_b64 v[42:43], 3, v[84:85]
	v_mov_b32_e32 v85, s5
	v_add_co_u32_e32 v42, vcc, s4, v42
	v_addc_co_u32_e32 v43, vcc, v85, v43, vcc
	global_load_dwordx2 v[124:125], v[42:43], off
	s_waitcnt vmcnt(20)
	buffer_store_dword v45, off, s[0:3], 0 offset:4
	buffer_store_dword v44, off, s[0:3], 0
	s_waitcnt vmcnt(21)
	buffer_store_dword v53, off, s[0:3], 0 offset:12
	buffer_store_dword v52, off, s[0:3], 0 offset:8
	s_waitcnt vmcnt(22)
	buffer_store_dword v51, off, s[0:3], 0 offset:20
	buffer_store_dword v50, off, s[0:3], 0 offset:16
	;; [unrolled: 3-line block ×19, first 2 shown]
	s_waitcnt vmcnt(40)
	buffer_store_dword v125, off, s[0:3], 0 offset:164
	v_add_u32_e32 v46, s7, v84
	v_ashrrev_i32_e32 v47, 31, v46
	v_lshlrev_b64 v[44:45], 3, v[46:47]
	v_add_u32_e32 v48, s7, v46
	v_mov_b32_e32 v47, s5
	v_add_co_u32_e32 v44, vcc, s4, v44
	v_ashrrev_i32_e32 v49, 31, v48
	v_addc_co_u32_e32 v45, vcc, v47, v45, vcc
	v_lshlrev_b64 v[46:47], 3, v[48:49]
	v_add_u32_e32 v50, s7, v48
	v_mov_b32_e32 v49, s5
	v_add_co_u32_e32 v46, vcc, s4, v46
	v_ashrrev_i32_e32 v51, 31, v50
	v_addc_co_u32_e32 v47, vcc, v49, v47, vcc
	;; [unrolled: 6-line block ×38, first 2 shown]
	v_lshlrev_b64 v[120:121], 3, v[122:123]
	v_mov_b32_e32 v123, s5
	v_add_co_u32_e32 v120, vcc, s4, v120
	global_load_dwordx2 v[132:133], v[44:45], off
	global_load_dwordx2 v[130:131], v[46:47], off
	;; [unrolled: 1-line block ×36, first 2 shown]
	v_addc_co_u32_e32 v121, vcc, v123, v121, vcc
	global_load_dwordx2 v[202:203], v[116:117], off
	global_load_dwordx2 v[200:201], v[118:119], off
	;; [unrolled: 1-line block ×3, first 2 shown]
	v_add_u32_e32 v122, s7, v122
	v_ashrrev_i32_e32 v123, 31, v122
	v_lshlrev_b64 v[122:123], 3, v[122:123]
	v_mov_b32_e32 v125, s5
	v_add_co_u32_e32 v122, vcc, s4, v122
	v_addc_co_u32_e32 v123, vcc, v125, v123, vcc
	global_load_dwordx2 v[206:207], v[122:123], off
	s_nop 0
	buffer_store_dword v124, off, s[0:3], 0 offset:160
	s_waitcnt vmcnt(40)
	buffer_store_dword v132, off, s[0:3], 0 offset:168
	buffer_store_dword v133, off, s[0:3], 0 offset:172
	s_waitcnt vmcnt(41)
	buffer_store_dword v130, off, s[0:3], 0 offset:176
	;; [unrolled: 3-line block ×24, first 2 shown]
	buffer_store_dword v166, off, s[0:3], 0 offset:352
	buffer_store_dword v180, off, s[0:3], 0 offset:360
	buffer_store_dword v181, off, s[0:3], 0 offset:364
	s_waitcnt vmcnt(62)
	buffer_store_dword v178, off, s[0:3], 0 offset:368
	buffer_store_dword v179, off, s[0:3], 0 offset:372
	;; [unrolled: 1-line block ×8, first 2 shown]
	s_waitcnt vmcnt(62)
	buffer_store_dword v187, off, s[0:3], 0 offset:404
	buffer_store_dword v186, off, s[0:3], 0 offset:400
	;; [unrolled: 1-line block ×16, first 2 shown]
	s_waitcnt vmcnt(62)
	buffer_store_dword v200, off, s[0:3], 0 offset:464
	buffer_store_dword v201, off, s[0:3], 0 offset:468
	;; [unrolled: 1-line block ×6, first 2 shown]
	s_cmpk_lg_i32 s13, 0x84
	v_mov_b32_e32 v124, 0
	s_cselect_b64 s[8:9], -1, 0
	s_cmpk_eq_i32 s13, 0x84
	v_mov_b32_e32 v125, 0xbff00000
	s_cbranch_scc1 .LBB124_3
; %bb.2:
	v_lshl_add_u32 v134, v0, 3, v204
	buffer_load_dword v124, v134, s[0:3], 0 offen
	buffer_load_dword v125, v134, s[0:3], 0 offen offset:4
	s_waitcnt vmcnt(0)
	v_div_scale_f64 v[126:127], s[4:5], v[124:125], v[124:125], 1.0
	v_rcp_f64_e32 v[128:129], v[126:127]
	v_div_scale_f64 v[130:131], vcc, 1.0, v[124:125], 1.0
	v_fma_f64 v[132:133], -v[126:127], v[128:129], 1.0
	v_fmac_f64_e32 v[128:129], v[128:129], v[132:133]
	v_fma_f64 v[132:133], -v[126:127], v[128:129], 1.0
	v_fmac_f64_e32 v[128:129], v[128:129], v[132:133]
	v_mul_f64 v[132:133], v[130:131], v[128:129]
	v_fma_f64 v[126:127], -v[126:127], v[132:133], v[130:131]
	v_div_fmas_f64 v[126:127], v[126:127], v[128:129], v[132:133]
	v_div_fixup_f64 v[124:125], v[126:127], v[124:125], 1.0
	buffer_store_dword v124, v134, s[0:3], 0 offen
	buffer_store_dword v125, v134, s[0:3], 0 offen offset:4
	v_xor_b32_e32 v125, 0x80000000, v125
.LBB124_3:
	s_cmpk_eq_i32 s12, 0x79
	v_add_u32_e32 v126, 0x1f0, v1
	v_add_u32_e32 v127, 0, v1
	s_mov_b64 s[4:5], -1
	ds_write_b64 v1, v[124:125]
	s_cbranch_scc1 .LBB124_597
; %bb.4:
	buffer_load_dword v124, off, s[0:3], 0 offset:472
	buffer_load_dword v125, off, s[0:3], 0 offset:476
	v_cmp_eq_u32_e64 s[4:5], 60, v0
	s_waitcnt vmcnt(0)
	ds_write_b64 v126, v[124:125]
	s_waitcnt lgkmcnt(0)
	; wave barrier
	s_waitcnt lgkmcnt(0)
	s_and_saveexec_b64 s[6:7], s[4:5]
	s_cbranch_execz .LBB124_10
; %bb.5:
	s_and_b64 vcc, exec, s[8:9]
	s_cbranch_vccz .LBB124_7
; %bb.6:
	buffer_load_dword v124, v127, s[0:3], 0 offen
	buffer_load_dword v125, v127, s[0:3], 0 offen offset:4
	ds_read_b64 v[128:129], v126
	s_waitcnt vmcnt(0) lgkmcnt(0)
	v_mul_f64 v[124:125], v[124:125], v[128:129]
	s_cbranch_execz .LBB124_8
	s_branch .LBB124_9
.LBB124_7:
                                        ; implicit-def: $vgpr124_vgpr125
.LBB124_8:
	ds_read_b64 v[124:125], v126
.LBB124_9:
	v_mov_b32_e32 v128, 0
	ds_read_b64 v[128:129], v128 offset:472
	s_waitcnt lgkmcnt(0)
	v_mul_f64 v[124:125], v[124:125], v[128:129]
	buffer_store_dword v125, off, s[0:3], 0 offset:476
	buffer_store_dword v124, off, s[0:3], 0 offset:472
.LBB124_10:
	s_or_b64 exec, exec, s[6:7]
	buffer_load_dword v124, off, s[0:3], 0 offset:464
	buffer_load_dword v125, off, s[0:3], 0 offset:468
	v_or_b32_e32 v128, 8, v204
	v_add_u32_e32 v129, 16, v204
	v_add_u32_e32 v130, 24, v204
	v_add_u32_e32 v131, 32, v204
	v_add_u32_e32 v132, 40, v204
	v_add_u32_e32 v133, 48, v204
	v_add_u32_e32 v134, 56, v204
	v_add_u32_e32 v135, 64, v204
	v_add_u32_e32 v136, 0x48, v204
	v_add_u32_e32 v137, 0x50, v204
	v_add_u32_e32 v138, 0x58, v204
	v_add_u32_e32 v139, 0x60, v204
	v_add_u32_e32 v140, 0x68, v204
	v_add_u32_e32 v141, 0x70, v204
	v_add_u32_e32 v142, 0x78, v204
	v_add_u32_e32 v143, 0x80, v204
	v_add_u32_e32 v144, 0x88, v204
	v_add_u32_e32 v145, 0x90, v204
	v_add_u32_e32 v146, 0x98, v204
	v_add_u32_e32 v147, 0xa0, v204
	v_add_u32_e32 v148, 0xa8, v204
	v_add_u32_e32 v149, 0xb0, v204
	v_add_u32_e32 v150, 0xb8, v204
	v_add_u32_e32 v151, 0xc0, v204
	v_add_u32_e32 v152, 0xc8, v204
	v_add_u32_e32 v153, 0xd0, v204
	v_add_u32_e32 v154, 0xd8, v204
	v_add_u32_e32 v155, 0xe0, v204
	v_add_u32_e32 v156, 0xe8, v204
	v_add_u32_e32 v157, 0xf0, v204
	v_add_u32_e32 v158, 0xf8, v204
	v_add_u32_e32 v159, 0x100, v204
	v_add_u32_e32 v160, 0x108, v204
	v_add_u32_e32 v161, 0x110, v204
	v_add_u32_e32 v162, 0x118, v204
	v_add_u32_e32 v163, 0x120, v204
	v_add_u32_e32 v164, 0x128, v204
	v_add_u32_e32 v165, 0x130, v204
	v_add_u32_e32 v166, 0x138, v204
	v_add_u32_e32 v167, 0x140, v204
	v_add_u32_e32 v168, 0x148, v204
	v_add_u32_e32 v169, 0x150, v204
	v_add_u32_e32 v170, 0x158, v204
	v_add_u32_e32 v171, 0x160, v204
	v_add_u32_e32 v172, 0x168, v204
	v_add_u32_e32 v173, 0x170, v204
	v_add_u32_e32 v174, 0x178, v204
	v_add_u32_e32 v175, 0x180, v204
	v_add_u32_e32 v176, 0x188, v204
	v_add_u32_e32 v177, 0x190, v204
	v_add_u32_e32 v178, 0x198, v204
	v_add_u32_e32 v179, 0x1a0, v204
	v_add_u32_e32 v180, 0x1a8, v204
	v_add_u32_e32 v181, 0x1b0, v204
	v_add_u32_e32 v182, 0x1b8, v204
	v_add_u32_e32 v183, 0x1c0, v204
	v_add_u32_e32 v184, 0x1c8, v204
	v_add_u32_e32 v185, 0x1d0, v204
	v_cmp_lt_u32_e64 s[6:7], 58, v0
	s_waitcnt vmcnt(0)
	ds_write_b64 v126, v[124:125]
	s_waitcnt lgkmcnt(0)
	; wave barrier
	s_waitcnt lgkmcnt(0)
	s_and_saveexec_b64 s[10:11], s[6:7]
	s_cbranch_execz .LBB124_16
; %bb.11:
	s_andn2_b64 vcc, exec, s[8:9]
	s_cbranch_vccnz .LBB124_13
; %bb.12:
	buffer_load_dword v124, v127, s[0:3], 0 offen
	buffer_load_dword v125, v127, s[0:3], 0 offen offset:4
	ds_read_b64 v[186:187], v126
	s_waitcnt vmcnt(0) lgkmcnt(0)
	v_mul_f64 v[124:125], v[124:125], v[186:187]
	s_cbranch_execz .LBB124_14
	s_branch .LBB124_15
.LBB124_13:
                                        ; implicit-def: $vgpr124_vgpr125
.LBB124_14:
	ds_read_b64 v[124:125], v126
.LBB124_15:
	buffer_load_dword v190, off, s[0:3], 0 offset:472
	buffer_load_dword v191, off, s[0:3], 0 offset:476
	v_mov_b32_e32 v186, 0
	ds_read2_b64 v[186:189], v186 offset0:58 offset1:121
	s_waitcnt vmcnt(0) lgkmcnt(0)
	v_fma_f64 v[188:189], v[190:191], v[188:189], v[124:125]
	v_cndmask_b32_e64 v125, v125, v189, s[4:5]
	v_cndmask_b32_e64 v124, v124, v188, s[4:5]
	v_mul_f64 v[124:125], v[124:125], v[186:187]
	buffer_store_dword v125, off, s[0:3], 0 offset:468
	buffer_store_dword v124, off, s[0:3], 0 offset:464
.LBB124_16:
	s_or_b64 exec, exec, s[10:11]
	buffer_load_dword v124, off, s[0:3], 0 offset:456
	buffer_load_dword v125, off, s[0:3], 0 offset:460
	v_cmp_lt_u32_e64 s[4:5], 57, v0
	s_waitcnt vmcnt(0)
	ds_write_b64 v126, v[124:125]
	s_waitcnt lgkmcnt(0)
	; wave barrier
	s_waitcnt lgkmcnt(0)
	s_and_saveexec_b64 s[10:11], s[4:5]
	s_cbranch_execz .LBB124_26
; %bb.17:
	s_andn2_b64 vcc, exec, s[8:9]
	s_cbranch_vccnz .LBB124_19
; %bb.18:
	buffer_load_dword v124, v127, s[0:3], 0 offen
	buffer_load_dword v125, v127, s[0:3], 0 offen offset:4
	ds_read_b64 v[186:187], v126
	s_waitcnt vmcnt(0) lgkmcnt(0)
	v_mul_f64 v[124:125], v[124:125], v[186:187]
	s_cbranch_execz .LBB124_20
	s_branch .LBB124_21
.LBB124_19:
                                        ; implicit-def: $vgpr124_vgpr125
.LBB124_20:
	ds_read_b64 v[124:125], v126
.LBB124_21:
	s_and_saveexec_b64 s[12:13], s[6:7]
	s_cbranch_execz .LBB124_25
; %bb.22:
	v_subrev_u32_e32 v186, 58, v0
	s_movk_i32 s14, 0x3c0
	s_mov_b64 s[6:7], 0
.LBB124_23:                             ; =>This Inner Loop Header: Depth=1
	buffer_load_dword v188, v185, s[0:3], 0 offen
	buffer_load_dword v189, v185, s[0:3], 0 offen offset:4
	v_mov_b32_e32 v187, s14
	ds_read_b64 v[190:191], v187
	v_add_u32_e32 v186, -1, v186
	s_add_i32 s14, s14, 8
	v_cmp_eq_u32_e32 vcc, 0, v186
	v_add_u32_e32 v185, 8, v185
	s_or_b64 s[6:7], vcc, s[6:7]
	s_waitcnt vmcnt(0) lgkmcnt(0)
	v_fmac_f64_e32 v[124:125], v[188:189], v[190:191]
	s_andn2_b64 exec, exec, s[6:7]
	s_cbranch_execnz .LBB124_23
; %bb.24:
	s_or_b64 exec, exec, s[6:7]
.LBB124_25:
	s_or_b64 exec, exec, s[12:13]
	v_mov_b32_e32 v185, 0
	ds_read_b64 v[186:187], v185 offset:456
	s_waitcnt lgkmcnt(0)
	v_mul_f64 v[124:125], v[124:125], v[186:187]
	buffer_store_dword v125, off, s[0:3], 0 offset:460
	buffer_store_dword v124, off, s[0:3], 0 offset:456
.LBB124_26:
	s_or_b64 exec, exec, s[10:11]
	buffer_load_dword v124, off, s[0:3], 0 offset:448
	buffer_load_dword v125, off, s[0:3], 0 offset:452
	v_cmp_lt_u32_e64 s[6:7], 56, v0
	s_waitcnt vmcnt(0)
	ds_write_b64 v126, v[124:125]
	s_waitcnt lgkmcnt(0)
	; wave barrier
	s_waitcnt lgkmcnt(0)
	s_and_saveexec_b64 s[10:11], s[6:7]
	s_cbranch_execz .LBB124_36
; %bb.27:
	s_andn2_b64 vcc, exec, s[8:9]
	s_cbranch_vccnz .LBB124_29
; %bb.28:
	buffer_load_dword v124, v127, s[0:3], 0 offen
	buffer_load_dword v125, v127, s[0:3], 0 offen offset:4
	ds_read_b64 v[186:187], v126
	s_waitcnt vmcnt(0) lgkmcnt(0)
	v_mul_f64 v[124:125], v[124:125], v[186:187]
	s_cbranch_execz .LBB124_30
	s_branch .LBB124_31
.LBB124_29:
                                        ; implicit-def: $vgpr124_vgpr125
.LBB124_30:
	ds_read_b64 v[124:125], v126
.LBB124_31:
	s_and_saveexec_b64 s[12:13], s[4:5]
	s_cbranch_execz .LBB124_35
; %bb.32:
	v_subrev_u32_e32 v185, 57, v0
	s_movk_i32 s14, 0x3b8
	s_mov_b64 s[4:5], 0
.LBB124_33:                             ; =>This Inner Loop Header: Depth=1
	buffer_load_dword v186, v184, s[0:3], 0 offen
	buffer_load_dword v187, v184, s[0:3], 0 offen offset:4
	v_mov_b32_e32 v188, s14
	ds_read_b64 v[188:189], v188
	v_add_u32_e32 v185, -1, v185
	s_add_i32 s14, s14, 8
	v_cmp_eq_u32_e32 vcc, 0, v185
	v_add_u32_e32 v184, 8, v184
	s_or_b64 s[4:5], vcc, s[4:5]
	s_waitcnt vmcnt(0) lgkmcnt(0)
	v_fmac_f64_e32 v[124:125], v[186:187], v[188:189]
	s_andn2_b64 exec, exec, s[4:5]
	s_cbranch_execnz .LBB124_33
; %bb.34:
	s_or_b64 exec, exec, s[4:5]
.LBB124_35:
	s_or_b64 exec, exec, s[12:13]
	v_mov_b32_e32 v184, 0
	ds_read_b64 v[184:185], v184 offset:448
	s_waitcnt lgkmcnt(0)
	v_mul_f64 v[124:125], v[124:125], v[184:185]
	buffer_store_dword v125, off, s[0:3], 0 offset:452
	buffer_store_dword v124, off, s[0:3], 0 offset:448
.LBB124_36:
	;; [unrolled: 58-line block ×8, first 2 shown]
	s_or_b64 exec, exec, s[10:11]
	buffer_load_dword v124, off, s[0:3], 0 offset:392
	buffer_load_dword v125, off, s[0:3], 0 offset:396
	v_cmp_lt_u32_e64 s[4:5], 49, v0
	s_waitcnt vmcnt(0)
	ds_write_b64 v126, v[124:125]
	s_waitcnt lgkmcnt(0)
	; wave barrier
	s_waitcnt lgkmcnt(0)
	s_and_saveexec_b64 s[10:11], s[4:5]
	s_cbranch_execz .LBB124_106
; %bb.97:
	s_andn2_b64 vcc, exec, s[8:9]
	s_cbranch_vccnz .LBB124_99
; %bb.98:
	buffer_load_dword v124, v127, s[0:3], 0 offen
	buffer_load_dword v125, v127, s[0:3], 0 offen offset:4
	ds_read_b64 v[178:179], v126
	s_waitcnt vmcnt(0) lgkmcnt(0)
	v_mul_f64 v[124:125], v[124:125], v[178:179]
	s_cbranch_execz .LBB124_100
	s_branch .LBB124_101
.LBB124_99:
                                        ; implicit-def: $vgpr124_vgpr125
.LBB124_100:
	ds_read_b64 v[124:125], v126
.LBB124_101:
	s_and_saveexec_b64 s[12:13], s[6:7]
	s_cbranch_execz .LBB124_105
; %bb.102:
	v_subrev_u32_e32 v178, 50, v0
	s_movk_i32 s14, 0x380
	s_mov_b64 s[6:7], 0
.LBB124_103:                            ; =>This Inner Loop Header: Depth=1
	buffer_load_dword v180, v177, s[0:3], 0 offen
	buffer_load_dword v181, v177, s[0:3], 0 offen offset:4
	v_mov_b32_e32 v179, s14
	ds_read_b64 v[182:183], v179
	v_add_u32_e32 v178, -1, v178
	s_add_i32 s14, s14, 8
	v_cmp_eq_u32_e32 vcc, 0, v178
	v_add_u32_e32 v177, 8, v177
	s_or_b64 s[6:7], vcc, s[6:7]
	s_waitcnt vmcnt(0) lgkmcnt(0)
	v_fmac_f64_e32 v[124:125], v[180:181], v[182:183]
	s_andn2_b64 exec, exec, s[6:7]
	s_cbranch_execnz .LBB124_103
; %bb.104:
	s_or_b64 exec, exec, s[6:7]
.LBB124_105:
	s_or_b64 exec, exec, s[12:13]
	v_mov_b32_e32 v177, 0
	ds_read_b64 v[178:179], v177 offset:392
	s_waitcnt lgkmcnt(0)
	v_mul_f64 v[124:125], v[124:125], v[178:179]
	buffer_store_dword v125, off, s[0:3], 0 offset:396
	buffer_store_dword v124, off, s[0:3], 0 offset:392
.LBB124_106:
	s_or_b64 exec, exec, s[10:11]
	buffer_load_dword v124, off, s[0:3], 0 offset:384
	buffer_load_dword v125, off, s[0:3], 0 offset:388
	v_cmp_lt_u32_e64 s[6:7], 48, v0
	s_waitcnt vmcnt(0)
	ds_write_b64 v126, v[124:125]
	s_waitcnt lgkmcnt(0)
	; wave barrier
	s_waitcnt lgkmcnt(0)
	s_and_saveexec_b64 s[10:11], s[6:7]
	s_cbranch_execz .LBB124_116
; %bb.107:
	s_andn2_b64 vcc, exec, s[8:9]
	s_cbranch_vccnz .LBB124_109
; %bb.108:
	buffer_load_dword v124, v127, s[0:3], 0 offen
	buffer_load_dword v125, v127, s[0:3], 0 offen offset:4
	ds_read_b64 v[178:179], v126
	s_waitcnt vmcnt(0) lgkmcnt(0)
	v_mul_f64 v[124:125], v[124:125], v[178:179]
	s_cbranch_execz .LBB124_110
	s_branch .LBB124_111
.LBB124_109:
                                        ; implicit-def: $vgpr124_vgpr125
.LBB124_110:
	ds_read_b64 v[124:125], v126
.LBB124_111:
	s_and_saveexec_b64 s[12:13], s[4:5]
	s_cbranch_execz .LBB124_115
; %bb.112:
	v_subrev_u32_e32 v177, 49, v0
	s_movk_i32 s14, 0x378
	s_mov_b64 s[4:5], 0
.LBB124_113:                            ; =>This Inner Loop Header: Depth=1
	buffer_load_dword v178, v176, s[0:3], 0 offen
	buffer_load_dword v179, v176, s[0:3], 0 offen offset:4
	v_mov_b32_e32 v180, s14
	ds_read_b64 v[180:181], v180
	v_add_u32_e32 v177, -1, v177
	s_add_i32 s14, s14, 8
	v_cmp_eq_u32_e32 vcc, 0, v177
	v_add_u32_e32 v176, 8, v176
	s_or_b64 s[4:5], vcc, s[4:5]
	s_waitcnt vmcnt(0) lgkmcnt(0)
	v_fmac_f64_e32 v[124:125], v[178:179], v[180:181]
	s_andn2_b64 exec, exec, s[4:5]
	s_cbranch_execnz .LBB124_113
; %bb.114:
	s_or_b64 exec, exec, s[4:5]
.LBB124_115:
	s_or_b64 exec, exec, s[12:13]
	v_mov_b32_e32 v176, 0
	ds_read_b64 v[176:177], v176 offset:384
	s_waitcnt lgkmcnt(0)
	v_mul_f64 v[124:125], v[124:125], v[176:177]
	buffer_store_dword v125, off, s[0:3], 0 offset:388
	buffer_store_dword v124, off, s[0:3], 0 offset:384
.LBB124_116:
	s_or_b64 exec, exec, s[10:11]
	buffer_load_dword v124, off, s[0:3], 0 offset:376
	buffer_load_dword v125, off, s[0:3], 0 offset:380
	v_cmp_lt_u32_e64 s[4:5], 47, v0
	s_waitcnt vmcnt(0)
	ds_write_b64 v126, v[124:125]
	s_waitcnt lgkmcnt(0)
	; wave barrier
	s_waitcnt lgkmcnt(0)
	s_and_saveexec_b64 s[10:11], s[4:5]
	s_cbranch_execz .LBB124_126
; %bb.117:
	s_andn2_b64 vcc, exec, s[8:9]
	s_cbranch_vccnz .LBB124_119
; %bb.118:
	buffer_load_dword v124, v127, s[0:3], 0 offen
	buffer_load_dword v125, v127, s[0:3], 0 offen offset:4
	ds_read_b64 v[176:177], v126
	s_waitcnt vmcnt(0) lgkmcnt(0)
	v_mul_f64 v[124:125], v[124:125], v[176:177]
	s_cbranch_execz .LBB124_120
	s_branch .LBB124_121
.LBB124_119:
                                        ; implicit-def: $vgpr124_vgpr125
.LBB124_120:
	ds_read_b64 v[124:125], v126
.LBB124_121:
	s_and_saveexec_b64 s[12:13], s[6:7]
	s_cbranch_execz .LBB124_125
; %bb.122:
	v_subrev_u32_e32 v176, 48, v0
	s_movk_i32 s14, 0x370
	s_mov_b64 s[6:7], 0
.LBB124_123:                            ; =>This Inner Loop Header: Depth=1
	buffer_load_dword v178, v175, s[0:3], 0 offen
	buffer_load_dword v179, v175, s[0:3], 0 offen offset:4
	v_mov_b32_e32 v177, s14
	ds_read_b64 v[180:181], v177
	v_add_u32_e32 v176, -1, v176
	s_add_i32 s14, s14, 8
	v_cmp_eq_u32_e32 vcc, 0, v176
	v_add_u32_e32 v175, 8, v175
	s_or_b64 s[6:7], vcc, s[6:7]
	s_waitcnt vmcnt(0) lgkmcnt(0)
	v_fmac_f64_e32 v[124:125], v[178:179], v[180:181]
	s_andn2_b64 exec, exec, s[6:7]
	s_cbranch_execnz .LBB124_123
; %bb.124:
	s_or_b64 exec, exec, s[6:7]
.LBB124_125:
	s_or_b64 exec, exec, s[12:13]
	v_mov_b32_e32 v175, 0
	ds_read_b64 v[176:177], v175 offset:376
	s_waitcnt lgkmcnt(0)
	v_mul_f64 v[124:125], v[124:125], v[176:177]
	buffer_store_dword v125, off, s[0:3], 0 offset:380
	buffer_store_dword v124, off, s[0:3], 0 offset:376
.LBB124_126:
	s_or_b64 exec, exec, s[10:11]
	buffer_load_dword v124, off, s[0:3], 0 offset:368
	buffer_load_dword v125, off, s[0:3], 0 offset:372
	v_cmp_lt_u32_e64 s[6:7], 46, v0
	s_waitcnt vmcnt(0)
	ds_write_b64 v126, v[124:125]
	s_waitcnt lgkmcnt(0)
	; wave barrier
	s_waitcnt lgkmcnt(0)
	s_and_saveexec_b64 s[10:11], s[6:7]
	s_cbranch_execz .LBB124_136
; %bb.127:
	s_andn2_b64 vcc, exec, s[8:9]
	s_cbranch_vccnz .LBB124_129
; %bb.128:
	buffer_load_dword v124, v127, s[0:3], 0 offen
	buffer_load_dword v125, v127, s[0:3], 0 offen offset:4
	ds_read_b64 v[176:177], v126
	s_waitcnt vmcnt(0) lgkmcnt(0)
	v_mul_f64 v[124:125], v[124:125], v[176:177]
	s_cbranch_execz .LBB124_130
	s_branch .LBB124_131
.LBB124_129:
                                        ; implicit-def: $vgpr124_vgpr125
.LBB124_130:
	ds_read_b64 v[124:125], v126
.LBB124_131:
	s_and_saveexec_b64 s[12:13], s[4:5]
	s_cbranch_execz .LBB124_135
; %bb.132:
	v_subrev_u32_e32 v175, 47, v0
	s_movk_i32 s14, 0x368
	s_mov_b64 s[4:5], 0
.LBB124_133:                            ; =>This Inner Loop Header: Depth=1
	buffer_load_dword v176, v174, s[0:3], 0 offen
	buffer_load_dword v177, v174, s[0:3], 0 offen offset:4
	v_mov_b32_e32 v178, s14
	ds_read_b64 v[178:179], v178
	v_add_u32_e32 v175, -1, v175
	s_add_i32 s14, s14, 8
	v_cmp_eq_u32_e32 vcc, 0, v175
	v_add_u32_e32 v174, 8, v174
	s_or_b64 s[4:5], vcc, s[4:5]
	s_waitcnt vmcnt(0) lgkmcnt(0)
	v_fmac_f64_e32 v[124:125], v[176:177], v[178:179]
	s_andn2_b64 exec, exec, s[4:5]
	s_cbranch_execnz .LBB124_133
; %bb.134:
	s_or_b64 exec, exec, s[4:5]
.LBB124_135:
	s_or_b64 exec, exec, s[12:13]
	v_mov_b32_e32 v174, 0
	ds_read_b64 v[174:175], v174 offset:368
	s_waitcnt lgkmcnt(0)
	v_mul_f64 v[124:125], v[124:125], v[174:175]
	buffer_store_dword v125, off, s[0:3], 0 offset:372
	buffer_store_dword v124, off, s[0:3], 0 offset:368
.LBB124_136:
	s_or_b64 exec, exec, s[10:11]
	buffer_load_dword v124, off, s[0:3], 0 offset:360
	buffer_load_dword v125, off, s[0:3], 0 offset:364
	v_cmp_lt_u32_e64 s[4:5], 45, v0
	s_waitcnt vmcnt(0)
	ds_write_b64 v126, v[124:125]
	s_waitcnt lgkmcnt(0)
	; wave barrier
	s_waitcnt lgkmcnt(0)
	s_and_saveexec_b64 s[10:11], s[4:5]
	s_cbranch_execz .LBB124_146
; %bb.137:
	s_andn2_b64 vcc, exec, s[8:9]
	s_cbranch_vccnz .LBB124_139
; %bb.138:
	buffer_load_dword v124, v127, s[0:3], 0 offen
	buffer_load_dword v125, v127, s[0:3], 0 offen offset:4
	ds_read_b64 v[174:175], v126
	s_waitcnt vmcnt(0) lgkmcnt(0)
	v_mul_f64 v[124:125], v[124:125], v[174:175]
	s_cbranch_execz .LBB124_140
	s_branch .LBB124_141
.LBB124_139:
                                        ; implicit-def: $vgpr124_vgpr125
.LBB124_140:
	ds_read_b64 v[124:125], v126
.LBB124_141:
	s_and_saveexec_b64 s[12:13], s[6:7]
	s_cbranch_execz .LBB124_145
; %bb.142:
	v_subrev_u32_e32 v174, 46, v0
	s_movk_i32 s14, 0x360
	s_mov_b64 s[6:7], 0
.LBB124_143:                            ; =>This Inner Loop Header: Depth=1
	buffer_load_dword v176, v173, s[0:3], 0 offen
	buffer_load_dword v177, v173, s[0:3], 0 offen offset:4
	v_mov_b32_e32 v175, s14
	ds_read_b64 v[178:179], v175
	v_add_u32_e32 v174, -1, v174
	s_add_i32 s14, s14, 8
	v_cmp_eq_u32_e32 vcc, 0, v174
	v_add_u32_e32 v173, 8, v173
	s_or_b64 s[6:7], vcc, s[6:7]
	s_waitcnt vmcnt(0) lgkmcnt(0)
	v_fmac_f64_e32 v[124:125], v[176:177], v[178:179]
	s_andn2_b64 exec, exec, s[6:7]
	s_cbranch_execnz .LBB124_143
; %bb.144:
	s_or_b64 exec, exec, s[6:7]
.LBB124_145:
	s_or_b64 exec, exec, s[12:13]
	v_mov_b32_e32 v173, 0
	ds_read_b64 v[174:175], v173 offset:360
	s_waitcnt lgkmcnt(0)
	v_mul_f64 v[124:125], v[124:125], v[174:175]
	buffer_store_dword v125, off, s[0:3], 0 offset:364
	buffer_store_dword v124, off, s[0:3], 0 offset:360
.LBB124_146:
	s_or_b64 exec, exec, s[10:11]
	buffer_load_dword v124, off, s[0:3], 0 offset:352
	buffer_load_dword v125, off, s[0:3], 0 offset:356
	v_cmp_lt_u32_e64 s[6:7], 44, v0
	s_waitcnt vmcnt(0)
	ds_write_b64 v126, v[124:125]
	s_waitcnt lgkmcnt(0)
	; wave barrier
	s_waitcnt lgkmcnt(0)
	s_and_saveexec_b64 s[10:11], s[6:7]
	s_cbranch_execz .LBB124_156
; %bb.147:
	s_andn2_b64 vcc, exec, s[8:9]
	s_cbranch_vccnz .LBB124_149
; %bb.148:
	buffer_load_dword v124, v127, s[0:3], 0 offen
	buffer_load_dword v125, v127, s[0:3], 0 offen offset:4
	ds_read_b64 v[174:175], v126
	s_waitcnt vmcnt(0) lgkmcnt(0)
	v_mul_f64 v[124:125], v[124:125], v[174:175]
	s_cbranch_execz .LBB124_150
	s_branch .LBB124_151
.LBB124_149:
                                        ; implicit-def: $vgpr124_vgpr125
.LBB124_150:
	ds_read_b64 v[124:125], v126
.LBB124_151:
	s_and_saveexec_b64 s[12:13], s[4:5]
	s_cbranch_execz .LBB124_155
; %bb.152:
	v_subrev_u32_e32 v173, 45, v0
	s_movk_i32 s14, 0x358
	s_mov_b64 s[4:5], 0
.LBB124_153:                            ; =>This Inner Loop Header: Depth=1
	buffer_load_dword v174, v172, s[0:3], 0 offen
	buffer_load_dword v175, v172, s[0:3], 0 offen offset:4
	v_mov_b32_e32 v176, s14
	ds_read_b64 v[176:177], v176
	v_add_u32_e32 v173, -1, v173
	s_add_i32 s14, s14, 8
	v_cmp_eq_u32_e32 vcc, 0, v173
	v_add_u32_e32 v172, 8, v172
	s_or_b64 s[4:5], vcc, s[4:5]
	s_waitcnt vmcnt(0) lgkmcnt(0)
	v_fmac_f64_e32 v[124:125], v[174:175], v[176:177]
	s_andn2_b64 exec, exec, s[4:5]
	s_cbranch_execnz .LBB124_153
; %bb.154:
	s_or_b64 exec, exec, s[4:5]
.LBB124_155:
	s_or_b64 exec, exec, s[12:13]
	v_mov_b32_e32 v172, 0
	ds_read_b64 v[172:173], v172 offset:352
	s_waitcnt lgkmcnt(0)
	v_mul_f64 v[124:125], v[124:125], v[172:173]
	buffer_store_dword v125, off, s[0:3], 0 offset:356
	buffer_store_dword v124, off, s[0:3], 0 offset:352
.LBB124_156:
	s_or_b64 exec, exec, s[10:11]
	buffer_load_dword v124, off, s[0:3], 0 offset:344
	buffer_load_dword v125, off, s[0:3], 0 offset:348
	v_cmp_lt_u32_e64 s[4:5], 43, v0
	s_waitcnt vmcnt(0)
	ds_write_b64 v126, v[124:125]
	s_waitcnt lgkmcnt(0)
	; wave barrier
	s_waitcnt lgkmcnt(0)
	s_and_saveexec_b64 s[10:11], s[4:5]
	s_cbranch_execz .LBB124_166
; %bb.157:
	s_andn2_b64 vcc, exec, s[8:9]
	s_cbranch_vccnz .LBB124_159
; %bb.158:
	buffer_load_dword v124, v127, s[0:3], 0 offen
	buffer_load_dword v125, v127, s[0:3], 0 offen offset:4
	ds_read_b64 v[172:173], v126
	s_waitcnt vmcnt(0) lgkmcnt(0)
	v_mul_f64 v[124:125], v[124:125], v[172:173]
	s_cbranch_execz .LBB124_160
	s_branch .LBB124_161
.LBB124_159:
                                        ; implicit-def: $vgpr124_vgpr125
.LBB124_160:
	ds_read_b64 v[124:125], v126
.LBB124_161:
	s_and_saveexec_b64 s[12:13], s[6:7]
	s_cbranch_execz .LBB124_165
; %bb.162:
	v_subrev_u32_e32 v172, 44, v0
	s_movk_i32 s14, 0x350
	s_mov_b64 s[6:7], 0
.LBB124_163:                            ; =>This Inner Loop Header: Depth=1
	buffer_load_dword v174, v171, s[0:3], 0 offen
	buffer_load_dword v175, v171, s[0:3], 0 offen offset:4
	v_mov_b32_e32 v173, s14
	ds_read_b64 v[176:177], v173
	v_add_u32_e32 v172, -1, v172
	s_add_i32 s14, s14, 8
	v_cmp_eq_u32_e32 vcc, 0, v172
	v_add_u32_e32 v171, 8, v171
	s_or_b64 s[6:7], vcc, s[6:7]
	s_waitcnt vmcnt(0) lgkmcnt(0)
	v_fmac_f64_e32 v[124:125], v[174:175], v[176:177]
	s_andn2_b64 exec, exec, s[6:7]
	s_cbranch_execnz .LBB124_163
; %bb.164:
	s_or_b64 exec, exec, s[6:7]
.LBB124_165:
	s_or_b64 exec, exec, s[12:13]
	v_mov_b32_e32 v171, 0
	ds_read_b64 v[172:173], v171 offset:344
	s_waitcnt lgkmcnt(0)
	v_mul_f64 v[124:125], v[124:125], v[172:173]
	buffer_store_dword v125, off, s[0:3], 0 offset:348
	buffer_store_dword v124, off, s[0:3], 0 offset:344
.LBB124_166:
	s_or_b64 exec, exec, s[10:11]
	buffer_load_dword v124, off, s[0:3], 0 offset:336
	buffer_load_dword v125, off, s[0:3], 0 offset:340
	v_cmp_lt_u32_e64 s[6:7], 42, v0
	s_waitcnt vmcnt(0)
	ds_write_b64 v126, v[124:125]
	s_waitcnt lgkmcnt(0)
	; wave barrier
	s_waitcnt lgkmcnt(0)
	s_and_saveexec_b64 s[10:11], s[6:7]
	s_cbranch_execz .LBB124_176
; %bb.167:
	s_andn2_b64 vcc, exec, s[8:9]
	s_cbranch_vccnz .LBB124_169
; %bb.168:
	buffer_load_dword v124, v127, s[0:3], 0 offen
	buffer_load_dword v125, v127, s[0:3], 0 offen offset:4
	ds_read_b64 v[172:173], v126
	s_waitcnt vmcnt(0) lgkmcnt(0)
	v_mul_f64 v[124:125], v[124:125], v[172:173]
	s_cbranch_execz .LBB124_170
	s_branch .LBB124_171
.LBB124_169:
                                        ; implicit-def: $vgpr124_vgpr125
.LBB124_170:
	ds_read_b64 v[124:125], v126
.LBB124_171:
	s_and_saveexec_b64 s[12:13], s[4:5]
	s_cbranch_execz .LBB124_175
; %bb.172:
	v_subrev_u32_e32 v171, 43, v0
	s_movk_i32 s14, 0x348
	s_mov_b64 s[4:5], 0
.LBB124_173:                            ; =>This Inner Loop Header: Depth=1
	buffer_load_dword v172, v170, s[0:3], 0 offen
	buffer_load_dword v173, v170, s[0:3], 0 offen offset:4
	v_mov_b32_e32 v174, s14
	ds_read_b64 v[174:175], v174
	v_add_u32_e32 v171, -1, v171
	s_add_i32 s14, s14, 8
	v_cmp_eq_u32_e32 vcc, 0, v171
	v_add_u32_e32 v170, 8, v170
	s_or_b64 s[4:5], vcc, s[4:5]
	s_waitcnt vmcnt(0) lgkmcnt(0)
	v_fmac_f64_e32 v[124:125], v[172:173], v[174:175]
	s_andn2_b64 exec, exec, s[4:5]
	s_cbranch_execnz .LBB124_173
; %bb.174:
	s_or_b64 exec, exec, s[4:5]
.LBB124_175:
	s_or_b64 exec, exec, s[12:13]
	v_mov_b32_e32 v170, 0
	ds_read_b64 v[170:171], v170 offset:336
	s_waitcnt lgkmcnt(0)
	v_mul_f64 v[124:125], v[124:125], v[170:171]
	buffer_store_dword v125, off, s[0:3], 0 offset:340
	buffer_store_dword v124, off, s[0:3], 0 offset:336
.LBB124_176:
	s_or_b64 exec, exec, s[10:11]
	buffer_load_dword v124, off, s[0:3], 0 offset:328
	buffer_load_dword v125, off, s[0:3], 0 offset:332
	v_cmp_lt_u32_e64 s[4:5], 41, v0
	s_waitcnt vmcnt(0)
	ds_write_b64 v126, v[124:125]
	s_waitcnt lgkmcnt(0)
	; wave barrier
	s_waitcnt lgkmcnt(0)
	s_and_saveexec_b64 s[10:11], s[4:5]
	s_cbranch_execz .LBB124_186
; %bb.177:
	s_andn2_b64 vcc, exec, s[8:9]
	s_cbranch_vccnz .LBB124_179
; %bb.178:
	buffer_load_dword v124, v127, s[0:3], 0 offen
	buffer_load_dword v125, v127, s[0:3], 0 offen offset:4
	ds_read_b64 v[170:171], v126
	s_waitcnt vmcnt(0) lgkmcnt(0)
	v_mul_f64 v[124:125], v[124:125], v[170:171]
	s_cbranch_execz .LBB124_180
	s_branch .LBB124_181
.LBB124_179:
                                        ; implicit-def: $vgpr124_vgpr125
.LBB124_180:
	ds_read_b64 v[124:125], v126
.LBB124_181:
	s_and_saveexec_b64 s[12:13], s[6:7]
	s_cbranch_execz .LBB124_185
; %bb.182:
	v_subrev_u32_e32 v170, 42, v0
	s_movk_i32 s14, 0x340
	s_mov_b64 s[6:7], 0
.LBB124_183:                            ; =>This Inner Loop Header: Depth=1
	buffer_load_dword v172, v169, s[0:3], 0 offen
	buffer_load_dword v173, v169, s[0:3], 0 offen offset:4
	v_mov_b32_e32 v171, s14
	ds_read_b64 v[174:175], v171
	v_add_u32_e32 v170, -1, v170
	s_add_i32 s14, s14, 8
	v_cmp_eq_u32_e32 vcc, 0, v170
	v_add_u32_e32 v169, 8, v169
	s_or_b64 s[6:7], vcc, s[6:7]
	s_waitcnt vmcnt(0) lgkmcnt(0)
	v_fmac_f64_e32 v[124:125], v[172:173], v[174:175]
	s_andn2_b64 exec, exec, s[6:7]
	s_cbranch_execnz .LBB124_183
; %bb.184:
	s_or_b64 exec, exec, s[6:7]
.LBB124_185:
	s_or_b64 exec, exec, s[12:13]
	v_mov_b32_e32 v169, 0
	ds_read_b64 v[170:171], v169 offset:328
	s_waitcnt lgkmcnt(0)
	v_mul_f64 v[124:125], v[124:125], v[170:171]
	buffer_store_dword v125, off, s[0:3], 0 offset:332
	buffer_store_dword v124, off, s[0:3], 0 offset:328
.LBB124_186:
	s_or_b64 exec, exec, s[10:11]
	buffer_load_dword v124, off, s[0:3], 0 offset:320
	buffer_load_dword v125, off, s[0:3], 0 offset:324
	v_cmp_lt_u32_e64 s[6:7], 40, v0
	s_waitcnt vmcnt(0)
	ds_write_b64 v126, v[124:125]
	s_waitcnt lgkmcnt(0)
	; wave barrier
	s_waitcnt lgkmcnt(0)
	s_and_saveexec_b64 s[10:11], s[6:7]
	s_cbranch_execz .LBB124_196
; %bb.187:
	s_andn2_b64 vcc, exec, s[8:9]
	s_cbranch_vccnz .LBB124_189
; %bb.188:
	buffer_load_dword v124, v127, s[0:3], 0 offen
	buffer_load_dword v125, v127, s[0:3], 0 offen offset:4
	ds_read_b64 v[170:171], v126
	s_waitcnt vmcnt(0) lgkmcnt(0)
	v_mul_f64 v[124:125], v[124:125], v[170:171]
	s_cbranch_execz .LBB124_190
	s_branch .LBB124_191
.LBB124_189:
                                        ; implicit-def: $vgpr124_vgpr125
.LBB124_190:
	ds_read_b64 v[124:125], v126
.LBB124_191:
	s_and_saveexec_b64 s[12:13], s[4:5]
	s_cbranch_execz .LBB124_195
; %bb.192:
	v_subrev_u32_e32 v169, 41, v0
	s_movk_i32 s14, 0x338
	s_mov_b64 s[4:5], 0
.LBB124_193:                            ; =>This Inner Loop Header: Depth=1
	buffer_load_dword v170, v168, s[0:3], 0 offen
	buffer_load_dword v171, v168, s[0:3], 0 offen offset:4
	v_mov_b32_e32 v172, s14
	ds_read_b64 v[172:173], v172
	v_add_u32_e32 v169, -1, v169
	s_add_i32 s14, s14, 8
	v_cmp_eq_u32_e32 vcc, 0, v169
	v_add_u32_e32 v168, 8, v168
	s_or_b64 s[4:5], vcc, s[4:5]
	s_waitcnt vmcnt(0) lgkmcnt(0)
	v_fmac_f64_e32 v[124:125], v[170:171], v[172:173]
	s_andn2_b64 exec, exec, s[4:5]
	s_cbranch_execnz .LBB124_193
; %bb.194:
	s_or_b64 exec, exec, s[4:5]
.LBB124_195:
	s_or_b64 exec, exec, s[12:13]
	v_mov_b32_e32 v168, 0
	ds_read_b64 v[168:169], v168 offset:320
	s_waitcnt lgkmcnt(0)
	v_mul_f64 v[124:125], v[124:125], v[168:169]
	buffer_store_dword v125, off, s[0:3], 0 offset:324
	buffer_store_dword v124, off, s[0:3], 0 offset:320
.LBB124_196:
	s_or_b64 exec, exec, s[10:11]
	buffer_load_dword v124, off, s[0:3], 0 offset:312
	buffer_load_dword v125, off, s[0:3], 0 offset:316
	v_cmp_lt_u32_e64 s[4:5], 39, v0
	s_waitcnt vmcnt(0)
	ds_write_b64 v126, v[124:125]
	s_waitcnt lgkmcnt(0)
	; wave barrier
	s_waitcnt lgkmcnt(0)
	s_and_saveexec_b64 s[10:11], s[4:5]
	s_cbranch_execz .LBB124_206
; %bb.197:
	s_andn2_b64 vcc, exec, s[8:9]
	s_cbranch_vccnz .LBB124_199
; %bb.198:
	buffer_load_dword v124, v127, s[0:3], 0 offen
	buffer_load_dword v125, v127, s[0:3], 0 offen offset:4
	ds_read_b64 v[168:169], v126
	s_waitcnt vmcnt(0) lgkmcnt(0)
	v_mul_f64 v[124:125], v[124:125], v[168:169]
	s_cbranch_execz .LBB124_200
	s_branch .LBB124_201
.LBB124_199:
                                        ; implicit-def: $vgpr124_vgpr125
.LBB124_200:
	ds_read_b64 v[124:125], v126
.LBB124_201:
	s_and_saveexec_b64 s[12:13], s[6:7]
	s_cbranch_execz .LBB124_205
; %bb.202:
	v_subrev_u32_e32 v168, 40, v0
	s_movk_i32 s14, 0x330
	s_mov_b64 s[6:7], 0
.LBB124_203:                            ; =>This Inner Loop Header: Depth=1
	buffer_load_dword v170, v167, s[0:3], 0 offen
	buffer_load_dword v171, v167, s[0:3], 0 offen offset:4
	v_mov_b32_e32 v169, s14
	ds_read_b64 v[172:173], v169
	v_add_u32_e32 v168, -1, v168
	s_add_i32 s14, s14, 8
	v_cmp_eq_u32_e32 vcc, 0, v168
	v_add_u32_e32 v167, 8, v167
	s_or_b64 s[6:7], vcc, s[6:7]
	s_waitcnt vmcnt(0) lgkmcnt(0)
	v_fmac_f64_e32 v[124:125], v[170:171], v[172:173]
	s_andn2_b64 exec, exec, s[6:7]
	s_cbranch_execnz .LBB124_203
; %bb.204:
	s_or_b64 exec, exec, s[6:7]
.LBB124_205:
	s_or_b64 exec, exec, s[12:13]
	v_mov_b32_e32 v167, 0
	ds_read_b64 v[168:169], v167 offset:312
	s_waitcnt lgkmcnt(0)
	v_mul_f64 v[124:125], v[124:125], v[168:169]
	buffer_store_dword v125, off, s[0:3], 0 offset:316
	buffer_store_dword v124, off, s[0:3], 0 offset:312
.LBB124_206:
	s_or_b64 exec, exec, s[10:11]
	buffer_load_dword v124, off, s[0:3], 0 offset:304
	buffer_load_dword v125, off, s[0:3], 0 offset:308
	v_cmp_lt_u32_e64 s[6:7], 38, v0
	s_waitcnt vmcnt(0)
	ds_write_b64 v126, v[124:125]
	s_waitcnt lgkmcnt(0)
	; wave barrier
	s_waitcnt lgkmcnt(0)
	s_and_saveexec_b64 s[10:11], s[6:7]
	s_cbranch_execz .LBB124_216
; %bb.207:
	s_andn2_b64 vcc, exec, s[8:9]
	s_cbranch_vccnz .LBB124_209
; %bb.208:
	buffer_load_dword v124, v127, s[0:3], 0 offen
	buffer_load_dword v125, v127, s[0:3], 0 offen offset:4
	ds_read_b64 v[168:169], v126
	s_waitcnt vmcnt(0) lgkmcnt(0)
	v_mul_f64 v[124:125], v[124:125], v[168:169]
	s_cbranch_execz .LBB124_210
	s_branch .LBB124_211
.LBB124_209:
                                        ; implicit-def: $vgpr124_vgpr125
.LBB124_210:
	ds_read_b64 v[124:125], v126
.LBB124_211:
	s_and_saveexec_b64 s[12:13], s[4:5]
	s_cbranch_execz .LBB124_215
; %bb.212:
	v_subrev_u32_e32 v167, 39, v0
	s_movk_i32 s14, 0x328
	s_mov_b64 s[4:5], 0
.LBB124_213:                            ; =>This Inner Loop Header: Depth=1
	buffer_load_dword v168, v166, s[0:3], 0 offen
	buffer_load_dword v169, v166, s[0:3], 0 offen offset:4
	v_mov_b32_e32 v170, s14
	ds_read_b64 v[170:171], v170
	v_add_u32_e32 v167, -1, v167
	s_add_i32 s14, s14, 8
	v_cmp_eq_u32_e32 vcc, 0, v167
	v_add_u32_e32 v166, 8, v166
	s_or_b64 s[4:5], vcc, s[4:5]
	s_waitcnt vmcnt(0) lgkmcnt(0)
	v_fmac_f64_e32 v[124:125], v[168:169], v[170:171]
	s_andn2_b64 exec, exec, s[4:5]
	s_cbranch_execnz .LBB124_213
; %bb.214:
	s_or_b64 exec, exec, s[4:5]
.LBB124_215:
	s_or_b64 exec, exec, s[12:13]
	v_mov_b32_e32 v166, 0
	ds_read_b64 v[166:167], v166 offset:304
	s_waitcnt lgkmcnt(0)
	v_mul_f64 v[124:125], v[124:125], v[166:167]
	buffer_store_dword v125, off, s[0:3], 0 offset:308
	buffer_store_dword v124, off, s[0:3], 0 offset:304
.LBB124_216:
	s_or_b64 exec, exec, s[10:11]
	buffer_load_dword v124, off, s[0:3], 0 offset:296
	buffer_load_dword v125, off, s[0:3], 0 offset:300
	v_cmp_lt_u32_e64 s[4:5], 37, v0
	s_waitcnt vmcnt(0)
	ds_write_b64 v126, v[124:125]
	s_waitcnt lgkmcnt(0)
	; wave barrier
	s_waitcnt lgkmcnt(0)
	s_and_saveexec_b64 s[10:11], s[4:5]
	s_cbranch_execz .LBB124_226
; %bb.217:
	s_andn2_b64 vcc, exec, s[8:9]
	s_cbranch_vccnz .LBB124_219
; %bb.218:
	buffer_load_dword v124, v127, s[0:3], 0 offen
	buffer_load_dword v125, v127, s[0:3], 0 offen offset:4
	ds_read_b64 v[166:167], v126
	s_waitcnt vmcnt(0) lgkmcnt(0)
	v_mul_f64 v[124:125], v[124:125], v[166:167]
	s_cbranch_execz .LBB124_220
	s_branch .LBB124_221
.LBB124_219:
                                        ; implicit-def: $vgpr124_vgpr125
.LBB124_220:
	ds_read_b64 v[124:125], v126
.LBB124_221:
	s_and_saveexec_b64 s[12:13], s[6:7]
	s_cbranch_execz .LBB124_225
; %bb.222:
	v_subrev_u32_e32 v166, 38, v0
	s_movk_i32 s14, 0x320
	s_mov_b64 s[6:7], 0
.LBB124_223:                            ; =>This Inner Loop Header: Depth=1
	buffer_load_dword v168, v165, s[0:3], 0 offen
	buffer_load_dword v169, v165, s[0:3], 0 offen offset:4
	v_mov_b32_e32 v167, s14
	ds_read_b64 v[170:171], v167
	v_add_u32_e32 v166, -1, v166
	s_add_i32 s14, s14, 8
	v_cmp_eq_u32_e32 vcc, 0, v166
	v_add_u32_e32 v165, 8, v165
	s_or_b64 s[6:7], vcc, s[6:7]
	s_waitcnt vmcnt(0) lgkmcnt(0)
	v_fmac_f64_e32 v[124:125], v[168:169], v[170:171]
	s_andn2_b64 exec, exec, s[6:7]
	s_cbranch_execnz .LBB124_223
; %bb.224:
	s_or_b64 exec, exec, s[6:7]
.LBB124_225:
	s_or_b64 exec, exec, s[12:13]
	v_mov_b32_e32 v165, 0
	ds_read_b64 v[166:167], v165 offset:296
	s_waitcnt lgkmcnt(0)
	v_mul_f64 v[124:125], v[124:125], v[166:167]
	buffer_store_dword v125, off, s[0:3], 0 offset:300
	buffer_store_dword v124, off, s[0:3], 0 offset:296
.LBB124_226:
	s_or_b64 exec, exec, s[10:11]
	buffer_load_dword v124, off, s[0:3], 0 offset:288
	buffer_load_dword v125, off, s[0:3], 0 offset:292
	v_cmp_lt_u32_e64 s[6:7], 36, v0
	s_waitcnt vmcnt(0)
	ds_write_b64 v126, v[124:125]
	s_waitcnt lgkmcnt(0)
	; wave barrier
	s_waitcnt lgkmcnt(0)
	s_and_saveexec_b64 s[10:11], s[6:7]
	s_cbranch_execz .LBB124_236
; %bb.227:
	s_andn2_b64 vcc, exec, s[8:9]
	s_cbranch_vccnz .LBB124_229
; %bb.228:
	buffer_load_dword v124, v127, s[0:3], 0 offen
	buffer_load_dword v125, v127, s[0:3], 0 offen offset:4
	ds_read_b64 v[166:167], v126
	s_waitcnt vmcnt(0) lgkmcnt(0)
	v_mul_f64 v[124:125], v[124:125], v[166:167]
	s_cbranch_execz .LBB124_230
	s_branch .LBB124_231
.LBB124_229:
                                        ; implicit-def: $vgpr124_vgpr125
.LBB124_230:
	ds_read_b64 v[124:125], v126
.LBB124_231:
	s_and_saveexec_b64 s[12:13], s[4:5]
	s_cbranch_execz .LBB124_235
; %bb.232:
	v_subrev_u32_e32 v165, 37, v0
	s_movk_i32 s14, 0x318
	s_mov_b64 s[4:5], 0
.LBB124_233:                            ; =>This Inner Loop Header: Depth=1
	buffer_load_dword v166, v164, s[0:3], 0 offen
	buffer_load_dword v167, v164, s[0:3], 0 offen offset:4
	v_mov_b32_e32 v168, s14
	ds_read_b64 v[168:169], v168
	v_add_u32_e32 v165, -1, v165
	s_add_i32 s14, s14, 8
	v_cmp_eq_u32_e32 vcc, 0, v165
	v_add_u32_e32 v164, 8, v164
	s_or_b64 s[4:5], vcc, s[4:5]
	s_waitcnt vmcnt(0) lgkmcnt(0)
	v_fmac_f64_e32 v[124:125], v[166:167], v[168:169]
	s_andn2_b64 exec, exec, s[4:5]
	s_cbranch_execnz .LBB124_233
; %bb.234:
	s_or_b64 exec, exec, s[4:5]
.LBB124_235:
	s_or_b64 exec, exec, s[12:13]
	v_mov_b32_e32 v164, 0
	ds_read_b64 v[164:165], v164 offset:288
	s_waitcnt lgkmcnt(0)
	v_mul_f64 v[124:125], v[124:125], v[164:165]
	buffer_store_dword v125, off, s[0:3], 0 offset:292
	buffer_store_dword v124, off, s[0:3], 0 offset:288
.LBB124_236:
	s_or_b64 exec, exec, s[10:11]
	buffer_load_dword v124, off, s[0:3], 0 offset:280
	buffer_load_dword v125, off, s[0:3], 0 offset:284
	v_cmp_lt_u32_e64 s[4:5], 35, v0
	s_waitcnt vmcnt(0)
	ds_write_b64 v126, v[124:125]
	s_waitcnt lgkmcnt(0)
	; wave barrier
	s_waitcnt lgkmcnt(0)
	s_and_saveexec_b64 s[10:11], s[4:5]
	s_cbranch_execz .LBB124_246
; %bb.237:
	s_andn2_b64 vcc, exec, s[8:9]
	s_cbranch_vccnz .LBB124_239
; %bb.238:
	buffer_load_dword v124, v127, s[0:3], 0 offen
	buffer_load_dword v125, v127, s[0:3], 0 offen offset:4
	ds_read_b64 v[164:165], v126
	s_waitcnt vmcnt(0) lgkmcnt(0)
	v_mul_f64 v[124:125], v[124:125], v[164:165]
	s_cbranch_execz .LBB124_240
	s_branch .LBB124_241
.LBB124_239:
                                        ; implicit-def: $vgpr124_vgpr125
.LBB124_240:
	ds_read_b64 v[124:125], v126
.LBB124_241:
	s_and_saveexec_b64 s[12:13], s[6:7]
	s_cbranch_execz .LBB124_245
; %bb.242:
	v_subrev_u32_e32 v164, 36, v0
	s_movk_i32 s14, 0x310
	s_mov_b64 s[6:7], 0
.LBB124_243:                            ; =>This Inner Loop Header: Depth=1
	buffer_load_dword v166, v163, s[0:3], 0 offen
	buffer_load_dword v167, v163, s[0:3], 0 offen offset:4
	v_mov_b32_e32 v165, s14
	ds_read_b64 v[168:169], v165
	v_add_u32_e32 v164, -1, v164
	s_add_i32 s14, s14, 8
	v_cmp_eq_u32_e32 vcc, 0, v164
	v_add_u32_e32 v163, 8, v163
	s_or_b64 s[6:7], vcc, s[6:7]
	s_waitcnt vmcnt(0) lgkmcnt(0)
	v_fmac_f64_e32 v[124:125], v[166:167], v[168:169]
	s_andn2_b64 exec, exec, s[6:7]
	s_cbranch_execnz .LBB124_243
; %bb.244:
	s_or_b64 exec, exec, s[6:7]
.LBB124_245:
	s_or_b64 exec, exec, s[12:13]
	v_mov_b32_e32 v163, 0
	ds_read_b64 v[164:165], v163 offset:280
	s_waitcnt lgkmcnt(0)
	v_mul_f64 v[124:125], v[124:125], v[164:165]
	buffer_store_dword v125, off, s[0:3], 0 offset:284
	buffer_store_dword v124, off, s[0:3], 0 offset:280
.LBB124_246:
	s_or_b64 exec, exec, s[10:11]
	buffer_load_dword v124, off, s[0:3], 0 offset:272
	buffer_load_dword v125, off, s[0:3], 0 offset:276
	v_cmp_lt_u32_e64 s[6:7], 34, v0
	s_waitcnt vmcnt(0)
	ds_write_b64 v126, v[124:125]
	s_waitcnt lgkmcnt(0)
	; wave barrier
	s_waitcnt lgkmcnt(0)
	s_and_saveexec_b64 s[10:11], s[6:7]
	s_cbranch_execz .LBB124_256
; %bb.247:
	s_andn2_b64 vcc, exec, s[8:9]
	s_cbranch_vccnz .LBB124_249
; %bb.248:
	buffer_load_dword v124, v127, s[0:3], 0 offen
	buffer_load_dword v125, v127, s[0:3], 0 offen offset:4
	ds_read_b64 v[164:165], v126
	s_waitcnt vmcnt(0) lgkmcnt(0)
	v_mul_f64 v[124:125], v[124:125], v[164:165]
	s_cbranch_execz .LBB124_250
	s_branch .LBB124_251
.LBB124_249:
                                        ; implicit-def: $vgpr124_vgpr125
.LBB124_250:
	ds_read_b64 v[124:125], v126
.LBB124_251:
	s_and_saveexec_b64 s[12:13], s[4:5]
	s_cbranch_execz .LBB124_255
; %bb.252:
	v_subrev_u32_e32 v163, 35, v0
	s_movk_i32 s14, 0x308
	s_mov_b64 s[4:5], 0
.LBB124_253:                            ; =>This Inner Loop Header: Depth=1
	buffer_load_dword v164, v162, s[0:3], 0 offen
	buffer_load_dword v165, v162, s[0:3], 0 offen offset:4
	v_mov_b32_e32 v166, s14
	ds_read_b64 v[166:167], v166
	v_add_u32_e32 v163, -1, v163
	s_add_i32 s14, s14, 8
	v_cmp_eq_u32_e32 vcc, 0, v163
	v_add_u32_e32 v162, 8, v162
	s_or_b64 s[4:5], vcc, s[4:5]
	s_waitcnt vmcnt(0) lgkmcnt(0)
	v_fmac_f64_e32 v[124:125], v[164:165], v[166:167]
	s_andn2_b64 exec, exec, s[4:5]
	s_cbranch_execnz .LBB124_253
; %bb.254:
	s_or_b64 exec, exec, s[4:5]
.LBB124_255:
	s_or_b64 exec, exec, s[12:13]
	v_mov_b32_e32 v162, 0
	ds_read_b64 v[162:163], v162 offset:272
	s_waitcnt lgkmcnt(0)
	v_mul_f64 v[124:125], v[124:125], v[162:163]
	buffer_store_dword v125, off, s[0:3], 0 offset:276
	buffer_store_dword v124, off, s[0:3], 0 offset:272
.LBB124_256:
	s_or_b64 exec, exec, s[10:11]
	buffer_load_dword v124, off, s[0:3], 0 offset:264
	buffer_load_dword v125, off, s[0:3], 0 offset:268
	v_cmp_lt_u32_e64 s[4:5], 33, v0
	s_waitcnt vmcnt(0)
	ds_write_b64 v126, v[124:125]
	s_waitcnt lgkmcnt(0)
	; wave barrier
	s_waitcnt lgkmcnt(0)
	s_and_saveexec_b64 s[10:11], s[4:5]
	s_cbranch_execz .LBB124_266
; %bb.257:
	s_andn2_b64 vcc, exec, s[8:9]
	s_cbranch_vccnz .LBB124_259
; %bb.258:
	buffer_load_dword v124, v127, s[0:3], 0 offen
	buffer_load_dword v125, v127, s[0:3], 0 offen offset:4
	ds_read_b64 v[162:163], v126
	s_waitcnt vmcnt(0) lgkmcnt(0)
	v_mul_f64 v[124:125], v[124:125], v[162:163]
	s_cbranch_execz .LBB124_260
	s_branch .LBB124_261
.LBB124_259:
                                        ; implicit-def: $vgpr124_vgpr125
.LBB124_260:
	ds_read_b64 v[124:125], v126
.LBB124_261:
	s_and_saveexec_b64 s[12:13], s[6:7]
	s_cbranch_execz .LBB124_265
; %bb.262:
	v_subrev_u32_e32 v162, 34, v0
	s_movk_i32 s14, 0x300
	s_mov_b64 s[6:7], 0
.LBB124_263:                            ; =>This Inner Loop Header: Depth=1
	buffer_load_dword v164, v161, s[0:3], 0 offen
	buffer_load_dword v165, v161, s[0:3], 0 offen offset:4
	v_mov_b32_e32 v163, s14
	ds_read_b64 v[166:167], v163
	v_add_u32_e32 v162, -1, v162
	s_add_i32 s14, s14, 8
	v_cmp_eq_u32_e32 vcc, 0, v162
	v_add_u32_e32 v161, 8, v161
	s_or_b64 s[6:7], vcc, s[6:7]
	s_waitcnt vmcnt(0) lgkmcnt(0)
	v_fmac_f64_e32 v[124:125], v[164:165], v[166:167]
	s_andn2_b64 exec, exec, s[6:7]
	s_cbranch_execnz .LBB124_263
; %bb.264:
	s_or_b64 exec, exec, s[6:7]
.LBB124_265:
	s_or_b64 exec, exec, s[12:13]
	v_mov_b32_e32 v161, 0
	ds_read_b64 v[162:163], v161 offset:264
	s_waitcnt lgkmcnt(0)
	v_mul_f64 v[124:125], v[124:125], v[162:163]
	buffer_store_dword v125, off, s[0:3], 0 offset:268
	buffer_store_dword v124, off, s[0:3], 0 offset:264
.LBB124_266:
	s_or_b64 exec, exec, s[10:11]
	buffer_load_dword v124, off, s[0:3], 0 offset:256
	buffer_load_dword v125, off, s[0:3], 0 offset:260
	v_cmp_lt_u32_e64 s[6:7], 32, v0
	s_waitcnt vmcnt(0)
	ds_write_b64 v126, v[124:125]
	s_waitcnt lgkmcnt(0)
	; wave barrier
	s_waitcnt lgkmcnt(0)
	s_and_saveexec_b64 s[10:11], s[6:7]
	s_cbranch_execz .LBB124_276
; %bb.267:
	s_andn2_b64 vcc, exec, s[8:9]
	s_cbranch_vccnz .LBB124_269
; %bb.268:
	buffer_load_dword v124, v127, s[0:3], 0 offen
	buffer_load_dword v125, v127, s[0:3], 0 offen offset:4
	ds_read_b64 v[162:163], v126
	s_waitcnt vmcnt(0) lgkmcnt(0)
	v_mul_f64 v[124:125], v[124:125], v[162:163]
	s_cbranch_execz .LBB124_270
	s_branch .LBB124_271
.LBB124_269:
                                        ; implicit-def: $vgpr124_vgpr125
.LBB124_270:
	ds_read_b64 v[124:125], v126
.LBB124_271:
	s_and_saveexec_b64 s[12:13], s[4:5]
	s_cbranch_execz .LBB124_275
; %bb.272:
	v_subrev_u32_e32 v161, 33, v0
	s_movk_i32 s14, 0x2f8
	s_mov_b64 s[4:5], 0
.LBB124_273:                            ; =>This Inner Loop Header: Depth=1
	buffer_load_dword v162, v160, s[0:3], 0 offen
	buffer_load_dword v163, v160, s[0:3], 0 offen offset:4
	v_mov_b32_e32 v164, s14
	ds_read_b64 v[164:165], v164
	v_add_u32_e32 v161, -1, v161
	s_add_i32 s14, s14, 8
	v_cmp_eq_u32_e32 vcc, 0, v161
	v_add_u32_e32 v160, 8, v160
	s_or_b64 s[4:5], vcc, s[4:5]
	s_waitcnt vmcnt(0) lgkmcnt(0)
	v_fmac_f64_e32 v[124:125], v[162:163], v[164:165]
	s_andn2_b64 exec, exec, s[4:5]
	s_cbranch_execnz .LBB124_273
; %bb.274:
	s_or_b64 exec, exec, s[4:5]
.LBB124_275:
	s_or_b64 exec, exec, s[12:13]
	v_mov_b32_e32 v160, 0
	ds_read_b64 v[160:161], v160 offset:256
	s_waitcnt lgkmcnt(0)
	v_mul_f64 v[124:125], v[124:125], v[160:161]
	buffer_store_dword v125, off, s[0:3], 0 offset:260
	buffer_store_dword v124, off, s[0:3], 0 offset:256
.LBB124_276:
	s_or_b64 exec, exec, s[10:11]
	buffer_load_dword v124, off, s[0:3], 0 offset:248
	buffer_load_dword v125, off, s[0:3], 0 offset:252
	v_cmp_lt_u32_e64 s[4:5], 31, v0
	s_waitcnt vmcnt(0)
	ds_write_b64 v126, v[124:125]
	s_waitcnt lgkmcnt(0)
	; wave barrier
	s_waitcnt lgkmcnt(0)
	s_and_saveexec_b64 s[10:11], s[4:5]
	s_cbranch_execz .LBB124_286
; %bb.277:
	s_andn2_b64 vcc, exec, s[8:9]
	s_cbranch_vccnz .LBB124_279
; %bb.278:
	buffer_load_dword v124, v127, s[0:3], 0 offen
	buffer_load_dword v125, v127, s[0:3], 0 offen offset:4
	ds_read_b64 v[160:161], v126
	s_waitcnt vmcnt(0) lgkmcnt(0)
	v_mul_f64 v[124:125], v[124:125], v[160:161]
	s_cbranch_execz .LBB124_280
	s_branch .LBB124_281
.LBB124_279:
                                        ; implicit-def: $vgpr124_vgpr125
.LBB124_280:
	ds_read_b64 v[124:125], v126
.LBB124_281:
	s_and_saveexec_b64 s[12:13], s[6:7]
	s_cbranch_execz .LBB124_285
; %bb.282:
	v_subrev_u32_e32 v160, 32, v0
	s_movk_i32 s14, 0x2f0
	s_mov_b64 s[6:7], 0
.LBB124_283:                            ; =>This Inner Loop Header: Depth=1
	buffer_load_dword v162, v159, s[0:3], 0 offen
	buffer_load_dword v163, v159, s[0:3], 0 offen offset:4
	v_mov_b32_e32 v161, s14
	ds_read_b64 v[164:165], v161
	v_add_u32_e32 v160, -1, v160
	s_add_i32 s14, s14, 8
	v_cmp_eq_u32_e32 vcc, 0, v160
	v_add_u32_e32 v159, 8, v159
	s_or_b64 s[6:7], vcc, s[6:7]
	s_waitcnt vmcnt(0) lgkmcnt(0)
	v_fmac_f64_e32 v[124:125], v[162:163], v[164:165]
	s_andn2_b64 exec, exec, s[6:7]
	s_cbranch_execnz .LBB124_283
; %bb.284:
	s_or_b64 exec, exec, s[6:7]
.LBB124_285:
	s_or_b64 exec, exec, s[12:13]
	v_mov_b32_e32 v159, 0
	ds_read_b64 v[160:161], v159 offset:248
	s_waitcnt lgkmcnt(0)
	v_mul_f64 v[124:125], v[124:125], v[160:161]
	buffer_store_dword v125, off, s[0:3], 0 offset:252
	buffer_store_dword v124, off, s[0:3], 0 offset:248
.LBB124_286:
	s_or_b64 exec, exec, s[10:11]
	buffer_load_dword v124, off, s[0:3], 0 offset:240
	buffer_load_dword v125, off, s[0:3], 0 offset:244
	v_cmp_lt_u32_e64 s[6:7], 30, v0
	s_waitcnt vmcnt(0)
	ds_write_b64 v126, v[124:125]
	s_waitcnt lgkmcnt(0)
	; wave barrier
	s_waitcnt lgkmcnt(0)
	s_and_saveexec_b64 s[10:11], s[6:7]
	s_cbranch_execz .LBB124_296
; %bb.287:
	s_andn2_b64 vcc, exec, s[8:9]
	s_cbranch_vccnz .LBB124_289
; %bb.288:
	buffer_load_dword v124, v127, s[0:3], 0 offen
	buffer_load_dword v125, v127, s[0:3], 0 offen offset:4
	ds_read_b64 v[160:161], v126
	s_waitcnt vmcnt(0) lgkmcnt(0)
	v_mul_f64 v[124:125], v[124:125], v[160:161]
	s_cbranch_execz .LBB124_290
	s_branch .LBB124_291
.LBB124_289:
                                        ; implicit-def: $vgpr124_vgpr125
.LBB124_290:
	ds_read_b64 v[124:125], v126
.LBB124_291:
	s_and_saveexec_b64 s[12:13], s[4:5]
	s_cbranch_execz .LBB124_295
; %bb.292:
	v_subrev_u32_e32 v159, 31, v0
	s_movk_i32 s14, 0x2e8
	s_mov_b64 s[4:5], 0
.LBB124_293:                            ; =>This Inner Loop Header: Depth=1
	buffer_load_dword v160, v158, s[0:3], 0 offen
	buffer_load_dword v161, v158, s[0:3], 0 offen offset:4
	v_mov_b32_e32 v162, s14
	ds_read_b64 v[162:163], v162
	v_add_u32_e32 v159, -1, v159
	s_add_i32 s14, s14, 8
	v_cmp_eq_u32_e32 vcc, 0, v159
	v_add_u32_e32 v158, 8, v158
	s_or_b64 s[4:5], vcc, s[4:5]
	s_waitcnt vmcnt(0) lgkmcnt(0)
	v_fmac_f64_e32 v[124:125], v[160:161], v[162:163]
	s_andn2_b64 exec, exec, s[4:5]
	s_cbranch_execnz .LBB124_293
; %bb.294:
	s_or_b64 exec, exec, s[4:5]
.LBB124_295:
	s_or_b64 exec, exec, s[12:13]
	v_mov_b32_e32 v158, 0
	ds_read_b64 v[158:159], v158 offset:240
	s_waitcnt lgkmcnt(0)
	v_mul_f64 v[124:125], v[124:125], v[158:159]
	buffer_store_dword v125, off, s[0:3], 0 offset:244
	buffer_store_dword v124, off, s[0:3], 0 offset:240
.LBB124_296:
	s_or_b64 exec, exec, s[10:11]
	buffer_load_dword v124, off, s[0:3], 0 offset:232
	buffer_load_dword v125, off, s[0:3], 0 offset:236
	v_cmp_lt_u32_e64 s[4:5], 29, v0
	s_waitcnt vmcnt(0)
	ds_write_b64 v126, v[124:125]
	s_waitcnt lgkmcnt(0)
	; wave barrier
	s_waitcnt lgkmcnt(0)
	s_and_saveexec_b64 s[10:11], s[4:5]
	s_cbranch_execz .LBB124_306
; %bb.297:
	s_andn2_b64 vcc, exec, s[8:9]
	s_cbranch_vccnz .LBB124_299
; %bb.298:
	buffer_load_dword v124, v127, s[0:3], 0 offen
	buffer_load_dword v125, v127, s[0:3], 0 offen offset:4
	ds_read_b64 v[158:159], v126
	s_waitcnt vmcnt(0) lgkmcnt(0)
	v_mul_f64 v[124:125], v[124:125], v[158:159]
	s_cbranch_execz .LBB124_300
	s_branch .LBB124_301
.LBB124_299:
                                        ; implicit-def: $vgpr124_vgpr125
.LBB124_300:
	ds_read_b64 v[124:125], v126
.LBB124_301:
	s_and_saveexec_b64 s[12:13], s[6:7]
	s_cbranch_execz .LBB124_305
; %bb.302:
	v_subrev_u32_e32 v158, 30, v0
	s_movk_i32 s14, 0x2e0
	s_mov_b64 s[6:7], 0
.LBB124_303:                            ; =>This Inner Loop Header: Depth=1
	buffer_load_dword v160, v157, s[0:3], 0 offen
	buffer_load_dword v161, v157, s[0:3], 0 offen offset:4
	v_mov_b32_e32 v159, s14
	ds_read_b64 v[162:163], v159
	v_add_u32_e32 v158, -1, v158
	s_add_i32 s14, s14, 8
	v_cmp_eq_u32_e32 vcc, 0, v158
	v_add_u32_e32 v157, 8, v157
	s_or_b64 s[6:7], vcc, s[6:7]
	s_waitcnt vmcnt(0) lgkmcnt(0)
	v_fmac_f64_e32 v[124:125], v[160:161], v[162:163]
	s_andn2_b64 exec, exec, s[6:7]
	s_cbranch_execnz .LBB124_303
; %bb.304:
	s_or_b64 exec, exec, s[6:7]
.LBB124_305:
	s_or_b64 exec, exec, s[12:13]
	v_mov_b32_e32 v157, 0
	ds_read_b64 v[158:159], v157 offset:232
	s_waitcnt lgkmcnt(0)
	v_mul_f64 v[124:125], v[124:125], v[158:159]
	buffer_store_dword v125, off, s[0:3], 0 offset:236
	buffer_store_dword v124, off, s[0:3], 0 offset:232
.LBB124_306:
	s_or_b64 exec, exec, s[10:11]
	buffer_load_dword v124, off, s[0:3], 0 offset:224
	buffer_load_dword v125, off, s[0:3], 0 offset:228
	v_cmp_lt_u32_e64 s[6:7], 28, v0
	s_waitcnt vmcnt(0)
	ds_write_b64 v126, v[124:125]
	s_waitcnt lgkmcnt(0)
	; wave barrier
	s_waitcnt lgkmcnt(0)
	s_and_saveexec_b64 s[10:11], s[6:7]
	s_cbranch_execz .LBB124_316
; %bb.307:
	s_andn2_b64 vcc, exec, s[8:9]
	s_cbranch_vccnz .LBB124_309
; %bb.308:
	buffer_load_dword v124, v127, s[0:3], 0 offen
	buffer_load_dword v125, v127, s[0:3], 0 offen offset:4
	ds_read_b64 v[158:159], v126
	s_waitcnt vmcnt(0) lgkmcnt(0)
	v_mul_f64 v[124:125], v[124:125], v[158:159]
	s_cbranch_execz .LBB124_310
	s_branch .LBB124_311
.LBB124_309:
                                        ; implicit-def: $vgpr124_vgpr125
.LBB124_310:
	ds_read_b64 v[124:125], v126
.LBB124_311:
	s_and_saveexec_b64 s[12:13], s[4:5]
	s_cbranch_execz .LBB124_315
; %bb.312:
	v_subrev_u32_e32 v157, 29, v0
	s_movk_i32 s14, 0x2d8
	s_mov_b64 s[4:5], 0
.LBB124_313:                            ; =>This Inner Loop Header: Depth=1
	buffer_load_dword v158, v156, s[0:3], 0 offen
	buffer_load_dword v159, v156, s[0:3], 0 offen offset:4
	v_mov_b32_e32 v160, s14
	ds_read_b64 v[160:161], v160
	v_add_u32_e32 v157, -1, v157
	s_add_i32 s14, s14, 8
	v_cmp_eq_u32_e32 vcc, 0, v157
	v_add_u32_e32 v156, 8, v156
	s_or_b64 s[4:5], vcc, s[4:5]
	s_waitcnt vmcnt(0) lgkmcnt(0)
	v_fmac_f64_e32 v[124:125], v[158:159], v[160:161]
	s_andn2_b64 exec, exec, s[4:5]
	s_cbranch_execnz .LBB124_313
; %bb.314:
	s_or_b64 exec, exec, s[4:5]
.LBB124_315:
	s_or_b64 exec, exec, s[12:13]
	v_mov_b32_e32 v156, 0
	ds_read_b64 v[156:157], v156 offset:224
	s_waitcnt lgkmcnt(0)
	v_mul_f64 v[124:125], v[124:125], v[156:157]
	buffer_store_dword v125, off, s[0:3], 0 offset:228
	buffer_store_dword v124, off, s[0:3], 0 offset:224
.LBB124_316:
	s_or_b64 exec, exec, s[10:11]
	buffer_load_dword v124, off, s[0:3], 0 offset:216
	buffer_load_dword v125, off, s[0:3], 0 offset:220
	v_cmp_lt_u32_e64 s[4:5], 27, v0
	s_waitcnt vmcnt(0)
	ds_write_b64 v126, v[124:125]
	s_waitcnt lgkmcnt(0)
	; wave barrier
	s_waitcnt lgkmcnt(0)
	s_and_saveexec_b64 s[10:11], s[4:5]
	s_cbranch_execz .LBB124_326
; %bb.317:
	s_andn2_b64 vcc, exec, s[8:9]
	s_cbranch_vccnz .LBB124_319
; %bb.318:
	buffer_load_dword v124, v127, s[0:3], 0 offen
	buffer_load_dword v125, v127, s[0:3], 0 offen offset:4
	ds_read_b64 v[156:157], v126
	s_waitcnt vmcnt(0) lgkmcnt(0)
	v_mul_f64 v[124:125], v[124:125], v[156:157]
	s_cbranch_execz .LBB124_320
	s_branch .LBB124_321
.LBB124_319:
                                        ; implicit-def: $vgpr124_vgpr125
.LBB124_320:
	ds_read_b64 v[124:125], v126
.LBB124_321:
	s_and_saveexec_b64 s[12:13], s[6:7]
	s_cbranch_execz .LBB124_325
; %bb.322:
	v_subrev_u32_e32 v156, 28, v0
	s_movk_i32 s14, 0x2d0
	s_mov_b64 s[6:7], 0
.LBB124_323:                            ; =>This Inner Loop Header: Depth=1
	buffer_load_dword v158, v155, s[0:3], 0 offen
	buffer_load_dword v159, v155, s[0:3], 0 offen offset:4
	v_mov_b32_e32 v157, s14
	ds_read_b64 v[160:161], v157
	v_add_u32_e32 v156, -1, v156
	s_add_i32 s14, s14, 8
	v_cmp_eq_u32_e32 vcc, 0, v156
	v_add_u32_e32 v155, 8, v155
	s_or_b64 s[6:7], vcc, s[6:7]
	s_waitcnt vmcnt(0) lgkmcnt(0)
	v_fmac_f64_e32 v[124:125], v[158:159], v[160:161]
	s_andn2_b64 exec, exec, s[6:7]
	s_cbranch_execnz .LBB124_323
; %bb.324:
	s_or_b64 exec, exec, s[6:7]
.LBB124_325:
	s_or_b64 exec, exec, s[12:13]
	v_mov_b32_e32 v155, 0
	ds_read_b64 v[156:157], v155 offset:216
	s_waitcnt lgkmcnt(0)
	v_mul_f64 v[124:125], v[124:125], v[156:157]
	buffer_store_dword v125, off, s[0:3], 0 offset:220
	buffer_store_dword v124, off, s[0:3], 0 offset:216
.LBB124_326:
	s_or_b64 exec, exec, s[10:11]
	buffer_load_dword v124, off, s[0:3], 0 offset:208
	buffer_load_dword v125, off, s[0:3], 0 offset:212
	v_cmp_lt_u32_e64 s[6:7], 26, v0
	s_waitcnt vmcnt(0)
	ds_write_b64 v126, v[124:125]
	s_waitcnt lgkmcnt(0)
	; wave barrier
	s_waitcnt lgkmcnt(0)
	s_and_saveexec_b64 s[10:11], s[6:7]
	s_cbranch_execz .LBB124_336
; %bb.327:
	s_andn2_b64 vcc, exec, s[8:9]
	s_cbranch_vccnz .LBB124_329
; %bb.328:
	buffer_load_dword v124, v127, s[0:3], 0 offen
	buffer_load_dword v125, v127, s[0:3], 0 offen offset:4
	ds_read_b64 v[156:157], v126
	s_waitcnt vmcnt(0) lgkmcnt(0)
	v_mul_f64 v[124:125], v[124:125], v[156:157]
	s_cbranch_execz .LBB124_330
	s_branch .LBB124_331
.LBB124_329:
                                        ; implicit-def: $vgpr124_vgpr125
.LBB124_330:
	ds_read_b64 v[124:125], v126
.LBB124_331:
	s_and_saveexec_b64 s[12:13], s[4:5]
	s_cbranch_execz .LBB124_335
; %bb.332:
	v_subrev_u32_e32 v155, 27, v0
	s_movk_i32 s14, 0x2c8
	s_mov_b64 s[4:5], 0
.LBB124_333:                            ; =>This Inner Loop Header: Depth=1
	buffer_load_dword v156, v154, s[0:3], 0 offen
	buffer_load_dword v157, v154, s[0:3], 0 offen offset:4
	v_mov_b32_e32 v158, s14
	ds_read_b64 v[158:159], v158
	v_add_u32_e32 v155, -1, v155
	s_add_i32 s14, s14, 8
	v_cmp_eq_u32_e32 vcc, 0, v155
	v_add_u32_e32 v154, 8, v154
	s_or_b64 s[4:5], vcc, s[4:5]
	s_waitcnt vmcnt(0) lgkmcnt(0)
	v_fmac_f64_e32 v[124:125], v[156:157], v[158:159]
	s_andn2_b64 exec, exec, s[4:5]
	s_cbranch_execnz .LBB124_333
; %bb.334:
	s_or_b64 exec, exec, s[4:5]
.LBB124_335:
	s_or_b64 exec, exec, s[12:13]
	v_mov_b32_e32 v154, 0
	ds_read_b64 v[154:155], v154 offset:208
	s_waitcnt lgkmcnt(0)
	v_mul_f64 v[124:125], v[124:125], v[154:155]
	buffer_store_dword v125, off, s[0:3], 0 offset:212
	buffer_store_dword v124, off, s[0:3], 0 offset:208
.LBB124_336:
	s_or_b64 exec, exec, s[10:11]
	buffer_load_dword v124, off, s[0:3], 0 offset:200
	buffer_load_dword v125, off, s[0:3], 0 offset:204
	v_cmp_lt_u32_e64 s[4:5], 25, v0
	s_waitcnt vmcnt(0)
	ds_write_b64 v126, v[124:125]
	s_waitcnt lgkmcnt(0)
	; wave barrier
	s_waitcnt lgkmcnt(0)
	s_and_saveexec_b64 s[10:11], s[4:5]
	s_cbranch_execz .LBB124_346
; %bb.337:
	s_andn2_b64 vcc, exec, s[8:9]
	s_cbranch_vccnz .LBB124_339
; %bb.338:
	buffer_load_dword v124, v127, s[0:3], 0 offen
	buffer_load_dword v125, v127, s[0:3], 0 offen offset:4
	ds_read_b64 v[154:155], v126
	s_waitcnt vmcnt(0) lgkmcnt(0)
	v_mul_f64 v[124:125], v[124:125], v[154:155]
	s_cbranch_execz .LBB124_340
	s_branch .LBB124_341
.LBB124_339:
                                        ; implicit-def: $vgpr124_vgpr125
.LBB124_340:
	ds_read_b64 v[124:125], v126
.LBB124_341:
	s_and_saveexec_b64 s[12:13], s[6:7]
	s_cbranch_execz .LBB124_345
; %bb.342:
	v_subrev_u32_e32 v154, 26, v0
	s_movk_i32 s14, 0x2c0
	s_mov_b64 s[6:7], 0
.LBB124_343:                            ; =>This Inner Loop Header: Depth=1
	buffer_load_dword v156, v153, s[0:3], 0 offen
	buffer_load_dword v157, v153, s[0:3], 0 offen offset:4
	v_mov_b32_e32 v155, s14
	ds_read_b64 v[158:159], v155
	v_add_u32_e32 v154, -1, v154
	s_add_i32 s14, s14, 8
	v_cmp_eq_u32_e32 vcc, 0, v154
	v_add_u32_e32 v153, 8, v153
	s_or_b64 s[6:7], vcc, s[6:7]
	s_waitcnt vmcnt(0) lgkmcnt(0)
	v_fmac_f64_e32 v[124:125], v[156:157], v[158:159]
	s_andn2_b64 exec, exec, s[6:7]
	s_cbranch_execnz .LBB124_343
; %bb.344:
	s_or_b64 exec, exec, s[6:7]
.LBB124_345:
	s_or_b64 exec, exec, s[12:13]
	v_mov_b32_e32 v153, 0
	ds_read_b64 v[154:155], v153 offset:200
	s_waitcnt lgkmcnt(0)
	v_mul_f64 v[124:125], v[124:125], v[154:155]
	buffer_store_dword v125, off, s[0:3], 0 offset:204
	buffer_store_dword v124, off, s[0:3], 0 offset:200
.LBB124_346:
	s_or_b64 exec, exec, s[10:11]
	buffer_load_dword v124, off, s[0:3], 0 offset:192
	buffer_load_dword v125, off, s[0:3], 0 offset:196
	v_cmp_lt_u32_e64 s[6:7], 24, v0
	s_waitcnt vmcnt(0)
	ds_write_b64 v126, v[124:125]
	s_waitcnt lgkmcnt(0)
	; wave barrier
	s_waitcnt lgkmcnt(0)
	s_and_saveexec_b64 s[10:11], s[6:7]
	s_cbranch_execz .LBB124_356
; %bb.347:
	s_andn2_b64 vcc, exec, s[8:9]
	s_cbranch_vccnz .LBB124_349
; %bb.348:
	buffer_load_dword v124, v127, s[0:3], 0 offen
	buffer_load_dword v125, v127, s[0:3], 0 offen offset:4
	ds_read_b64 v[154:155], v126
	s_waitcnt vmcnt(0) lgkmcnt(0)
	v_mul_f64 v[124:125], v[124:125], v[154:155]
	s_cbranch_execz .LBB124_350
	s_branch .LBB124_351
.LBB124_349:
                                        ; implicit-def: $vgpr124_vgpr125
.LBB124_350:
	ds_read_b64 v[124:125], v126
.LBB124_351:
	s_and_saveexec_b64 s[12:13], s[4:5]
	s_cbranch_execz .LBB124_355
; %bb.352:
	v_subrev_u32_e32 v153, 25, v0
	s_movk_i32 s14, 0x2b8
	s_mov_b64 s[4:5], 0
.LBB124_353:                            ; =>This Inner Loop Header: Depth=1
	buffer_load_dword v154, v152, s[0:3], 0 offen
	buffer_load_dword v155, v152, s[0:3], 0 offen offset:4
	v_mov_b32_e32 v156, s14
	ds_read_b64 v[156:157], v156
	v_add_u32_e32 v153, -1, v153
	s_add_i32 s14, s14, 8
	v_cmp_eq_u32_e32 vcc, 0, v153
	v_add_u32_e32 v152, 8, v152
	s_or_b64 s[4:5], vcc, s[4:5]
	s_waitcnt vmcnt(0) lgkmcnt(0)
	v_fmac_f64_e32 v[124:125], v[154:155], v[156:157]
	s_andn2_b64 exec, exec, s[4:5]
	s_cbranch_execnz .LBB124_353
; %bb.354:
	s_or_b64 exec, exec, s[4:5]
.LBB124_355:
	s_or_b64 exec, exec, s[12:13]
	v_mov_b32_e32 v152, 0
	ds_read_b64 v[152:153], v152 offset:192
	s_waitcnt lgkmcnt(0)
	v_mul_f64 v[124:125], v[124:125], v[152:153]
	buffer_store_dword v125, off, s[0:3], 0 offset:196
	buffer_store_dword v124, off, s[0:3], 0 offset:192
.LBB124_356:
	s_or_b64 exec, exec, s[10:11]
	buffer_load_dword v124, off, s[0:3], 0 offset:184
	buffer_load_dword v125, off, s[0:3], 0 offset:188
	v_cmp_lt_u32_e64 s[4:5], 23, v0
	s_waitcnt vmcnt(0)
	ds_write_b64 v126, v[124:125]
	s_waitcnt lgkmcnt(0)
	; wave barrier
	s_waitcnt lgkmcnt(0)
	s_and_saveexec_b64 s[10:11], s[4:5]
	s_cbranch_execz .LBB124_366
; %bb.357:
	s_andn2_b64 vcc, exec, s[8:9]
	s_cbranch_vccnz .LBB124_359
; %bb.358:
	buffer_load_dword v124, v127, s[0:3], 0 offen
	buffer_load_dword v125, v127, s[0:3], 0 offen offset:4
	ds_read_b64 v[152:153], v126
	s_waitcnt vmcnt(0) lgkmcnt(0)
	v_mul_f64 v[124:125], v[124:125], v[152:153]
	s_cbranch_execz .LBB124_360
	s_branch .LBB124_361
.LBB124_359:
                                        ; implicit-def: $vgpr124_vgpr125
.LBB124_360:
	ds_read_b64 v[124:125], v126
.LBB124_361:
	s_and_saveexec_b64 s[12:13], s[6:7]
	s_cbranch_execz .LBB124_365
; %bb.362:
	v_subrev_u32_e32 v152, 24, v0
	s_movk_i32 s14, 0x2b0
	s_mov_b64 s[6:7], 0
.LBB124_363:                            ; =>This Inner Loop Header: Depth=1
	buffer_load_dword v154, v151, s[0:3], 0 offen
	buffer_load_dword v155, v151, s[0:3], 0 offen offset:4
	v_mov_b32_e32 v153, s14
	ds_read_b64 v[156:157], v153
	v_add_u32_e32 v152, -1, v152
	s_add_i32 s14, s14, 8
	v_cmp_eq_u32_e32 vcc, 0, v152
	v_add_u32_e32 v151, 8, v151
	s_or_b64 s[6:7], vcc, s[6:7]
	s_waitcnt vmcnt(0) lgkmcnt(0)
	v_fmac_f64_e32 v[124:125], v[154:155], v[156:157]
	s_andn2_b64 exec, exec, s[6:7]
	s_cbranch_execnz .LBB124_363
; %bb.364:
	s_or_b64 exec, exec, s[6:7]
.LBB124_365:
	s_or_b64 exec, exec, s[12:13]
	v_mov_b32_e32 v151, 0
	ds_read_b64 v[152:153], v151 offset:184
	s_waitcnt lgkmcnt(0)
	v_mul_f64 v[124:125], v[124:125], v[152:153]
	buffer_store_dword v125, off, s[0:3], 0 offset:188
	buffer_store_dword v124, off, s[0:3], 0 offset:184
.LBB124_366:
	s_or_b64 exec, exec, s[10:11]
	buffer_load_dword v124, off, s[0:3], 0 offset:176
	buffer_load_dword v125, off, s[0:3], 0 offset:180
	v_cmp_lt_u32_e64 s[6:7], 22, v0
	s_waitcnt vmcnt(0)
	ds_write_b64 v126, v[124:125]
	s_waitcnt lgkmcnt(0)
	; wave barrier
	s_waitcnt lgkmcnt(0)
	s_and_saveexec_b64 s[10:11], s[6:7]
	s_cbranch_execz .LBB124_376
; %bb.367:
	s_andn2_b64 vcc, exec, s[8:9]
	s_cbranch_vccnz .LBB124_369
; %bb.368:
	buffer_load_dword v124, v127, s[0:3], 0 offen
	buffer_load_dword v125, v127, s[0:3], 0 offen offset:4
	ds_read_b64 v[152:153], v126
	s_waitcnt vmcnt(0) lgkmcnt(0)
	v_mul_f64 v[124:125], v[124:125], v[152:153]
	s_cbranch_execz .LBB124_370
	s_branch .LBB124_371
.LBB124_369:
                                        ; implicit-def: $vgpr124_vgpr125
.LBB124_370:
	ds_read_b64 v[124:125], v126
.LBB124_371:
	s_and_saveexec_b64 s[12:13], s[4:5]
	s_cbranch_execz .LBB124_375
; %bb.372:
	v_subrev_u32_e32 v151, 23, v0
	s_movk_i32 s14, 0x2a8
	s_mov_b64 s[4:5], 0
.LBB124_373:                            ; =>This Inner Loop Header: Depth=1
	buffer_load_dword v152, v150, s[0:3], 0 offen
	buffer_load_dword v153, v150, s[0:3], 0 offen offset:4
	v_mov_b32_e32 v154, s14
	ds_read_b64 v[154:155], v154
	v_add_u32_e32 v151, -1, v151
	s_add_i32 s14, s14, 8
	v_cmp_eq_u32_e32 vcc, 0, v151
	v_add_u32_e32 v150, 8, v150
	s_or_b64 s[4:5], vcc, s[4:5]
	s_waitcnt vmcnt(0) lgkmcnt(0)
	v_fmac_f64_e32 v[124:125], v[152:153], v[154:155]
	s_andn2_b64 exec, exec, s[4:5]
	s_cbranch_execnz .LBB124_373
; %bb.374:
	s_or_b64 exec, exec, s[4:5]
.LBB124_375:
	s_or_b64 exec, exec, s[12:13]
	v_mov_b32_e32 v150, 0
	ds_read_b64 v[150:151], v150 offset:176
	s_waitcnt lgkmcnt(0)
	v_mul_f64 v[124:125], v[124:125], v[150:151]
	buffer_store_dword v125, off, s[0:3], 0 offset:180
	buffer_store_dword v124, off, s[0:3], 0 offset:176
.LBB124_376:
	s_or_b64 exec, exec, s[10:11]
	buffer_load_dword v124, off, s[0:3], 0 offset:168
	buffer_load_dword v125, off, s[0:3], 0 offset:172
	v_cmp_lt_u32_e64 s[4:5], 21, v0
	s_waitcnt vmcnt(0)
	ds_write_b64 v126, v[124:125]
	s_waitcnt lgkmcnt(0)
	; wave barrier
	s_waitcnt lgkmcnt(0)
	s_and_saveexec_b64 s[10:11], s[4:5]
	s_cbranch_execz .LBB124_386
; %bb.377:
	s_andn2_b64 vcc, exec, s[8:9]
	s_cbranch_vccnz .LBB124_379
; %bb.378:
	buffer_load_dword v124, v127, s[0:3], 0 offen
	buffer_load_dword v125, v127, s[0:3], 0 offen offset:4
	ds_read_b64 v[150:151], v126
	s_waitcnt vmcnt(0) lgkmcnt(0)
	v_mul_f64 v[124:125], v[124:125], v[150:151]
	s_cbranch_execz .LBB124_380
	s_branch .LBB124_381
.LBB124_379:
                                        ; implicit-def: $vgpr124_vgpr125
.LBB124_380:
	ds_read_b64 v[124:125], v126
.LBB124_381:
	s_and_saveexec_b64 s[12:13], s[6:7]
	s_cbranch_execz .LBB124_385
; %bb.382:
	v_subrev_u32_e32 v150, 22, v0
	s_movk_i32 s14, 0x2a0
	s_mov_b64 s[6:7], 0
.LBB124_383:                            ; =>This Inner Loop Header: Depth=1
	buffer_load_dword v152, v149, s[0:3], 0 offen
	buffer_load_dword v153, v149, s[0:3], 0 offen offset:4
	v_mov_b32_e32 v151, s14
	ds_read_b64 v[154:155], v151
	v_add_u32_e32 v150, -1, v150
	s_add_i32 s14, s14, 8
	v_cmp_eq_u32_e32 vcc, 0, v150
	v_add_u32_e32 v149, 8, v149
	s_or_b64 s[6:7], vcc, s[6:7]
	s_waitcnt vmcnt(0) lgkmcnt(0)
	v_fmac_f64_e32 v[124:125], v[152:153], v[154:155]
	s_andn2_b64 exec, exec, s[6:7]
	s_cbranch_execnz .LBB124_383
; %bb.384:
	s_or_b64 exec, exec, s[6:7]
.LBB124_385:
	s_or_b64 exec, exec, s[12:13]
	v_mov_b32_e32 v149, 0
	ds_read_b64 v[150:151], v149 offset:168
	s_waitcnt lgkmcnt(0)
	v_mul_f64 v[124:125], v[124:125], v[150:151]
	buffer_store_dword v125, off, s[0:3], 0 offset:172
	buffer_store_dword v124, off, s[0:3], 0 offset:168
.LBB124_386:
	s_or_b64 exec, exec, s[10:11]
	buffer_load_dword v124, off, s[0:3], 0 offset:160
	buffer_load_dword v125, off, s[0:3], 0 offset:164
	v_cmp_lt_u32_e64 s[6:7], 20, v0
	s_waitcnt vmcnt(0)
	ds_write_b64 v126, v[124:125]
	s_waitcnt lgkmcnt(0)
	; wave barrier
	s_waitcnt lgkmcnt(0)
	s_and_saveexec_b64 s[10:11], s[6:7]
	s_cbranch_execz .LBB124_396
; %bb.387:
	s_andn2_b64 vcc, exec, s[8:9]
	s_cbranch_vccnz .LBB124_389
; %bb.388:
	buffer_load_dword v124, v127, s[0:3], 0 offen
	buffer_load_dword v125, v127, s[0:3], 0 offen offset:4
	ds_read_b64 v[150:151], v126
	s_waitcnt vmcnt(0) lgkmcnt(0)
	v_mul_f64 v[124:125], v[124:125], v[150:151]
	s_cbranch_execz .LBB124_390
	s_branch .LBB124_391
.LBB124_389:
                                        ; implicit-def: $vgpr124_vgpr125
.LBB124_390:
	ds_read_b64 v[124:125], v126
.LBB124_391:
	s_and_saveexec_b64 s[12:13], s[4:5]
	s_cbranch_execz .LBB124_395
; %bb.392:
	v_subrev_u32_e32 v149, 21, v0
	s_movk_i32 s14, 0x298
	s_mov_b64 s[4:5], 0
.LBB124_393:                            ; =>This Inner Loop Header: Depth=1
	buffer_load_dword v150, v148, s[0:3], 0 offen
	buffer_load_dword v151, v148, s[0:3], 0 offen offset:4
	v_mov_b32_e32 v152, s14
	ds_read_b64 v[152:153], v152
	v_add_u32_e32 v149, -1, v149
	s_add_i32 s14, s14, 8
	v_cmp_eq_u32_e32 vcc, 0, v149
	v_add_u32_e32 v148, 8, v148
	s_or_b64 s[4:5], vcc, s[4:5]
	s_waitcnt vmcnt(0) lgkmcnt(0)
	v_fmac_f64_e32 v[124:125], v[150:151], v[152:153]
	s_andn2_b64 exec, exec, s[4:5]
	s_cbranch_execnz .LBB124_393
; %bb.394:
	s_or_b64 exec, exec, s[4:5]
.LBB124_395:
	s_or_b64 exec, exec, s[12:13]
	v_mov_b32_e32 v148, 0
	ds_read_b64 v[148:149], v148 offset:160
	s_waitcnt lgkmcnt(0)
	v_mul_f64 v[124:125], v[124:125], v[148:149]
	buffer_store_dword v125, off, s[0:3], 0 offset:164
	buffer_store_dword v124, off, s[0:3], 0 offset:160
.LBB124_396:
	s_or_b64 exec, exec, s[10:11]
	buffer_load_dword v124, off, s[0:3], 0 offset:152
	buffer_load_dword v125, off, s[0:3], 0 offset:156
	v_cmp_lt_u32_e64 s[4:5], 19, v0
	s_waitcnt vmcnt(0)
	ds_write_b64 v126, v[124:125]
	s_waitcnt lgkmcnt(0)
	; wave barrier
	s_waitcnt lgkmcnt(0)
	s_and_saveexec_b64 s[10:11], s[4:5]
	s_cbranch_execz .LBB124_406
; %bb.397:
	s_andn2_b64 vcc, exec, s[8:9]
	s_cbranch_vccnz .LBB124_399
; %bb.398:
	buffer_load_dword v124, v127, s[0:3], 0 offen
	buffer_load_dword v125, v127, s[0:3], 0 offen offset:4
	ds_read_b64 v[148:149], v126
	s_waitcnt vmcnt(0) lgkmcnt(0)
	v_mul_f64 v[124:125], v[124:125], v[148:149]
	s_cbranch_execz .LBB124_400
	s_branch .LBB124_401
.LBB124_399:
                                        ; implicit-def: $vgpr124_vgpr125
.LBB124_400:
	ds_read_b64 v[124:125], v126
.LBB124_401:
	s_and_saveexec_b64 s[12:13], s[6:7]
	s_cbranch_execz .LBB124_405
; %bb.402:
	v_subrev_u32_e32 v148, 20, v0
	s_movk_i32 s14, 0x290
	s_mov_b64 s[6:7], 0
.LBB124_403:                            ; =>This Inner Loop Header: Depth=1
	buffer_load_dword v150, v147, s[0:3], 0 offen
	buffer_load_dword v151, v147, s[0:3], 0 offen offset:4
	v_mov_b32_e32 v149, s14
	ds_read_b64 v[152:153], v149
	v_add_u32_e32 v148, -1, v148
	s_add_i32 s14, s14, 8
	v_cmp_eq_u32_e32 vcc, 0, v148
	v_add_u32_e32 v147, 8, v147
	s_or_b64 s[6:7], vcc, s[6:7]
	s_waitcnt vmcnt(0) lgkmcnt(0)
	v_fmac_f64_e32 v[124:125], v[150:151], v[152:153]
	s_andn2_b64 exec, exec, s[6:7]
	s_cbranch_execnz .LBB124_403
; %bb.404:
	s_or_b64 exec, exec, s[6:7]
.LBB124_405:
	s_or_b64 exec, exec, s[12:13]
	v_mov_b32_e32 v147, 0
	ds_read_b64 v[148:149], v147 offset:152
	s_waitcnt lgkmcnt(0)
	v_mul_f64 v[124:125], v[124:125], v[148:149]
	buffer_store_dword v125, off, s[0:3], 0 offset:156
	buffer_store_dword v124, off, s[0:3], 0 offset:152
.LBB124_406:
	s_or_b64 exec, exec, s[10:11]
	buffer_load_dword v124, off, s[0:3], 0 offset:144
	buffer_load_dword v125, off, s[0:3], 0 offset:148
	v_cmp_lt_u32_e64 s[6:7], 18, v0
	s_waitcnt vmcnt(0)
	ds_write_b64 v126, v[124:125]
	s_waitcnt lgkmcnt(0)
	; wave barrier
	s_waitcnt lgkmcnt(0)
	s_and_saveexec_b64 s[10:11], s[6:7]
	s_cbranch_execz .LBB124_416
; %bb.407:
	s_andn2_b64 vcc, exec, s[8:9]
	s_cbranch_vccnz .LBB124_409
; %bb.408:
	buffer_load_dword v124, v127, s[0:3], 0 offen
	buffer_load_dword v125, v127, s[0:3], 0 offen offset:4
	ds_read_b64 v[148:149], v126
	s_waitcnt vmcnt(0) lgkmcnt(0)
	v_mul_f64 v[124:125], v[124:125], v[148:149]
	s_cbranch_execz .LBB124_410
	s_branch .LBB124_411
.LBB124_409:
                                        ; implicit-def: $vgpr124_vgpr125
.LBB124_410:
	ds_read_b64 v[124:125], v126
.LBB124_411:
	s_and_saveexec_b64 s[12:13], s[4:5]
	s_cbranch_execz .LBB124_415
; %bb.412:
	v_subrev_u32_e32 v147, 19, v0
	s_movk_i32 s14, 0x288
	s_mov_b64 s[4:5], 0
.LBB124_413:                            ; =>This Inner Loop Header: Depth=1
	buffer_load_dword v148, v146, s[0:3], 0 offen
	buffer_load_dword v149, v146, s[0:3], 0 offen offset:4
	v_mov_b32_e32 v150, s14
	ds_read_b64 v[150:151], v150
	v_add_u32_e32 v147, -1, v147
	s_add_i32 s14, s14, 8
	v_cmp_eq_u32_e32 vcc, 0, v147
	v_add_u32_e32 v146, 8, v146
	s_or_b64 s[4:5], vcc, s[4:5]
	s_waitcnt vmcnt(0) lgkmcnt(0)
	v_fmac_f64_e32 v[124:125], v[148:149], v[150:151]
	s_andn2_b64 exec, exec, s[4:5]
	s_cbranch_execnz .LBB124_413
; %bb.414:
	s_or_b64 exec, exec, s[4:5]
.LBB124_415:
	s_or_b64 exec, exec, s[12:13]
	v_mov_b32_e32 v146, 0
	ds_read_b64 v[146:147], v146 offset:144
	s_waitcnt lgkmcnt(0)
	v_mul_f64 v[124:125], v[124:125], v[146:147]
	buffer_store_dword v125, off, s[0:3], 0 offset:148
	buffer_store_dword v124, off, s[0:3], 0 offset:144
.LBB124_416:
	s_or_b64 exec, exec, s[10:11]
	buffer_load_dword v124, off, s[0:3], 0 offset:136
	buffer_load_dword v125, off, s[0:3], 0 offset:140
	v_cmp_lt_u32_e64 s[4:5], 17, v0
	s_waitcnt vmcnt(0)
	ds_write_b64 v126, v[124:125]
	s_waitcnt lgkmcnt(0)
	; wave barrier
	s_waitcnt lgkmcnt(0)
	s_and_saveexec_b64 s[10:11], s[4:5]
	s_cbranch_execz .LBB124_426
; %bb.417:
	s_andn2_b64 vcc, exec, s[8:9]
	s_cbranch_vccnz .LBB124_419
; %bb.418:
	buffer_load_dword v124, v127, s[0:3], 0 offen
	buffer_load_dword v125, v127, s[0:3], 0 offen offset:4
	ds_read_b64 v[146:147], v126
	s_waitcnt vmcnt(0) lgkmcnt(0)
	v_mul_f64 v[124:125], v[124:125], v[146:147]
	s_cbranch_execz .LBB124_420
	s_branch .LBB124_421
.LBB124_419:
                                        ; implicit-def: $vgpr124_vgpr125
.LBB124_420:
	ds_read_b64 v[124:125], v126
.LBB124_421:
	s_and_saveexec_b64 s[12:13], s[6:7]
	s_cbranch_execz .LBB124_425
; %bb.422:
	v_subrev_u32_e32 v146, 18, v0
	s_movk_i32 s14, 0x280
	s_mov_b64 s[6:7], 0
.LBB124_423:                            ; =>This Inner Loop Header: Depth=1
	buffer_load_dword v148, v145, s[0:3], 0 offen
	buffer_load_dword v149, v145, s[0:3], 0 offen offset:4
	v_mov_b32_e32 v147, s14
	ds_read_b64 v[150:151], v147
	v_add_u32_e32 v146, -1, v146
	s_add_i32 s14, s14, 8
	v_cmp_eq_u32_e32 vcc, 0, v146
	v_add_u32_e32 v145, 8, v145
	s_or_b64 s[6:7], vcc, s[6:7]
	s_waitcnt vmcnt(0) lgkmcnt(0)
	v_fmac_f64_e32 v[124:125], v[148:149], v[150:151]
	s_andn2_b64 exec, exec, s[6:7]
	s_cbranch_execnz .LBB124_423
; %bb.424:
	s_or_b64 exec, exec, s[6:7]
.LBB124_425:
	s_or_b64 exec, exec, s[12:13]
	v_mov_b32_e32 v145, 0
	ds_read_b64 v[146:147], v145 offset:136
	s_waitcnt lgkmcnt(0)
	v_mul_f64 v[124:125], v[124:125], v[146:147]
	buffer_store_dword v125, off, s[0:3], 0 offset:140
	buffer_store_dword v124, off, s[0:3], 0 offset:136
.LBB124_426:
	s_or_b64 exec, exec, s[10:11]
	buffer_load_dword v124, off, s[0:3], 0 offset:128
	buffer_load_dword v125, off, s[0:3], 0 offset:132
	v_cmp_lt_u32_e64 s[6:7], 16, v0
	s_waitcnt vmcnt(0)
	ds_write_b64 v126, v[124:125]
	s_waitcnt lgkmcnt(0)
	; wave barrier
	s_waitcnt lgkmcnt(0)
	s_and_saveexec_b64 s[10:11], s[6:7]
	s_cbranch_execz .LBB124_436
; %bb.427:
	s_andn2_b64 vcc, exec, s[8:9]
	s_cbranch_vccnz .LBB124_429
; %bb.428:
	buffer_load_dword v124, v127, s[0:3], 0 offen
	buffer_load_dword v125, v127, s[0:3], 0 offen offset:4
	ds_read_b64 v[146:147], v126
	s_waitcnt vmcnt(0) lgkmcnt(0)
	v_mul_f64 v[124:125], v[124:125], v[146:147]
	s_cbranch_execz .LBB124_430
	s_branch .LBB124_431
.LBB124_429:
                                        ; implicit-def: $vgpr124_vgpr125
.LBB124_430:
	ds_read_b64 v[124:125], v126
.LBB124_431:
	s_and_saveexec_b64 s[12:13], s[4:5]
	s_cbranch_execz .LBB124_435
; %bb.432:
	v_subrev_u32_e32 v145, 17, v0
	s_movk_i32 s14, 0x278
	s_mov_b64 s[4:5], 0
.LBB124_433:                            ; =>This Inner Loop Header: Depth=1
	buffer_load_dword v146, v144, s[0:3], 0 offen
	buffer_load_dword v147, v144, s[0:3], 0 offen offset:4
	v_mov_b32_e32 v148, s14
	ds_read_b64 v[148:149], v148
	v_add_u32_e32 v145, -1, v145
	s_add_i32 s14, s14, 8
	v_cmp_eq_u32_e32 vcc, 0, v145
	v_add_u32_e32 v144, 8, v144
	s_or_b64 s[4:5], vcc, s[4:5]
	s_waitcnt vmcnt(0) lgkmcnt(0)
	v_fmac_f64_e32 v[124:125], v[146:147], v[148:149]
	s_andn2_b64 exec, exec, s[4:5]
	s_cbranch_execnz .LBB124_433
; %bb.434:
	s_or_b64 exec, exec, s[4:5]
.LBB124_435:
	s_or_b64 exec, exec, s[12:13]
	v_mov_b32_e32 v144, 0
	ds_read_b64 v[144:145], v144 offset:128
	s_waitcnt lgkmcnt(0)
	v_mul_f64 v[124:125], v[124:125], v[144:145]
	buffer_store_dword v125, off, s[0:3], 0 offset:132
	buffer_store_dword v124, off, s[0:3], 0 offset:128
.LBB124_436:
	s_or_b64 exec, exec, s[10:11]
	buffer_load_dword v124, off, s[0:3], 0 offset:120
	buffer_load_dword v125, off, s[0:3], 0 offset:124
	v_cmp_lt_u32_e64 s[4:5], 15, v0
	s_waitcnt vmcnt(0)
	ds_write_b64 v126, v[124:125]
	s_waitcnt lgkmcnt(0)
	; wave barrier
	s_waitcnt lgkmcnt(0)
	s_and_saveexec_b64 s[10:11], s[4:5]
	s_cbranch_execz .LBB124_446
; %bb.437:
	s_andn2_b64 vcc, exec, s[8:9]
	s_cbranch_vccnz .LBB124_439
; %bb.438:
	buffer_load_dword v124, v127, s[0:3], 0 offen
	buffer_load_dword v125, v127, s[0:3], 0 offen offset:4
	ds_read_b64 v[144:145], v126
	s_waitcnt vmcnt(0) lgkmcnt(0)
	v_mul_f64 v[124:125], v[124:125], v[144:145]
	s_cbranch_execz .LBB124_440
	s_branch .LBB124_441
.LBB124_439:
                                        ; implicit-def: $vgpr124_vgpr125
.LBB124_440:
	ds_read_b64 v[124:125], v126
.LBB124_441:
	s_and_saveexec_b64 s[12:13], s[6:7]
	s_cbranch_execz .LBB124_445
; %bb.442:
	v_add_u32_e32 v144, -16, v0
	s_movk_i32 s14, 0x270
	s_mov_b64 s[6:7], 0
.LBB124_443:                            ; =>This Inner Loop Header: Depth=1
	buffer_load_dword v146, v143, s[0:3], 0 offen
	buffer_load_dword v147, v143, s[0:3], 0 offen offset:4
	v_mov_b32_e32 v145, s14
	ds_read_b64 v[148:149], v145
	v_add_u32_e32 v144, -1, v144
	s_add_i32 s14, s14, 8
	v_cmp_eq_u32_e32 vcc, 0, v144
	v_add_u32_e32 v143, 8, v143
	s_or_b64 s[6:7], vcc, s[6:7]
	s_waitcnt vmcnt(0) lgkmcnt(0)
	v_fmac_f64_e32 v[124:125], v[146:147], v[148:149]
	s_andn2_b64 exec, exec, s[6:7]
	s_cbranch_execnz .LBB124_443
; %bb.444:
	s_or_b64 exec, exec, s[6:7]
.LBB124_445:
	s_or_b64 exec, exec, s[12:13]
	v_mov_b32_e32 v143, 0
	ds_read_b64 v[144:145], v143 offset:120
	s_waitcnt lgkmcnt(0)
	v_mul_f64 v[124:125], v[124:125], v[144:145]
	buffer_store_dword v125, off, s[0:3], 0 offset:124
	buffer_store_dword v124, off, s[0:3], 0 offset:120
.LBB124_446:
	s_or_b64 exec, exec, s[10:11]
	buffer_load_dword v124, off, s[0:3], 0 offset:112
	buffer_load_dword v125, off, s[0:3], 0 offset:116
	v_cmp_lt_u32_e64 s[6:7], 14, v0
	s_waitcnt vmcnt(0)
	ds_write_b64 v126, v[124:125]
	s_waitcnt lgkmcnt(0)
	; wave barrier
	s_waitcnt lgkmcnt(0)
	s_and_saveexec_b64 s[10:11], s[6:7]
	s_cbranch_execz .LBB124_456
; %bb.447:
	s_andn2_b64 vcc, exec, s[8:9]
	s_cbranch_vccnz .LBB124_449
; %bb.448:
	buffer_load_dword v124, v127, s[0:3], 0 offen
	buffer_load_dword v125, v127, s[0:3], 0 offen offset:4
	ds_read_b64 v[144:145], v126
	s_waitcnt vmcnt(0) lgkmcnt(0)
	v_mul_f64 v[124:125], v[124:125], v[144:145]
	s_cbranch_execz .LBB124_450
	s_branch .LBB124_451
.LBB124_449:
                                        ; implicit-def: $vgpr124_vgpr125
.LBB124_450:
	ds_read_b64 v[124:125], v126
.LBB124_451:
	s_and_saveexec_b64 s[12:13], s[4:5]
	s_cbranch_execz .LBB124_455
; %bb.452:
	v_add_u32_e32 v143, -15, v0
	s_movk_i32 s14, 0x268
	s_mov_b64 s[4:5], 0
.LBB124_453:                            ; =>This Inner Loop Header: Depth=1
	buffer_load_dword v144, v142, s[0:3], 0 offen
	buffer_load_dword v145, v142, s[0:3], 0 offen offset:4
	v_mov_b32_e32 v146, s14
	ds_read_b64 v[146:147], v146
	v_add_u32_e32 v143, -1, v143
	s_add_i32 s14, s14, 8
	v_cmp_eq_u32_e32 vcc, 0, v143
	v_add_u32_e32 v142, 8, v142
	s_or_b64 s[4:5], vcc, s[4:5]
	s_waitcnt vmcnt(0) lgkmcnt(0)
	v_fmac_f64_e32 v[124:125], v[144:145], v[146:147]
	s_andn2_b64 exec, exec, s[4:5]
	s_cbranch_execnz .LBB124_453
; %bb.454:
	s_or_b64 exec, exec, s[4:5]
.LBB124_455:
	s_or_b64 exec, exec, s[12:13]
	v_mov_b32_e32 v142, 0
	ds_read_b64 v[142:143], v142 offset:112
	s_waitcnt lgkmcnt(0)
	v_mul_f64 v[124:125], v[124:125], v[142:143]
	buffer_store_dword v125, off, s[0:3], 0 offset:116
	buffer_store_dword v124, off, s[0:3], 0 offset:112
.LBB124_456:
	;; [unrolled: 58-line block ×15, first 2 shown]
	s_or_b64 exec, exec, s[10:11]
	buffer_load_dword v124, off, s[0:3], 0
	buffer_load_dword v125, off, s[0:3], 0 offset:4
	v_cmp_ne_u32_e32 vcc, 0, v0
	s_waitcnt vmcnt(0)
	ds_write_b64 v126, v[124:125]
	s_waitcnt lgkmcnt(0)
	; wave barrier
	s_waitcnt lgkmcnt(0)
	s_and_saveexec_b64 s[6:7], vcc
	s_cbranch_execz .LBB124_596
; %bb.587:
	s_andn2_b64 vcc, exec, s[8:9]
	s_cbranch_vccnz .LBB124_589
; %bb.588:
	buffer_load_dword v124, v127, s[0:3], 0 offen
	buffer_load_dword v125, v127, s[0:3], 0 offen offset:4
	ds_read_b64 v[130:131], v126
	s_waitcnt vmcnt(0) lgkmcnt(0)
	v_mul_f64 v[124:125], v[124:125], v[130:131]
	s_cbranch_execz .LBB124_590
	s_branch .LBB124_591
.LBB124_589:
                                        ; implicit-def: $vgpr124_vgpr125
.LBB124_590:
	ds_read_b64 v[124:125], v126
.LBB124_591:
	s_and_saveexec_b64 s[10:11], s[4:5]
	s_cbranch_execz .LBB124_595
; %bb.592:
	v_add_u32_e32 v129, -1, v0
	s_movk_i32 s12, 0x1f8
	s_mov_b64 s[4:5], 0
.LBB124_593:                            ; =>This Inner Loop Header: Depth=1
	buffer_load_dword v130, v128, s[0:3], 0 offen
	buffer_load_dword v131, v128, s[0:3], 0 offen offset:4
	v_mov_b32_e32 v132, s12
	ds_read_b64 v[132:133], v132
	v_add_u32_e32 v129, -1, v129
	s_add_i32 s12, s12, 8
	v_cmp_eq_u32_e32 vcc, 0, v129
	v_add_u32_e32 v128, 8, v128
	s_or_b64 s[4:5], vcc, s[4:5]
	s_waitcnt vmcnt(0) lgkmcnt(0)
	v_fmac_f64_e32 v[124:125], v[130:131], v[132:133]
	s_andn2_b64 exec, exec, s[4:5]
	s_cbranch_execnz .LBB124_593
; %bb.594:
	s_or_b64 exec, exec, s[4:5]
.LBB124_595:
	s_or_b64 exec, exec, s[10:11]
	v_mov_b32_e32 v128, 0
	ds_read_b64 v[128:129], v128
	s_waitcnt lgkmcnt(0)
	v_mul_f64 v[124:125], v[124:125], v[128:129]
	buffer_store_dword v125, off, s[0:3], 0 offset:4
	buffer_store_dword v124, off, s[0:3], 0
.LBB124_596:
	s_or_b64 exec, exec, s[6:7]
	s_mov_b64 s[4:5], 0
.LBB124_597:
	s_and_b64 vcc, exec, s[4:5]
	s_cbranch_vccz .LBB124_1191
; %bb.598:
	buffer_load_dword v124, off, s[0:3], 0 offset:8
	buffer_load_dword v125, off, s[0:3], 0 offset:12
	v_cmp_eq_u32_e64 s[6:7], 0, v0
	s_waitcnt vmcnt(0)
	ds_write_b64 v126, v[124:125]
	s_waitcnt lgkmcnt(0)
	; wave barrier
	s_waitcnt lgkmcnt(0)
	s_and_saveexec_b64 s[4:5], s[6:7]
	s_cbranch_execz .LBB124_604
; %bb.599:
	s_and_b64 vcc, exec, s[8:9]
	s_cbranch_vccz .LBB124_601
; %bb.600:
	buffer_load_dword v124, v127, s[0:3], 0 offen
	buffer_load_dword v125, v127, s[0:3], 0 offen offset:4
	ds_read_b64 v[128:129], v126
	s_waitcnt vmcnt(0) lgkmcnt(0)
	v_mul_f64 v[124:125], v[124:125], v[128:129]
	s_cbranch_execz .LBB124_602
	s_branch .LBB124_603
.LBB124_601:
                                        ; implicit-def: $vgpr124_vgpr125
.LBB124_602:
	ds_read_b64 v[124:125], v126
.LBB124_603:
	v_mov_b32_e32 v128, 0
	ds_read_b64 v[128:129], v128 offset:8
	s_waitcnt lgkmcnt(0)
	v_mul_f64 v[124:125], v[124:125], v[128:129]
	buffer_store_dword v125, off, s[0:3], 0 offset:12
	buffer_store_dword v124, off, s[0:3], 0 offset:8
.LBB124_604:
	s_or_b64 exec, exec, s[4:5]
	buffer_load_dword v124, off, s[0:3], 0 offset:16
	buffer_load_dword v125, off, s[0:3], 0 offset:20
	v_cndmask_b32_e64 v128, 0, 1, s[8:9]
	v_cmp_gt_u32_e32 vcc, 2, v0
	v_cmp_ne_u32_e64 s[4:5], 1, v128
	s_waitcnt vmcnt(0)
	ds_write_b64 v126, v[124:125]
	s_waitcnt lgkmcnt(0)
	; wave barrier
	s_waitcnt lgkmcnt(0)
	s_and_saveexec_b64 s[8:9], vcc
	s_cbranch_execz .LBB124_612
; %bb.605:
	s_and_b64 vcc, exec, s[4:5]
	s_cbranch_vccnz .LBB124_607
; %bb.606:
	buffer_load_dword v124, v127, s[0:3], 0 offen
	buffer_load_dword v125, v127, s[0:3], 0 offen offset:4
	ds_read_b64 v[128:129], v126
	s_waitcnt vmcnt(0) lgkmcnt(0)
	v_mul_f64 v[124:125], v[124:125], v[128:129]
	s_cbranch_execz .LBB124_608
	s_branch .LBB124_609
.LBB124_607:
                                        ; implicit-def: $vgpr124_vgpr125
.LBB124_608:
	ds_read_b64 v[124:125], v126
.LBB124_609:
	s_and_saveexec_b64 s[10:11], s[6:7]
	s_cbranch_execz .LBB124_611
; %bb.610:
	buffer_load_dword v128, v127, s[0:3], 0 offen offset:8
	buffer_load_dword v129, v127, s[0:3], 0 offen offset:12
	ds_read_b64 v[130:131], v126 offset:8
	s_waitcnt vmcnt(0) lgkmcnt(0)
	v_fmac_f64_e32 v[124:125], v[128:129], v[130:131]
.LBB124_611:
	s_or_b64 exec, exec, s[10:11]
	v_mov_b32_e32 v128, 0
	ds_read_b64 v[128:129], v128 offset:16
	s_waitcnt lgkmcnt(0)
	v_mul_f64 v[124:125], v[124:125], v[128:129]
	buffer_store_dword v125, off, s[0:3], 0 offset:20
	buffer_store_dword v124, off, s[0:3], 0 offset:16
.LBB124_612:
	s_or_b64 exec, exec, s[8:9]
	buffer_load_dword v124, off, s[0:3], 0 offset:24
	buffer_load_dword v125, off, s[0:3], 0 offset:28
	v_cmp_gt_u32_e32 vcc, 3, v0
	s_waitcnt vmcnt(0)
	ds_write_b64 v126, v[124:125]
	s_waitcnt lgkmcnt(0)
	; wave barrier
	s_waitcnt lgkmcnt(0)
	s_and_saveexec_b64 s[8:9], vcc
	s_cbranch_execz .LBB124_620
; %bb.613:
	s_and_b64 vcc, exec, s[4:5]
	s_cbranch_vccnz .LBB124_615
; %bb.614:
	buffer_load_dword v124, v127, s[0:3], 0 offen
	buffer_load_dword v125, v127, s[0:3], 0 offen offset:4
	ds_read_b64 v[128:129], v126
	s_waitcnt vmcnt(0) lgkmcnt(0)
	v_mul_f64 v[124:125], v[124:125], v[128:129]
	s_cbranch_execz .LBB124_616
	s_branch .LBB124_617
.LBB124_615:
                                        ; implicit-def: $vgpr124_vgpr125
.LBB124_616:
	ds_read_b64 v[124:125], v126
.LBB124_617:
	v_cmp_ne_u32_e32 vcc, 2, v0
	s_and_saveexec_b64 s[10:11], vcc
	s_cbranch_execz .LBB124_619
; %bb.618:
	buffer_load_dword v129, v127, s[0:3], 0 offen offset:12
	buffer_load_dword v130, off, s[0:3], 0 offset:16
	buffer_load_dword v128, v127, s[0:3], 0 offen offset:8
	buffer_load_dword v131, off, s[0:3], 0 offset:20
	v_mov_b32_e32 v134, 0
	ds_read_b64 v[132:133], v126 offset:8
	ds_read_b64 v[134:135], v134 offset:512
	s_waitcnt vmcnt(1) lgkmcnt(1)
	v_fmac_f64_e32 v[124:125], v[128:129], v[132:133]
	s_waitcnt vmcnt(0) lgkmcnt(0)
	v_fma_f64 v[128:129], v[130:131], v[134:135], v[124:125]
	v_cndmask_b32_e64 v125, v125, v129, s[6:7]
	v_cndmask_b32_e64 v124, v124, v128, s[6:7]
.LBB124_619:
	s_or_b64 exec, exec, s[10:11]
	v_mov_b32_e32 v128, 0
	ds_read_b64 v[128:129], v128 offset:24
	s_waitcnt lgkmcnt(0)
	v_mul_f64 v[124:125], v[124:125], v[128:129]
	buffer_store_dword v125, off, s[0:3], 0 offset:28
	buffer_store_dword v124, off, s[0:3], 0 offset:24
.LBB124_620:
	s_or_b64 exec, exec, s[8:9]
	buffer_load_dword v124, off, s[0:3], 0 offset:32
	buffer_load_dword v125, off, s[0:3], 0 offset:36
	v_cmp_gt_u32_e32 vcc, 4, v0
	s_waitcnt vmcnt(0)
	ds_write_b64 v126, v[124:125]
	s_waitcnt lgkmcnt(0)
	; wave barrier
	s_waitcnt lgkmcnt(0)
	s_and_saveexec_b64 s[6:7], vcc
	s_cbranch_execz .LBB124_630
; %bb.621:
	s_and_b64 vcc, exec, s[4:5]
	s_cbranch_vccnz .LBB124_623
; %bb.622:
	buffer_load_dword v124, v127, s[0:3], 0 offen
	buffer_load_dword v125, v127, s[0:3], 0 offen offset:4
	ds_read_b64 v[128:129], v126
	s_waitcnt vmcnt(0) lgkmcnt(0)
	v_mul_f64 v[124:125], v[124:125], v[128:129]
	s_cbranch_execz .LBB124_624
	s_branch .LBB124_625
.LBB124_623:
                                        ; implicit-def: $vgpr124_vgpr125
.LBB124_624:
	ds_read_b64 v[124:125], v126
.LBB124_625:
	v_cmp_ne_u32_e32 vcc, 3, v0
	s_and_saveexec_b64 s[8:9], vcc
	s_cbranch_execz .LBB124_629
; %bb.626:
	v_mov_b32_e32 v129, 0
	v_add_u32_e32 v128, 0x1f8, v1
	v_add3_u32 v129, v1, v129, 8
	s_mov_b64 s[10:11], 0
	v_mov_b32_e32 v130, v0
.LBB124_627:                            ; =>This Inner Loop Header: Depth=1
	buffer_load_dword v132, v129, s[0:3], 0 offen
	buffer_load_dword v133, v129, s[0:3], 0 offen offset:4
	ds_read_b64 v[134:135], v128
	v_add_u32_e32 v130, 1, v130
	v_cmp_lt_u32_e32 vcc, 2, v130
	v_add_u32_e32 v128, 8, v128
	v_add_u32_e32 v129, 8, v129
	s_or_b64 s[10:11], vcc, s[10:11]
	s_waitcnt vmcnt(0) lgkmcnt(0)
	v_fmac_f64_e32 v[124:125], v[132:133], v[134:135]
	s_andn2_b64 exec, exec, s[10:11]
	s_cbranch_execnz .LBB124_627
; %bb.628:
	s_or_b64 exec, exec, s[10:11]
.LBB124_629:
	s_or_b64 exec, exec, s[8:9]
	v_mov_b32_e32 v128, 0
	ds_read_b64 v[128:129], v128 offset:32
	s_waitcnt lgkmcnt(0)
	v_mul_f64 v[124:125], v[124:125], v[128:129]
	buffer_store_dword v125, off, s[0:3], 0 offset:36
	buffer_store_dword v124, off, s[0:3], 0 offset:32
.LBB124_630:
	s_or_b64 exec, exec, s[6:7]
	buffer_load_dword v124, off, s[0:3], 0 offset:40
	buffer_load_dword v125, off, s[0:3], 0 offset:44
	v_cmp_gt_u32_e32 vcc, 5, v0
	s_waitcnt vmcnt(0)
	ds_write_b64 v126, v[124:125]
	s_waitcnt lgkmcnt(0)
	; wave barrier
	s_waitcnt lgkmcnt(0)
	s_and_saveexec_b64 s[6:7], vcc
	s_cbranch_execz .LBB124_640
; %bb.631:
	s_and_b64 vcc, exec, s[4:5]
	s_cbranch_vccnz .LBB124_633
; %bb.632:
	buffer_load_dword v124, v127, s[0:3], 0 offen
	buffer_load_dword v125, v127, s[0:3], 0 offen offset:4
	ds_read_b64 v[128:129], v126
	s_waitcnt vmcnt(0) lgkmcnt(0)
	v_mul_f64 v[124:125], v[124:125], v[128:129]
	s_cbranch_execz .LBB124_634
	s_branch .LBB124_635
.LBB124_633:
                                        ; implicit-def: $vgpr124_vgpr125
.LBB124_634:
	ds_read_b64 v[124:125], v126
.LBB124_635:
	v_cmp_ne_u32_e32 vcc, 4, v0
	s_and_saveexec_b64 s[8:9], vcc
	s_cbranch_execz .LBB124_639
; %bb.636:
	v_mov_b32_e32 v129, 0
	v_add_u32_e32 v128, 0x1f8, v1
	v_add3_u32 v129, v1, v129, 8
	s_mov_b64 s[10:11], 0
	v_mov_b32_e32 v130, v0
.LBB124_637:                            ; =>This Inner Loop Header: Depth=1
	buffer_load_dword v132, v129, s[0:3], 0 offen
	buffer_load_dword v133, v129, s[0:3], 0 offen offset:4
	ds_read_b64 v[134:135], v128
	v_add_u32_e32 v130, 1, v130
	v_cmp_lt_u32_e32 vcc, 3, v130
	v_add_u32_e32 v128, 8, v128
	v_add_u32_e32 v129, 8, v129
	s_or_b64 s[10:11], vcc, s[10:11]
	s_waitcnt vmcnt(0) lgkmcnt(0)
	v_fmac_f64_e32 v[124:125], v[132:133], v[134:135]
	s_andn2_b64 exec, exec, s[10:11]
	s_cbranch_execnz .LBB124_637
; %bb.638:
	s_or_b64 exec, exec, s[10:11]
.LBB124_639:
	s_or_b64 exec, exec, s[8:9]
	v_mov_b32_e32 v128, 0
	ds_read_b64 v[128:129], v128 offset:40
	s_waitcnt lgkmcnt(0)
	v_mul_f64 v[124:125], v[124:125], v[128:129]
	buffer_store_dword v125, off, s[0:3], 0 offset:44
	buffer_store_dword v124, off, s[0:3], 0 offset:40
.LBB124_640:
	s_or_b64 exec, exec, s[6:7]
	buffer_load_dword v124, off, s[0:3], 0 offset:48
	buffer_load_dword v125, off, s[0:3], 0 offset:52
	v_cmp_gt_u32_e32 vcc, 6, v0
	s_waitcnt vmcnt(0)
	ds_write_b64 v126, v[124:125]
	s_waitcnt lgkmcnt(0)
	; wave barrier
	s_waitcnt lgkmcnt(0)
	s_and_saveexec_b64 s[6:7], vcc
	s_cbranch_execz .LBB124_650
; %bb.641:
	s_and_b64 vcc, exec, s[4:5]
	s_cbranch_vccnz .LBB124_643
; %bb.642:
	buffer_load_dword v124, v127, s[0:3], 0 offen
	buffer_load_dword v125, v127, s[0:3], 0 offen offset:4
	ds_read_b64 v[128:129], v126
	s_waitcnt vmcnt(0) lgkmcnt(0)
	v_mul_f64 v[124:125], v[124:125], v[128:129]
	s_cbranch_execz .LBB124_644
	s_branch .LBB124_645
.LBB124_643:
                                        ; implicit-def: $vgpr124_vgpr125
.LBB124_644:
	ds_read_b64 v[124:125], v126
.LBB124_645:
	v_cmp_ne_u32_e32 vcc, 5, v0
	s_and_saveexec_b64 s[8:9], vcc
	s_cbranch_execz .LBB124_649
; %bb.646:
	v_mov_b32_e32 v129, 0
	v_add_u32_e32 v128, 0x1f8, v1
	v_add3_u32 v129, v1, v129, 8
	s_mov_b64 s[10:11], 0
	v_mov_b32_e32 v130, v0
.LBB124_647:                            ; =>This Inner Loop Header: Depth=1
	buffer_load_dword v132, v129, s[0:3], 0 offen
	buffer_load_dword v133, v129, s[0:3], 0 offen offset:4
	ds_read_b64 v[134:135], v128
	v_add_u32_e32 v130, 1, v130
	v_cmp_lt_u32_e32 vcc, 4, v130
	v_add_u32_e32 v128, 8, v128
	v_add_u32_e32 v129, 8, v129
	s_or_b64 s[10:11], vcc, s[10:11]
	s_waitcnt vmcnt(0) lgkmcnt(0)
	v_fmac_f64_e32 v[124:125], v[132:133], v[134:135]
	s_andn2_b64 exec, exec, s[10:11]
	s_cbranch_execnz .LBB124_647
; %bb.648:
	s_or_b64 exec, exec, s[10:11]
.LBB124_649:
	s_or_b64 exec, exec, s[8:9]
	v_mov_b32_e32 v128, 0
	ds_read_b64 v[128:129], v128 offset:48
	s_waitcnt lgkmcnt(0)
	v_mul_f64 v[124:125], v[124:125], v[128:129]
	buffer_store_dword v125, off, s[0:3], 0 offset:52
	buffer_store_dword v124, off, s[0:3], 0 offset:48
.LBB124_650:
	s_or_b64 exec, exec, s[6:7]
	buffer_load_dword v124, off, s[0:3], 0 offset:56
	buffer_load_dword v125, off, s[0:3], 0 offset:60
	v_cmp_gt_u32_e32 vcc, 7, v0
	s_waitcnt vmcnt(0)
	ds_write_b64 v126, v[124:125]
	s_waitcnt lgkmcnt(0)
	; wave barrier
	s_waitcnt lgkmcnt(0)
	s_and_saveexec_b64 s[6:7], vcc
	s_cbranch_execz .LBB124_660
; %bb.651:
	s_and_b64 vcc, exec, s[4:5]
	s_cbranch_vccnz .LBB124_653
; %bb.652:
	buffer_load_dword v124, v127, s[0:3], 0 offen
	buffer_load_dword v125, v127, s[0:3], 0 offen offset:4
	ds_read_b64 v[128:129], v126
	s_waitcnt vmcnt(0) lgkmcnt(0)
	v_mul_f64 v[124:125], v[124:125], v[128:129]
	s_cbranch_execz .LBB124_654
	s_branch .LBB124_655
.LBB124_653:
                                        ; implicit-def: $vgpr124_vgpr125
.LBB124_654:
	ds_read_b64 v[124:125], v126
.LBB124_655:
	v_cmp_ne_u32_e32 vcc, 6, v0
	s_and_saveexec_b64 s[8:9], vcc
	s_cbranch_execz .LBB124_659
; %bb.656:
	v_mov_b32_e32 v129, 0
	v_add_u32_e32 v128, 0x1f8, v1
	v_add3_u32 v129, v1, v129, 8
	s_mov_b64 s[10:11], 0
	v_mov_b32_e32 v130, v0
.LBB124_657:                            ; =>This Inner Loop Header: Depth=1
	buffer_load_dword v132, v129, s[0:3], 0 offen
	buffer_load_dword v133, v129, s[0:3], 0 offen offset:4
	ds_read_b64 v[134:135], v128
	v_add_u32_e32 v130, 1, v130
	v_cmp_lt_u32_e32 vcc, 5, v130
	v_add_u32_e32 v128, 8, v128
	v_add_u32_e32 v129, 8, v129
	s_or_b64 s[10:11], vcc, s[10:11]
	s_waitcnt vmcnt(0) lgkmcnt(0)
	v_fmac_f64_e32 v[124:125], v[132:133], v[134:135]
	s_andn2_b64 exec, exec, s[10:11]
	s_cbranch_execnz .LBB124_657
; %bb.658:
	s_or_b64 exec, exec, s[10:11]
.LBB124_659:
	s_or_b64 exec, exec, s[8:9]
	v_mov_b32_e32 v128, 0
	ds_read_b64 v[128:129], v128 offset:56
	s_waitcnt lgkmcnt(0)
	v_mul_f64 v[124:125], v[124:125], v[128:129]
	buffer_store_dword v125, off, s[0:3], 0 offset:60
	buffer_store_dword v124, off, s[0:3], 0 offset:56
.LBB124_660:
	s_or_b64 exec, exec, s[6:7]
	buffer_load_dword v124, off, s[0:3], 0 offset:64
	buffer_load_dword v125, off, s[0:3], 0 offset:68
	v_cmp_gt_u32_e32 vcc, 8, v0
	s_waitcnt vmcnt(0)
	ds_write_b64 v126, v[124:125]
	s_waitcnt lgkmcnt(0)
	; wave barrier
	s_waitcnt lgkmcnt(0)
	s_and_saveexec_b64 s[6:7], vcc
	s_cbranch_execz .LBB124_670
; %bb.661:
	s_and_b64 vcc, exec, s[4:5]
	s_cbranch_vccnz .LBB124_663
; %bb.662:
	buffer_load_dword v124, v127, s[0:3], 0 offen
	buffer_load_dword v125, v127, s[0:3], 0 offen offset:4
	ds_read_b64 v[128:129], v126
	s_waitcnt vmcnt(0) lgkmcnt(0)
	v_mul_f64 v[124:125], v[124:125], v[128:129]
	s_cbranch_execz .LBB124_664
	s_branch .LBB124_665
.LBB124_663:
                                        ; implicit-def: $vgpr124_vgpr125
.LBB124_664:
	ds_read_b64 v[124:125], v126
.LBB124_665:
	v_cmp_ne_u32_e32 vcc, 7, v0
	s_and_saveexec_b64 s[8:9], vcc
	s_cbranch_execz .LBB124_669
; %bb.666:
	v_mov_b32_e32 v129, 0
	v_add_u32_e32 v128, 0x1f8, v1
	v_add3_u32 v129, v1, v129, 8
	s_mov_b64 s[10:11], 0
	v_mov_b32_e32 v130, v0
.LBB124_667:                            ; =>This Inner Loop Header: Depth=1
	buffer_load_dword v132, v129, s[0:3], 0 offen
	buffer_load_dword v133, v129, s[0:3], 0 offen offset:4
	ds_read_b64 v[134:135], v128
	v_add_u32_e32 v130, 1, v130
	v_cmp_lt_u32_e32 vcc, 6, v130
	v_add_u32_e32 v128, 8, v128
	v_add_u32_e32 v129, 8, v129
	s_or_b64 s[10:11], vcc, s[10:11]
	s_waitcnt vmcnt(0) lgkmcnt(0)
	v_fmac_f64_e32 v[124:125], v[132:133], v[134:135]
	s_andn2_b64 exec, exec, s[10:11]
	s_cbranch_execnz .LBB124_667
; %bb.668:
	s_or_b64 exec, exec, s[10:11]
.LBB124_669:
	s_or_b64 exec, exec, s[8:9]
	v_mov_b32_e32 v128, 0
	ds_read_b64 v[128:129], v128 offset:64
	s_waitcnt lgkmcnt(0)
	v_mul_f64 v[124:125], v[124:125], v[128:129]
	buffer_store_dword v125, off, s[0:3], 0 offset:68
	buffer_store_dword v124, off, s[0:3], 0 offset:64
.LBB124_670:
	s_or_b64 exec, exec, s[6:7]
	buffer_load_dword v124, off, s[0:3], 0 offset:72
	buffer_load_dword v125, off, s[0:3], 0 offset:76
	v_cmp_gt_u32_e32 vcc, 9, v0
	s_waitcnt vmcnt(0)
	ds_write_b64 v126, v[124:125]
	s_waitcnt lgkmcnt(0)
	; wave barrier
	s_waitcnt lgkmcnt(0)
	s_and_saveexec_b64 s[6:7], vcc
	s_cbranch_execz .LBB124_680
; %bb.671:
	s_and_b64 vcc, exec, s[4:5]
	s_cbranch_vccnz .LBB124_673
; %bb.672:
	buffer_load_dword v124, v127, s[0:3], 0 offen
	buffer_load_dword v125, v127, s[0:3], 0 offen offset:4
	ds_read_b64 v[128:129], v126
	s_waitcnt vmcnt(0) lgkmcnt(0)
	v_mul_f64 v[124:125], v[124:125], v[128:129]
	s_cbranch_execz .LBB124_674
	s_branch .LBB124_675
.LBB124_673:
                                        ; implicit-def: $vgpr124_vgpr125
.LBB124_674:
	ds_read_b64 v[124:125], v126
.LBB124_675:
	v_cmp_ne_u32_e32 vcc, 8, v0
	s_and_saveexec_b64 s[8:9], vcc
	s_cbranch_execz .LBB124_679
; %bb.676:
	v_mov_b32_e32 v129, 0
	v_add_u32_e32 v128, 0x1f8, v1
	v_add3_u32 v129, v1, v129, 8
	s_mov_b64 s[10:11], 0
	v_mov_b32_e32 v130, v0
.LBB124_677:                            ; =>This Inner Loop Header: Depth=1
	buffer_load_dword v132, v129, s[0:3], 0 offen
	buffer_load_dword v133, v129, s[0:3], 0 offen offset:4
	ds_read_b64 v[134:135], v128
	v_add_u32_e32 v130, 1, v130
	v_cmp_lt_u32_e32 vcc, 7, v130
	v_add_u32_e32 v128, 8, v128
	v_add_u32_e32 v129, 8, v129
	s_or_b64 s[10:11], vcc, s[10:11]
	s_waitcnt vmcnt(0) lgkmcnt(0)
	v_fmac_f64_e32 v[124:125], v[132:133], v[134:135]
	s_andn2_b64 exec, exec, s[10:11]
	s_cbranch_execnz .LBB124_677
; %bb.678:
	s_or_b64 exec, exec, s[10:11]
.LBB124_679:
	s_or_b64 exec, exec, s[8:9]
	v_mov_b32_e32 v128, 0
	ds_read_b64 v[128:129], v128 offset:72
	s_waitcnt lgkmcnt(0)
	v_mul_f64 v[124:125], v[124:125], v[128:129]
	buffer_store_dword v125, off, s[0:3], 0 offset:76
	buffer_store_dword v124, off, s[0:3], 0 offset:72
.LBB124_680:
	s_or_b64 exec, exec, s[6:7]
	buffer_load_dword v124, off, s[0:3], 0 offset:80
	buffer_load_dword v125, off, s[0:3], 0 offset:84
	v_cmp_gt_u32_e32 vcc, 10, v0
	s_waitcnt vmcnt(0)
	ds_write_b64 v126, v[124:125]
	s_waitcnt lgkmcnt(0)
	; wave barrier
	s_waitcnt lgkmcnt(0)
	s_and_saveexec_b64 s[6:7], vcc
	s_cbranch_execz .LBB124_690
; %bb.681:
	s_and_b64 vcc, exec, s[4:5]
	s_cbranch_vccnz .LBB124_683
; %bb.682:
	buffer_load_dword v124, v127, s[0:3], 0 offen
	buffer_load_dword v125, v127, s[0:3], 0 offen offset:4
	ds_read_b64 v[128:129], v126
	s_waitcnt vmcnt(0) lgkmcnt(0)
	v_mul_f64 v[124:125], v[124:125], v[128:129]
	s_cbranch_execz .LBB124_684
	s_branch .LBB124_685
.LBB124_683:
                                        ; implicit-def: $vgpr124_vgpr125
.LBB124_684:
	ds_read_b64 v[124:125], v126
.LBB124_685:
	v_cmp_ne_u32_e32 vcc, 9, v0
	s_and_saveexec_b64 s[8:9], vcc
	s_cbranch_execz .LBB124_689
; %bb.686:
	v_mov_b32_e32 v129, 0
	v_add_u32_e32 v128, 0x1f8, v1
	v_add3_u32 v129, v1, v129, 8
	s_mov_b64 s[10:11], 0
	v_mov_b32_e32 v130, v0
.LBB124_687:                            ; =>This Inner Loop Header: Depth=1
	buffer_load_dword v132, v129, s[0:3], 0 offen
	buffer_load_dword v133, v129, s[0:3], 0 offen offset:4
	ds_read_b64 v[134:135], v128
	v_add_u32_e32 v130, 1, v130
	v_cmp_lt_u32_e32 vcc, 8, v130
	v_add_u32_e32 v128, 8, v128
	v_add_u32_e32 v129, 8, v129
	s_or_b64 s[10:11], vcc, s[10:11]
	s_waitcnt vmcnt(0) lgkmcnt(0)
	v_fmac_f64_e32 v[124:125], v[132:133], v[134:135]
	s_andn2_b64 exec, exec, s[10:11]
	s_cbranch_execnz .LBB124_687
; %bb.688:
	s_or_b64 exec, exec, s[10:11]
.LBB124_689:
	s_or_b64 exec, exec, s[8:9]
	v_mov_b32_e32 v128, 0
	ds_read_b64 v[128:129], v128 offset:80
	s_waitcnt lgkmcnt(0)
	v_mul_f64 v[124:125], v[124:125], v[128:129]
	buffer_store_dword v125, off, s[0:3], 0 offset:84
	buffer_store_dword v124, off, s[0:3], 0 offset:80
.LBB124_690:
	s_or_b64 exec, exec, s[6:7]
	buffer_load_dword v124, off, s[0:3], 0 offset:88
	buffer_load_dword v125, off, s[0:3], 0 offset:92
	v_cmp_gt_u32_e32 vcc, 11, v0
	s_waitcnt vmcnt(0)
	ds_write_b64 v126, v[124:125]
	s_waitcnt lgkmcnt(0)
	; wave barrier
	s_waitcnt lgkmcnt(0)
	s_and_saveexec_b64 s[6:7], vcc
	s_cbranch_execz .LBB124_700
; %bb.691:
	s_and_b64 vcc, exec, s[4:5]
	s_cbranch_vccnz .LBB124_693
; %bb.692:
	buffer_load_dword v124, v127, s[0:3], 0 offen
	buffer_load_dword v125, v127, s[0:3], 0 offen offset:4
	ds_read_b64 v[128:129], v126
	s_waitcnt vmcnt(0) lgkmcnt(0)
	v_mul_f64 v[124:125], v[124:125], v[128:129]
	s_cbranch_execz .LBB124_694
	s_branch .LBB124_695
.LBB124_693:
                                        ; implicit-def: $vgpr124_vgpr125
.LBB124_694:
	ds_read_b64 v[124:125], v126
.LBB124_695:
	v_cmp_ne_u32_e32 vcc, 10, v0
	s_and_saveexec_b64 s[8:9], vcc
	s_cbranch_execz .LBB124_699
; %bb.696:
	v_mov_b32_e32 v129, 0
	v_add_u32_e32 v128, 0x1f8, v1
	v_add3_u32 v129, v1, v129, 8
	s_mov_b64 s[10:11], 0
	v_mov_b32_e32 v130, v0
.LBB124_697:                            ; =>This Inner Loop Header: Depth=1
	buffer_load_dword v132, v129, s[0:3], 0 offen
	buffer_load_dword v133, v129, s[0:3], 0 offen offset:4
	ds_read_b64 v[134:135], v128
	v_add_u32_e32 v130, 1, v130
	v_cmp_lt_u32_e32 vcc, 9, v130
	v_add_u32_e32 v128, 8, v128
	v_add_u32_e32 v129, 8, v129
	s_or_b64 s[10:11], vcc, s[10:11]
	s_waitcnt vmcnt(0) lgkmcnt(0)
	v_fmac_f64_e32 v[124:125], v[132:133], v[134:135]
	s_andn2_b64 exec, exec, s[10:11]
	s_cbranch_execnz .LBB124_697
; %bb.698:
	s_or_b64 exec, exec, s[10:11]
.LBB124_699:
	s_or_b64 exec, exec, s[8:9]
	v_mov_b32_e32 v128, 0
	ds_read_b64 v[128:129], v128 offset:88
	s_waitcnt lgkmcnt(0)
	v_mul_f64 v[124:125], v[124:125], v[128:129]
	buffer_store_dword v125, off, s[0:3], 0 offset:92
	buffer_store_dword v124, off, s[0:3], 0 offset:88
.LBB124_700:
	s_or_b64 exec, exec, s[6:7]
	buffer_load_dword v124, off, s[0:3], 0 offset:96
	buffer_load_dword v125, off, s[0:3], 0 offset:100
	v_cmp_gt_u32_e32 vcc, 12, v0
	s_waitcnt vmcnt(0)
	ds_write_b64 v126, v[124:125]
	s_waitcnt lgkmcnt(0)
	; wave barrier
	s_waitcnt lgkmcnt(0)
	s_and_saveexec_b64 s[6:7], vcc
	s_cbranch_execz .LBB124_710
; %bb.701:
	s_and_b64 vcc, exec, s[4:5]
	s_cbranch_vccnz .LBB124_703
; %bb.702:
	buffer_load_dword v124, v127, s[0:3], 0 offen
	buffer_load_dword v125, v127, s[0:3], 0 offen offset:4
	ds_read_b64 v[128:129], v126
	s_waitcnt vmcnt(0) lgkmcnt(0)
	v_mul_f64 v[124:125], v[124:125], v[128:129]
	s_cbranch_execz .LBB124_704
	s_branch .LBB124_705
.LBB124_703:
                                        ; implicit-def: $vgpr124_vgpr125
.LBB124_704:
	ds_read_b64 v[124:125], v126
.LBB124_705:
	v_cmp_ne_u32_e32 vcc, 11, v0
	s_and_saveexec_b64 s[8:9], vcc
	s_cbranch_execz .LBB124_709
; %bb.706:
	v_mov_b32_e32 v129, 0
	v_add_u32_e32 v128, 0x1f8, v1
	v_add3_u32 v129, v1, v129, 8
	s_mov_b64 s[10:11], 0
	v_mov_b32_e32 v130, v0
.LBB124_707:                            ; =>This Inner Loop Header: Depth=1
	buffer_load_dword v132, v129, s[0:3], 0 offen
	buffer_load_dword v133, v129, s[0:3], 0 offen offset:4
	ds_read_b64 v[134:135], v128
	v_add_u32_e32 v130, 1, v130
	v_cmp_lt_u32_e32 vcc, 10, v130
	v_add_u32_e32 v128, 8, v128
	v_add_u32_e32 v129, 8, v129
	s_or_b64 s[10:11], vcc, s[10:11]
	s_waitcnt vmcnt(0) lgkmcnt(0)
	v_fmac_f64_e32 v[124:125], v[132:133], v[134:135]
	s_andn2_b64 exec, exec, s[10:11]
	s_cbranch_execnz .LBB124_707
; %bb.708:
	s_or_b64 exec, exec, s[10:11]
.LBB124_709:
	s_or_b64 exec, exec, s[8:9]
	v_mov_b32_e32 v128, 0
	ds_read_b64 v[128:129], v128 offset:96
	s_waitcnt lgkmcnt(0)
	v_mul_f64 v[124:125], v[124:125], v[128:129]
	buffer_store_dword v125, off, s[0:3], 0 offset:100
	buffer_store_dword v124, off, s[0:3], 0 offset:96
.LBB124_710:
	s_or_b64 exec, exec, s[6:7]
	buffer_load_dword v124, off, s[0:3], 0 offset:104
	buffer_load_dword v125, off, s[0:3], 0 offset:108
	v_cmp_gt_u32_e32 vcc, 13, v0
	s_waitcnt vmcnt(0)
	ds_write_b64 v126, v[124:125]
	s_waitcnt lgkmcnt(0)
	; wave barrier
	s_waitcnt lgkmcnt(0)
	s_and_saveexec_b64 s[6:7], vcc
	s_cbranch_execz .LBB124_720
; %bb.711:
	s_and_b64 vcc, exec, s[4:5]
	s_cbranch_vccnz .LBB124_713
; %bb.712:
	buffer_load_dword v124, v127, s[0:3], 0 offen
	buffer_load_dword v125, v127, s[0:3], 0 offen offset:4
	ds_read_b64 v[128:129], v126
	s_waitcnt vmcnt(0) lgkmcnt(0)
	v_mul_f64 v[124:125], v[124:125], v[128:129]
	s_cbranch_execz .LBB124_714
	s_branch .LBB124_715
.LBB124_713:
                                        ; implicit-def: $vgpr124_vgpr125
.LBB124_714:
	ds_read_b64 v[124:125], v126
.LBB124_715:
	v_cmp_ne_u32_e32 vcc, 12, v0
	s_and_saveexec_b64 s[8:9], vcc
	s_cbranch_execz .LBB124_719
; %bb.716:
	v_mov_b32_e32 v129, 0
	v_add_u32_e32 v128, 0x1f8, v1
	v_add3_u32 v129, v1, v129, 8
	s_mov_b64 s[10:11], 0
	v_mov_b32_e32 v130, v0
.LBB124_717:                            ; =>This Inner Loop Header: Depth=1
	buffer_load_dword v132, v129, s[0:3], 0 offen
	buffer_load_dword v133, v129, s[0:3], 0 offen offset:4
	ds_read_b64 v[134:135], v128
	v_add_u32_e32 v130, 1, v130
	v_cmp_lt_u32_e32 vcc, 11, v130
	v_add_u32_e32 v128, 8, v128
	v_add_u32_e32 v129, 8, v129
	s_or_b64 s[10:11], vcc, s[10:11]
	s_waitcnt vmcnt(0) lgkmcnt(0)
	v_fmac_f64_e32 v[124:125], v[132:133], v[134:135]
	s_andn2_b64 exec, exec, s[10:11]
	s_cbranch_execnz .LBB124_717
; %bb.718:
	s_or_b64 exec, exec, s[10:11]
.LBB124_719:
	s_or_b64 exec, exec, s[8:9]
	v_mov_b32_e32 v128, 0
	ds_read_b64 v[128:129], v128 offset:104
	s_waitcnt lgkmcnt(0)
	v_mul_f64 v[124:125], v[124:125], v[128:129]
	buffer_store_dword v125, off, s[0:3], 0 offset:108
	buffer_store_dword v124, off, s[0:3], 0 offset:104
.LBB124_720:
	s_or_b64 exec, exec, s[6:7]
	buffer_load_dword v124, off, s[0:3], 0 offset:112
	buffer_load_dword v125, off, s[0:3], 0 offset:116
	v_cmp_gt_u32_e32 vcc, 14, v0
	s_waitcnt vmcnt(0)
	ds_write_b64 v126, v[124:125]
	s_waitcnt lgkmcnt(0)
	; wave barrier
	s_waitcnt lgkmcnt(0)
	s_and_saveexec_b64 s[6:7], vcc
	s_cbranch_execz .LBB124_730
; %bb.721:
	s_and_b64 vcc, exec, s[4:5]
	s_cbranch_vccnz .LBB124_723
; %bb.722:
	buffer_load_dword v124, v127, s[0:3], 0 offen
	buffer_load_dword v125, v127, s[0:3], 0 offen offset:4
	ds_read_b64 v[128:129], v126
	s_waitcnt vmcnt(0) lgkmcnt(0)
	v_mul_f64 v[124:125], v[124:125], v[128:129]
	s_cbranch_execz .LBB124_724
	s_branch .LBB124_725
.LBB124_723:
                                        ; implicit-def: $vgpr124_vgpr125
.LBB124_724:
	ds_read_b64 v[124:125], v126
.LBB124_725:
	v_cmp_ne_u32_e32 vcc, 13, v0
	s_and_saveexec_b64 s[8:9], vcc
	s_cbranch_execz .LBB124_729
; %bb.726:
	v_mov_b32_e32 v129, 0
	v_add_u32_e32 v128, 0x1f8, v1
	v_add3_u32 v129, v1, v129, 8
	s_mov_b64 s[10:11], 0
	v_mov_b32_e32 v130, v0
.LBB124_727:                            ; =>This Inner Loop Header: Depth=1
	buffer_load_dword v132, v129, s[0:3], 0 offen
	buffer_load_dword v133, v129, s[0:3], 0 offen offset:4
	ds_read_b64 v[134:135], v128
	v_add_u32_e32 v130, 1, v130
	v_cmp_lt_u32_e32 vcc, 12, v130
	v_add_u32_e32 v128, 8, v128
	v_add_u32_e32 v129, 8, v129
	s_or_b64 s[10:11], vcc, s[10:11]
	s_waitcnt vmcnt(0) lgkmcnt(0)
	v_fmac_f64_e32 v[124:125], v[132:133], v[134:135]
	s_andn2_b64 exec, exec, s[10:11]
	s_cbranch_execnz .LBB124_727
; %bb.728:
	s_or_b64 exec, exec, s[10:11]
.LBB124_729:
	s_or_b64 exec, exec, s[8:9]
	v_mov_b32_e32 v128, 0
	ds_read_b64 v[128:129], v128 offset:112
	s_waitcnt lgkmcnt(0)
	v_mul_f64 v[124:125], v[124:125], v[128:129]
	buffer_store_dword v125, off, s[0:3], 0 offset:116
	buffer_store_dword v124, off, s[0:3], 0 offset:112
.LBB124_730:
	s_or_b64 exec, exec, s[6:7]
	buffer_load_dword v124, off, s[0:3], 0 offset:120
	buffer_load_dword v125, off, s[0:3], 0 offset:124
	v_cmp_gt_u32_e32 vcc, 15, v0
	s_waitcnt vmcnt(0)
	ds_write_b64 v126, v[124:125]
	s_waitcnt lgkmcnt(0)
	; wave barrier
	s_waitcnt lgkmcnt(0)
	s_and_saveexec_b64 s[6:7], vcc
	s_cbranch_execz .LBB124_740
; %bb.731:
	s_and_b64 vcc, exec, s[4:5]
	s_cbranch_vccnz .LBB124_733
; %bb.732:
	buffer_load_dword v124, v127, s[0:3], 0 offen
	buffer_load_dword v125, v127, s[0:3], 0 offen offset:4
	ds_read_b64 v[128:129], v126
	s_waitcnt vmcnt(0) lgkmcnt(0)
	v_mul_f64 v[124:125], v[124:125], v[128:129]
	s_cbranch_execz .LBB124_734
	s_branch .LBB124_735
.LBB124_733:
                                        ; implicit-def: $vgpr124_vgpr125
.LBB124_734:
	ds_read_b64 v[124:125], v126
.LBB124_735:
	v_cmp_ne_u32_e32 vcc, 14, v0
	s_and_saveexec_b64 s[8:9], vcc
	s_cbranch_execz .LBB124_739
; %bb.736:
	v_mov_b32_e32 v129, 0
	v_add_u32_e32 v128, 0x1f8, v1
	v_add3_u32 v129, v1, v129, 8
	s_mov_b64 s[10:11], 0
	v_mov_b32_e32 v130, v0
.LBB124_737:                            ; =>This Inner Loop Header: Depth=1
	buffer_load_dword v132, v129, s[0:3], 0 offen
	buffer_load_dword v133, v129, s[0:3], 0 offen offset:4
	ds_read_b64 v[134:135], v128
	v_add_u32_e32 v130, 1, v130
	v_cmp_lt_u32_e32 vcc, 13, v130
	v_add_u32_e32 v128, 8, v128
	v_add_u32_e32 v129, 8, v129
	s_or_b64 s[10:11], vcc, s[10:11]
	s_waitcnt vmcnt(0) lgkmcnt(0)
	v_fmac_f64_e32 v[124:125], v[132:133], v[134:135]
	s_andn2_b64 exec, exec, s[10:11]
	s_cbranch_execnz .LBB124_737
; %bb.738:
	s_or_b64 exec, exec, s[10:11]
.LBB124_739:
	s_or_b64 exec, exec, s[8:9]
	v_mov_b32_e32 v128, 0
	ds_read_b64 v[128:129], v128 offset:120
	s_waitcnt lgkmcnt(0)
	v_mul_f64 v[124:125], v[124:125], v[128:129]
	buffer_store_dword v125, off, s[0:3], 0 offset:124
	buffer_store_dword v124, off, s[0:3], 0 offset:120
.LBB124_740:
	s_or_b64 exec, exec, s[6:7]
	buffer_load_dword v124, off, s[0:3], 0 offset:128
	buffer_load_dword v125, off, s[0:3], 0 offset:132
	v_cmp_gt_u32_e32 vcc, 16, v0
	s_waitcnt vmcnt(0)
	ds_write_b64 v126, v[124:125]
	s_waitcnt lgkmcnt(0)
	; wave barrier
	s_waitcnt lgkmcnt(0)
	s_and_saveexec_b64 s[6:7], vcc
	s_cbranch_execz .LBB124_750
; %bb.741:
	s_and_b64 vcc, exec, s[4:5]
	s_cbranch_vccnz .LBB124_743
; %bb.742:
	buffer_load_dword v124, v127, s[0:3], 0 offen
	buffer_load_dword v125, v127, s[0:3], 0 offen offset:4
	ds_read_b64 v[128:129], v126
	s_waitcnt vmcnt(0) lgkmcnt(0)
	v_mul_f64 v[124:125], v[124:125], v[128:129]
	s_cbranch_execz .LBB124_744
	s_branch .LBB124_745
.LBB124_743:
                                        ; implicit-def: $vgpr124_vgpr125
.LBB124_744:
	ds_read_b64 v[124:125], v126
.LBB124_745:
	v_cmp_ne_u32_e32 vcc, 15, v0
	s_and_saveexec_b64 s[8:9], vcc
	s_cbranch_execz .LBB124_749
; %bb.746:
	v_mov_b32_e32 v129, 0
	v_add_u32_e32 v128, 0x1f8, v1
	v_add3_u32 v129, v1, v129, 8
	s_mov_b64 s[10:11], 0
	v_mov_b32_e32 v130, v0
.LBB124_747:                            ; =>This Inner Loop Header: Depth=1
	buffer_load_dword v132, v129, s[0:3], 0 offen
	buffer_load_dword v133, v129, s[0:3], 0 offen offset:4
	ds_read_b64 v[134:135], v128
	v_add_u32_e32 v130, 1, v130
	v_cmp_lt_u32_e32 vcc, 14, v130
	v_add_u32_e32 v128, 8, v128
	v_add_u32_e32 v129, 8, v129
	s_or_b64 s[10:11], vcc, s[10:11]
	s_waitcnt vmcnt(0) lgkmcnt(0)
	v_fmac_f64_e32 v[124:125], v[132:133], v[134:135]
	s_andn2_b64 exec, exec, s[10:11]
	s_cbranch_execnz .LBB124_747
; %bb.748:
	s_or_b64 exec, exec, s[10:11]
.LBB124_749:
	s_or_b64 exec, exec, s[8:9]
	v_mov_b32_e32 v128, 0
	ds_read_b64 v[128:129], v128 offset:128
	s_waitcnt lgkmcnt(0)
	v_mul_f64 v[124:125], v[124:125], v[128:129]
	buffer_store_dword v125, off, s[0:3], 0 offset:132
	buffer_store_dword v124, off, s[0:3], 0 offset:128
.LBB124_750:
	s_or_b64 exec, exec, s[6:7]
	buffer_load_dword v124, off, s[0:3], 0 offset:136
	buffer_load_dword v125, off, s[0:3], 0 offset:140
	v_cmp_gt_u32_e32 vcc, 17, v0
	s_waitcnt vmcnt(0)
	ds_write_b64 v126, v[124:125]
	s_waitcnt lgkmcnt(0)
	; wave barrier
	s_waitcnt lgkmcnt(0)
	s_and_saveexec_b64 s[6:7], vcc
	s_cbranch_execz .LBB124_760
; %bb.751:
	s_and_b64 vcc, exec, s[4:5]
	s_cbranch_vccnz .LBB124_753
; %bb.752:
	buffer_load_dword v124, v127, s[0:3], 0 offen
	buffer_load_dword v125, v127, s[0:3], 0 offen offset:4
	ds_read_b64 v[128:129], v126
	s_waitcnt vmcnt(0) lgkmcnt(0)
	v_mul_f64 v[124:125], v[124:125], v[128:129]
	s_cbranch_execz .LBB124_754
	s_branch .LBB124_755
.LBB124_753:
                                        ; implicit-def: $vgpr124_vgpr125
.LBB124_754:
	ds_read_b64 v[124:125], v126
.LBB124_755:
	v_cmp_ne_u32_e32 vcc, 16, v0
	s_and_saveexec_b64 s[8:9], vcc
	s_cbranch_execz .LBB124_759
; %bb.756:
	v_mov_b32_e32 v129, 0
	v_add_u32_e32 v128, 0x1f8, v1
	v_add3_u32 v129, v1, v129, 8
	s_mov_b64 s[10:11], 0
	v_mov_b32_e32 v130, v0
.LBB124_757:                            ; =>This Inner Loop Header: Depth=1
	buffer_load_dword v132, v129, s[0:3], 0 offen
	buffer_load_dword v133, v129, s[0:3], 0 offen offset:4
	ds_read_b64 v[134:135], v128
	v_add_u32_e32 v130, 1, v130
	v_cmp_lt_u32_e32 vcc, 15, v130
	v_add_u32_e32 v128, 8, v128
	v_add_u32_e32 v129, 8, v129
	s_or_b64 s[10:11], vcc, s[10:11]
	s_waitcnt vmcnt(0) lgkmcnt(0)
	v_fmac_f64_e32 v[124:125], v[132:133], v[134:135]
	s_andn2_b64 exec, exec, s[10:11]
	s_cbranch_execnz .LBB124_757
; %bb.758:
	s_or_b64 exec, exec, s[10:11]
.LBB124_759:
	s_or_b64 exec, exec, s[8:9]
	v_mov_b32_e32 v128, 0
	ds_read_b64 v[128:129], v128 offset:136
	s_waitcnt lgkmcnt(0)
	v_mul_f64 v[124:125], v[124:125], v[128:129]
	buffer_store_dword v125, off, s[0:3], 0 offset:140
	buffer_store_dword v124, off, s[0:3], 0 offset:136
.LBB124_760:
	s_or_b64 exec, exec, s[6:7]
	buffer_load_dword v124, off, s[0:3], 0 offset:144
	buffer_load_dword v125, off, s[0:3], 0 offset:148
	v_cmp_gt_u32_e32 vcc, 18, v0
	s_waitcnt vmcnt(0)
	ds_write_b64 v126, v[124:125]
	s_waitcnt lgkmcnt(0)
	; wave barrier
	s_waitcnt lgkmcnt(0)
	s_and_saveexec_b64 s[6:7], vcc
	s_cbranch_execz .LBB124_770
; %bb.761:
	s_and_b64 vcc, exec, s[4:5]
	s_cbranch_vccnz .LBB124_763
; %bb.762:
	buffer_load_dword v124, v127, s[0:3], 0 offen
	buffer_load_dword v125, v127, s[0:3], 0 offen offset:4
	ds_read_b64 v[128:129], v126
	s_waitcnt vmcnt(0) lgkmcnt(0)
	v_mul_f64 v[124:125], v[124:125], v[128:129]
	s_cbranch_execz .LBB124_764
	s_branch .LBB124_765
.LBB124_763:
                                        ; implicit-def: $vgpr124_vgpr125
.LBB124_764:
	ds_read_b64 v[124:125], v126
.LBB124_765:
	v_cmp_ne_u32_e32 vcc, 17, v0
	s_and_saveexec_b64 s[8:9], vcc
	s_cbranch_execz .LBB124_769
; %bb.766:
	v_mov_b32_e32 v129, 0
	v_add_u32_e32 v128, 0x1f8, v1
	v_add3_u32 v129, v1, v129, 8
	s_mov_b64 s[10:11], 0
	v_mov_b32_e32 v130, v0
.LBB124_767:                            ; =>This Inner Loop Header: Depth=1
	buffer_load_dword v132, v129, s[0:3], 0 offen
	buffer_load_dword v133, v129, s[0:3], 0 offen offset:4
	ds_read_b64 v[134:135], v128
	v_add_u32_e32 v130, 1, v130
	v_cmp_lt_u32_e32 vcc, 16, v130
	v_add_u32_e32 v128, 8, v128
	v_add_u32_e32 v129, 8, v129
	s_or_b64 s[10:11], vcc, s[10:11]
	s_waitcnt vmcnt(0) lgkmcnt(0)
	v_fmac_f64_e32 v[124:125], v[132:133], v[134:135]
	s_andn2_b64 exec, exec, s[10:11]
	s_cbranch_execnz .LBB124_767
; %bb.768:
	s_or_b64 exec, exec, s[10:11]
.LBB124_769:
	s_or_b64 exec, exec, s[8:9]
	v_mov_b32_e32 v128, 0
	ds_read_b64 v[128:129], v128 offset:144
	s_waitcnt lgkmcnt(0)
	v_mul_f64 v[124:125], v[124:125], v[128:129]
	buffer_store_dword v125, off, s[0:3], 0 offset:148
	buffer_store_dword v124, off, s[0:3], 0 offset:144
.LBB124_770:
	s_or_b64 exec, exec, s[6:7]
	buffer_load_dword v124, off, s[0:3], 0 offset:152
	buffer_load_dword v125, off, s[0:3], 0 offset:156
	v_cmp_gt_u32_e32 vcc, 19, v0
	s_waitcnt vmcnt(0)
	ds_write_b64 v126, v[124:125]
	s_waitcnt lgkmcnt(0)
	; wave barrier
	s_waitcnt lgkmcnt(0)
	s_and_saveexec_b64 s[6:7], vcc
	s_cbranch_execz .LBB124_780
; %bb.771:
	s_and_b64 vcc, exec, s[4:5]
	s_cbranch_vccnz .LBB124_773
; %bb.772:
	buffer_load_dword v124, v127, s[0:3], 0 offen
	buffer_load_dword v125, v127, s[0:3], 0 offen offset:4
	ds_read_b64 v[128:129], v126
	s_waitcnt vmcnt(0) lgkmcnt(0)
	v_mul_f64 v[124:125], v[124:125], v[128:129]
	s_cbranch_execz .LBB124_774
	s_branch .LBB124_775
.LBB124_773:
                                        ; implicit-def: $vgpr124_vgpr125
.LBB124_774:
	ds_read_b64 v[124:125], v126
.LBB124_775:
	v_cmp_ne_u32_e32 vcc, 18, v0
	s_and_saveexec_b64 s[8:9], vcc
	s_cbranch_execz .LBB124_779
; %bb.776:
	v_mov_b32_e32 v129, 0
	v_add_u32_e32 v128, 0x1f8, v1
	v_add3_u32 v129, v1, v129, 8
	s_mov_b64 s[10:11], 0
	v_mov_b32_e32 v130, v0
.LBB124_777:                            ; =>This Inner Loop Header: Depth=1
	buffer_load_dword v132, v129, s[0:3], 0 offen
	buffer_load_dword v133, v129, s[0:3], 0 offen offset:4
	ds_read_b64 v[134:135], v128
	v_add_u32_e32 v130, 1, v130
	v_cmp_lt_u32_e32 vcc, 17, v130
	v_add_u32_e32 v128, 8, v128
	v_add_u32_e32 v129, 8, v129
	s_or_b64 s[10:11], vcc, s[10:11]
	s_waitcnt vmcnt(0) lgkmcnt(0)
	v_fmac_f64_e32 v[124:125], v[132:133], v[134:135]
	s_andn2_b64 exec, exec, s[10:11]
	s_cbranch_execnz .LBB124_777
; %bb.778:
	s_or_b64 exec, exec, s[10:11]
.LBB124_779:
	s_or_b64 exec, exec, s[8:9]
	v_mov_b32_e32 v128, 0
	ds_read_b64 v[128:129], v128 offset:152
	s_waitcnt lgkmcnt(0)
	v_mul_f64 v[124:125], v[124:125], v[128:129]
	buffer_store_dword v125, off, s[0:3], 0 offset:156
	buffer_store_dword v124, off, s[0:3], 0 offset:152
.LBB124_780:
	s_or_b64 exec, exec, s[6:7]
	buffer_load_dword v124, off, s[0:3], 0 offset:160
	buffer_load_dword v125, off, s[0:3], 0 offset:164
	v_cmp_gt_u32_e32 vcc, 20, v0
	s_waitcnt vmcnt(0)
	ds_write_b64 v126, v[124:125]
	s_waitcnt lgkmcnt(0)
	; wave barrier
	s_waitcnt lgkmcnt(0)
	s_and_saveexec_b64 s[6:7], vcc
	s_cbranch_execz .LBB124_790
; %bb.781:
	s_and_b64 vcc, exec, s[4:5]
	s_cbranch_vccnz .LBB124_783
; %bb.782:
	buffer_load_dword v124, v127, s[0:3], 0 offen
	buffer_load_dword v125, v127, s[0:3], 0 offen offset:4
	ds_read_b64 v[128:129], v126
	s_waitcnt vmcnt(0) lgkmcnt(0)
	v_mul_f64 v[124:125], v[124:125], v[128:129]
	s_cbranch_execz .LBB124_784
	s_branch .LBB124_785
.LBB124_783:
                                        ; implicit-def: $vgpr124_vgpr125
.LBB124_784:
	ds_read_b64 v[124:125], v126
.LBB124_785:
	v_cmp_ne_u32_e32 vcc, 19, v0
	s_and_saveexec_b64 s[8:9], vcc
	s_cbranch_execz .LBB124_789
; %bb.786:
	v_mov_b32_e32 v129, 0
	v_add_u32_e32 v128, 0x1f8, v1
	v_add3_u32 v129, v1, v129, 8
	s_mov_b64 s[10:11], 0
	v_mov_b32_e32 v130, v0
.LBB124_787:                            ; =>This Inner Loop Header: Depth=1
	buffer_load_dword v132, v129, s[0:3], 0 offen
	buffer_load_dword v133, v129, s[0:3], 0 offen offset:4
	ds_read_b64 v[134:135], v128
	v_add_u32_e32 v130, 1, v130
	v_cmp_lt_u32_e32 vcc, 18, v130
	v_add_u32_e32 v128, 8, v128
	v_add_u32_e32 v129, 8, v129
	s_or_b64 s[10:11], vcc, s[10:11]
	s_waitcnt vmcnt(0) lgkmcnt(0)
	v_fmac_f64_e32 v[124:125], v[132:133], v[134:135]
	s_andn2_b64 exec, exec, s[10:11]
	s_cbranch_execnz .LBB124_787
; %bb.788:
	s_or_b64 exec, exec, s[10:11]
.LBB124_789:
	s_or_b64 exec, exec, s[8:9]
	v_mov_b32_e32 v128, 0
	ds_read_b64 v[128:129], v128 offset:160
	s_waitcnt lgkmcnt(0)
	v_mul_f64 v[124:125], v[124:125], v[128:129]
	buffer_store_dword v125, off, s[0:3], 0 offset:164
	buffer_store_dword v124, off, s[0:3], 0 offset:160
.LBB124_790:
	s_or_b64 exec, exec, s[6:7]
	buffer_load_dword v124, off, s[0:3], 0 offset:168
	buffer_load_dword v125, off, s[0:3], 0 offset:172
	v_cmp_gt_u32_e32 vcc, 21, v0
	s_waitcnt vmcnt(0)
	ds_write_b64 v126, v[124:125]
	s_waitcnt lgkmcnt(0)
	; wave barrier
	s_waitcnt lgkmcnt(0)
	s_and_saveexec_b64 s[6:7], vcc
	s_cbranch_execz .LBB124_800
; %bb.791:
	s_and_b64 vcc, exec, s[4:5]
	s_cbranch_vccnz .LBB124_793
; %bb.792:
	buffer_load_dword v124, v127, s[0:3], 0 offen
	buffer_load_dword v125, v127, s[0:3], 0 offen offset:4
	ds_read_b64 v[128:129], v126
	s_waitcnt vmcnt(0) lgkmcnt(0)
	v_mul_f64 v[124:125], v[124:125], v[128:129]
	s_cbranch_execz .LBB124_794
	s_branch .LBB124_795
.LBB124_793:
                                        ; implicit-def: $vgpr124_vgpr125
.LBB124_794:
	ds_read_b64 v[124:125], v126
.LBB124_795:
	v_cmp_ne_u32_e32 vcc, 20, v0
	s_and_saveexec_b64 s[8:9], vcc
	s_cbranch_execz .LBB124_799
; %bb.796:
	v_mov_b32_e32 v129, 0
	v_add_u32_e32 v128, 0x1f8, v1
	v_add3_u32 v129, v1, v129, 8
	s_mov_b64 s[10:11], 0
	v_mov_b32_e32 v130, v0
.LBB124_797:                            ; =>This Inner Loop Header: Depth=1
	buffer_load_dword v132, v129, s[0:3], 0 offen
	buffer_load_dword v133, v129, s[0:3], 0 offen offset:4
	ds_read_b64 v[134:135], v128
	v_add_u32_e32 v130, 1, v130
	v_cmp_lt_u32_e32 vcc, 19, v130
	v_add_u32_e32 v128, 8, v128
	v_add_u32_e32 v129, 8, v129
	s_or_b64 s[10:11], vcc, s[10:11]
	s_waitcnt vmcnt(0) lgkmcnt(0)
	v_fmac_f64_e32 v[124:125], v[132:133], v[134:135]
	s_andn2_b64 exec, exec, s[10:11]
	s_cbranch_execnz .LBB124_797
; %bb.798:
	s_or_b64 exec, exec, s[10:11]
.LBB124_799:
	s_or_b64 exec, exec, s[8:9]
	v_mov_b32_e32 v128, 0
	ds_read_b64 v[128:129], v128 offset:168
	s_waitcnt lgkmcnt(0)
	v_mul_f64 v[124:125], v[124:125], v[128:129]
	buffer_store_dword v125, off, s[0:3], 0 offset:172
	buffer_store_dword v124, off, s[0:3], 0 offset:168
.LBB124_800:
	s_or_b64 exec, exec, s[6:7]
	buffer_load_dword v124, off, s[0:3], 0 offset:176
	buffer_load_dword v125, off, s[0:3], 0 offset:180
	v_cmp_gt_u32_e32 vcc, 22, v0
	s_waitcnt vmcnt(0)
	ds_write_b64 v126, v[124:125]
	s_waitcnt lgkmcnt(0)
	; wave barrier
	s_waitcnt lgkmcnt(0)
	s_and_saveexec_b64 s[6:7], vcc
	s_cbranch_execz .LBB124_810
; %bb.801:
	s_and_b64 vcc, exec, s[4:5]
	s_cbranch_vccnz .LBB124_803
; %bb.802:
	buffer_load_dword v124, v127, s[0:3], 0 offen
	buffer_load_dword v125, v127, s[0:3], 0 offen offset:4
	ds_read_b64 v[128:129], v126
	s_waitcnt vmcnt(0) lgkmcnt(0)
	v_mul_f64 v[124:125], v[124:125], v[128:129]
	s_cbranch_execz .LBB124_804
	s_branch .LBB124_805
.LBB124_803:
                                        ; implicit-def: $vgpr124_vgpr125
.LBB124_804:
	ds_read_b64 v[124:125], v126
.LBB124_805:
	v_cmp_ne_u32_e32 vcc, 21, v0
	s_and_saveexec_b64 s[8:9], vcc
	s_cbranch_execz .LBB124_809
; %bb.806:
	v_mov_b32_e32 v129, 0
	v_add_u32_e32 v128, 0x1f8, v1
	v_add3_u32 v129, v1, v129, 8
	s_mov_b64 s[10:11], 0
	v_mov_b32_e32 v130, v0
.LBB124_807:                            ; =>This Inner Loop Header: Depth=1
	buffer_load_dword v132, v129, s[0:3], 0 offen
	buffer_load_dword v133, v129, s[0:3], 0 offen offset:4
	ds_read_b64 v[134:135], v128
	v_add_u32_e32 v130, 1, v130
	v_cmp_lt_u32_e32 vcc, 20, v130
	v_add_u32_e32 v128, 8, v128
	v_add_u32_e32 v129, 8, v129
	s_or_b64 s[10:11], vcc, s[10:11]
	s_waitcnt vmcnt(0) lgkmcnt(0)
	v_fmac_f64_e32 v[124:125], v[132:133], v[134:135]
	s_andn2_b64 exec, exec, s[10:11]
	s_cbranch_execnz .LBB124_807
; %bb.808:
	s_or_b64 exec, exec, s[10:11]
.LBB124_809:
	s_or_b64 exec, exec, s[8:9]
	v_mov_b32_e32 v128, 0
	ds_read_b64 v[128:129], v128 offset:176
	s_waitcnt lgkmcnt(0)
	v_mul_f64 v[124:125], v[124:125], v[128:129]
	buffer_store_dword v125, off, s[0:3], 0 offset:180
	buffer_store_dword v124, off, s[0:3], 0 offset:176
.LBB124_810:
	s_or_b64 exec, exec, s[6:7]
	buffer_load_dword v124, off, s[0:3], 0 offset:184
	buffer_load_dword v125, off, s[0:3], 0 offset:188
	v_cmp_gt_u32_e32 vcc, 23, v0
	s_waitcnt vmcnt(0)
	ds_write_b64 v126, v[124:125]
	s_waitcnt lgkmcnt(0)
	; wave barrier
	s_waitcnt lgkmcnt(0)
	s_and_saveexec_b64 s[6:7], vcc
	s_cbranch_execz .LBB124_820
; %bb.811:
	s_and_b64 vcc, exec, s[4:5]
	s_cbranch_vccnz .LBB124_813
; %bb.812:
	buffer_load_dword v124, v127, s[0:3], 0 offen
	buffer_load_dword v125, v127, s[0:3], 0 offen offset:4
	ds_read_b64 v[128:129], v126
	s_waitcnt vmcnt(0) lgkmcnt(0)
	v_mul_f64 v[124:125], v[124:125], v[128:129]
	s_cbranch_execz .LBB124_814
	s_branch .LBB124_815
.LBB124_813:
                                        ; implicit-def: $vgpr124_vgpr125
.LBB124_814:
	ds_read_b64 v[124:125], v126
.LBB124_815:
	v_cmp_ne_u32_e32 vcc, 22, v0
	s_and_saveexec_b64 s[8:9], vcc
	s_cbranch_execz .LBB124_819
; %bb.816:
	v_mov_b32_e32 v129, 0
	v_add_u32_e32 v128, 0x1f8, v1
	v_add3_u32 v129, v1, v129, 8
	s_mov_b64 s[10:11], 0
	v_mov_b32_e32 v130, v0
.LBB124_817:                            ; =>This Inner Loop Header: Depth=1
	buffer_load_dword v132, v129, s[0:3], 0 offen
	buffer_load_dword v133, v129, s[0:3], 0 offen offset:4
	ds_read_b64 v[134:135], v128
	v_add_u32_e32 v130, 1, v130
	v_cmp_lt_u32_e32 vcc, 21, v130
	v_add_u32_e32 v128, 8, v128
	v_add_u32_e32 v129, 8, v129
	s_or_b64 s[10:11], vcc, s[10:11]
	s_waitcnt vmcnt(0) lgkmcnt(0)
	v_fmac_f64_e32 v[124:125], v[132:133], v[134:135]
	s_andn2_b64 exec, exec, s[10:11]
	s_cbranch_execnz .LBB124_817
; %bb.818:
	s_or_b64 exec, exec, s[10:11]
.LBB124_819:
	s_or_b64 exec, exec, s[8:9]
	v_mov_b32_e32 v128, 0
	ds_read_b64 v[128:129], v128 offset:184
	s_waitcnt lgkmcnt(0)
	v_mul_f64 v[124:125], v[124:125], v[128:129]
	buffer_store_dword v125, off, s[0:3], 0 offset:188
	buffer_store_dword v124, off, s[0:3], 0 offset:184
.LBB124_820:
	s_or_b64 exec, exec, s[6:7]
	buffer_load_dword v124, off, s[0:3], 0 offset:192
	buffer_load_dword v125, off, s[0:3], 0 offset:196
	v_cmp_gt_u32_e32 vcc, 24, v0
	s_waitcnt vmcnt(0)
	ds_write_b64 v126, v[124:125]
	s_waitcnt lgkmcnt(0)
	; wave barrier
	s_waitcnt lgkmcnt(0)
	s_and_saveexec_b64 s[6:7], vcc
	s_cbranch_execz .LBB124_830
; %bb.821:
	s_and_b64 vcc, exec, s[4:5]
	s_cbranch_vccnz .LBB124_823
; %bb.822:
	buffer_load_dword v124, v127, s[0:3], 0 offen
	buffer_load_dword v125, v127, s[0:3], 0 offen offset:4
	ds_read_b64 v[128:129], v126
	s_waitcnt vmcnt(0) lgkmcnt(0)
	v_mul_f64 v[124:125], v[124:125], v[128:129]
	s_cbranch_execz .LBB124_824
	s_branch .LBB124_825
.LBB124_823:
                                        ; implicit-def: $vgpr124_vgpr125
.LBB124_824:
	ds_read_b64 v[124:125], v126
.LBB124_825:
	v_cmp_ne_u32_e32 vcc, 23, v0
	s_and_saveexec_b64 s[8:9], vcc
	s_cbranch_execz .LBB124_829
; %bb.826:
	v_mov_b32_e32 v129, 0
	v_add_u32_e32 v128, 0x1f8, v1
	v_add3_u32 v129, v1, v129, 8
	s_mov_b64 s[10:11], 0
	v_mov_b32_e32 v130, v0
.LBB124_827:                            ; =>This Inner Loop Header: Depth=1
	buffer_load_dword v132, v129, s[0:3], 0 offen
	buffer_load_dword v133, v129, s[0:3], 0 offen offset:4
	ds_read_b64 v[134:135], v128
	v_add_u32_e32 v130, 1, v130
	v_cmp_lt_u32_e32 vcc, 22, v130
	v_add_u32_e32 v128, 8, v128
	v_add_u32_e32 v129, 8, v129
	s_or_b64 s[10:11], vcc, s[10:11]
	s_waitcnt vmcnt(0) lgkmcnt(0)
	v_fmac_f64_e32 v[124:125], v[132:133], v[134:135]
	s_andn2_b64 exec, exec, s[10:11]
	s_cbranch_execnz .LBB124_827
; %bb.828:
	s_or_b64 exec, exec, s[10:11]
.LBB124_829:
	s_or_b64 exec, exec, s[8:9]
	v_mov_b32_e32 v128, 0
	ds_read_b64 v[128:129], v128 offset:192
	s_waitcnt lgkmcnt(0)
	v_mul_f64 v[124:125], v[124:125], v[128:129]
	buffer_store_dword v125, off, s[0:3], 0 offset:196
	buffer_store_dword v124, off, s[0:3], 0 offset:192
.LBB124_830:
	s_or_b64 exec, exec, s[6:7]
	buffer_load_dword v124, off, s[0:3], 0 offset:200
	buffer_load_dword v125, off, s[0:3], 0 offset:204
	v_cmp_gt_u32_e32 vcc, 25, v0
	s_waitcnt vmcnt(0)
	ds_write_b64 v126, v[124:125]
	s_waitcnt lgkmcnt(0)
	; wave barrier
	s_waitcnt lgkmcnt(0)
	s_and_saveexec_b64 s[6:7], vcc
	s_cbranch_execz .LBB124_840
; %bb.831:
	s_and_b64 vcc, exec, s[4:5]
	s_cbranch_vccnz .LBB124_833
; %bb.832:
	buffer_load_dword v124, v127, s[0:3], 0 offen
	buffer_load_dword v125, v127, s[0:3], 0 offen offset:4
	ds_read_b64 v[128:129], v126
	s_waitcnt vmcnt(0) lgkmcnt(0)
	v_mul_f64 v[124:125], v[124:125], v[128:129]
	s_cbranch_execz .LBB124_834
	s_branch .LBB124_835
.LBB124_833:
                                        ; implicit-def: $vgpr124_vgpr125
.LBB124_834:
	ds_read_b64 v[124:125], v126
.LBB124_835:
	v_cmp_ne_u32_e32 vcc, 24, v0
	s_and_saveexec_b64 s[8:9], vcc
	s_cbranch_execz .LBB124_839
; %bb.836:
	v_mov_b32_e32 v129, 0
	v_add_u32_e32 v128, 0x1f8, v1
	v_add3_u32 v129, v1, v129, 8
	s_mov_b64 s[10:11], 0
	v_mov_b32_e32 v130, v0
.LBB124_837:                            ; =>This Inner Loop Header: Depth=1
	buffer_load_dword v132, v129, s[0:3], 0 offen
	buffer_load_dword v133, v129, s[0:3], 0 offen offset:4
	ds_read_b64 v[134:135], v128
	v_add_u32_e32 v130, 1, v130
	v_cmp_lt_u32_e32 vcc, 23, v130
	v_add_u32_e32 v128, 8, v128
	v_add_u32_e32 v129, 8, v129
	s_or_b64 s[10:11], vcc, s[10:11]
	s_waitcnt vmcnt(0) lgkmcnt(0)
	v_fmac_f64_e32 v[124:125], v[132:133], v[134:135]
	s_andn2_b64 exec, exec, s[10:11]
	s_cbranch_execnz .LBB124_837
; %bb.838:
	s_or_b64 exec, exec, s[10:11]
.LBB124_839:
	s_or_b64 exec, exec, s[8:9]
	v_mov_b32_e32 v128, 0
	ds_read_b64 v[128:129], v128 offset:200
	s_waitcnt lgkmcnt(0)
	v_mul_f64 v[124:125], v[124:125], v[128:129]
	buffer_store_dword v125, off, s[0:3], 0 offset:204
	buffer_store_dword v124, off, s[0:3], 0 offset:200
.LBB124_840:
	s_or_b64 exec, exec, s[6:7]
	buffer_load_dword v124, off, s[0:3], 0 offset:208
	buffer_load_dword v125, off, s[0:3], 0 offset:212
	v_cmp_gt_u32_e32 vcc, 26, v0
	s_waitcnt vmcnt(0)
	ds_write_b64 v126, v[124:125]
	s_waitcnt lgkmcnt(0)
	; wave barrier
	s_waitcnt lgkmcnt(0)
	s_and_saveexec_b64 s[6:7], vcc
	s_cbranch_execz .LBB124_850
; %bb.841:
	s_and_b64 vcc, exec, s[4:5]
	s_cbranch_vccnz .LBB124_843
; %bb.842:
	buffer_load_dword v124, v127, s[0:3], 0 offen
	buffer_load_dword v125, v127, s[0:3], 0 offen offset:4
	ds_read_b64 v[128:129], v126
	s_waitcnt vmcnt(0) lgkmcnt(0)
	v_mul_f64 v[124:125], v[124:125], v[128:129]
	s_cbranch_execz .LBB124_844
	s_branch .LBB124_845
.LBB124_843:
                                        ; implicit-def: $vgpr124_vgpr125
.LBB124_844:
	ds_read_b64 v[124:125], v126
.LBB124_845:
	v_cmp_ne_u32_e32 vcc, 25, v0
	s_and_saveexec_b64 s[8:9], vcc
	s_cbranch_execz .LBB124_849
; %bb.846:
	v_mov_b32_e32 v129, 0
	v_add_u32_e32 v128, 0x1f8, v1
	v_add3_u32 v129, v1, v129, 8
	s_mov_b64 s[10:11], 0
	v_mov_b32_e32 v130, v0
.LBB124_847:                            ; =>This Inner Loop Header: Depth=1
	buffer_load_dword v132, v129, s[0:3], 0 offen
	buffer_load_dword v133, v129, s[0:3], 0 offen offset:4
	ds_read_b64 v[134:135], v128
	v_add_u32_e32 v130, 1, v130
	v_cmp_lt_u32_e32 vcc, 24, v130
	v_add_u32_e32 v128, 8, v128
	v_add_u32_e32 v129, 8, v129
	s_or_b64 s[10:11], vcc, s[10:11]
	s_waitcnt vmcnt(0) lgkmcnt(0)
	v_fmac_f64_e32 v[124:125], v[132:133], v[134:135]
	s_andn2_b64 exec, exec, s[10:11]
	s_cbranch_execnz .LBB124_847
; %bb.848:
	s_or_b64 exec, exec, s[10:11]
.LBB124_849:
	s_or_b64 exec, exec, s[8:9]
	v_mov_b32_e32 v128, 0
	ds_read_b64 v[128:129], v128 offset:208
	s_waitcnt lgkmcnt(0)
	v_mul_f64 v[124:125], v[124:125], v[128:129]
	buffer_store_dword v125, off, s[0:3], 0 offset:212
	buffer_store_dword v124, off, s[0:3], 0 offset:208
.LBB124_850:
	s_or_b64 exec, exec, s[6:7]
	buffer_load_dword v124, off, s[0:3], 0 offset:216
	buffer_load_dword v125, off, s[0:3], 0 offset:220
	v_cmp_gt_u32_e32 vcc, 27, v0
	s_waitcnt vmcnt(0)
	ds_write_b64 v126, v[124:125]
	s_waitcnt lgkmcnt(0)
	; wave barrier
	s_waitcnt lgkmcnt(0)
	s_and_saveexec_b64 s[6:7], vcc
	s_cbranch_execz .LBB124_860
; %bb.851:
	s_and_b64 vcc, exec, s[4:5]
	s_cbranch_vccnz .LBB124_853
; %bb.852:
	buffer_load_dword v124, v127, s[0:3], 0 offen
	buffer_load_dword v125, v127, s[0:3], 0 offen offset:4
	ds_read_b64 v[128:129], v126
	s_waitcnt vmcnt(0) lgkmcnt(0)
	v_mul_f64 v[124:125], v[124:125], v[128:129]
	s_cbranch_execz .LBB124_854
	s_branch .LBB124_855
.LBB124_853:
                                        ; implicit-def: $vgpr124_vgpr125
.LBB124_854:
	ds_read_b64 v[124:125], v126
.LBB124_855:
	v_cmp_ne_u32_e32 vcc, 26, v0
	s_and_saveexec_b64 s[8:9], vcc
	s_cbranch_execz .LBB124_859
; %bb.856:
	v_mov_b32_e32 v129, 0
	v_add_u32_e32 v128, 0x1f8, v1
	v_add3_u32 v129, v1, v129, 8
	s_mov_b64 s[10:11], 0
	v_mov_b32_e32 v130, v0
.LBB124_857:                            ; =>This Inner Loop Header: Depth=1
	buffer_load_dword v132, v129, s[0:3], 0 offen
	buffer_load_dword v133, v129, s[0:3], 0 offen offset:4
	ds_read_b64 v[134:135], v128
	v_add_u32_e32 v130, 1, v130
	v_cmp_lt_u32_e32 vcc, 25, v130
	v_add_u32_e32 v128, 8, v128
	v_add_u32_e32 v129, 8, v129
	s_or_b64 s[10:11], vcc, s[10:11]
	s_waitcnt vmcnt(0) lgkmcnt(0)
	v_fmac_f64_e32 v[124:125], v[132:133], v[134:135]
	s_andn2_b64 exec, exec, s[10:11]
	s_cbranch_execnz .LBB124_857
; %bb.858:
	s_or_b64 exec, exec, s[10:11]
.LBB124_859:
	s_or_b64 exec, exec, s[8:9]
	v_mov_b32_e32 v128, 0
	ds_read_b64 v[128:129], v128 offset:216
	s_waitcnt lgkmcnt(0)
	v_mul_f64 v[124:125], v[124:125], v[128:129]
	buffer_store_dword v125, off, s[0:3], 0 offset:220
	buffer_store_dword v124, off, s[0:3], 0 offset:216
.LBB124_860:
	s_or_b64 exec, exec, s[6:7]
	buffer_load_dword v124, off, s[0:3], 0 offset:224
	buffer_load_dword v125, off, s[0:3], 0 offset:228
	v_cmp_gt_u32_e32 vcc, 28, v0
	s_waitcnt vmcnt(0)
	ds_write_b64 v126, v[124:125]
	s_waitcnt lgkmcnt(0)
	; wave barrier
	s_waitcnt lgkmcnt(0)
	s_and_saveexec_b64 s[6:7], vcc
	s_cbranch_execz .LBB124_870
; %bb.861:
	s_and_b64 vcc, exec, s[4:5]
	s_cbranch_vccnz .LBB124_863
; %bb.862:
	buffer_load_dword v124, v127, s[0:3], 0 offen
	buffer_load_dword v125, v127, s[0:3], 0 offen offset:4
	ds_read_b64 v[128:129], v126
	s_waitcnt vmcnt(0) lgkmcnt(0)
	v_mul_f64 v[124:125], v[124:125], v[128:129]
	s_cbranch_execz .LBB124_864
	s_branch .LBB124_865
.LBB124_863:
                                        ; implicit-def: $vgpr124_vgpr125
.LBB124_864:
	ds_read_b64 v[124:125], v126
.LBB124_865:
	v_cmp_ne_u32_e32 vcc, 27, v0
	s_and_saveexec_b64 s[8:9], vcc
	s_cbranch_execz .LBB124_869
; %bb.866:
	v_mov_b32_e32 v129, 0
	v_add_u32_e32 v128, 0x1f8, v1
	v_add3_u32 v129, v1, v129, 8
	s_mov_b64 s[10:11], 0
	v_mov_b32_e32 v130, v0
.LBB124_867:                            ; =>This Inner Loop Header: Depth=1
	buffer_load_dword v132, v129, s[0:3], 0 offen
	buffer_load_dword v133, v129, s[0:3], 0 offen offset:4
	ds_read_b64 v[134:135], v128
	v_add_u32_e32 v130, 1, v130
	v_cmp_lt_u32_e32 vcc, 26, v130
	v_add_u32_e32 v128, 8, v128
	v_add_u32_e32 v129, 8, v129
	s_or_b64 s[10:11], vcc, s[10:11]
	s_waitcnt vmcnt(0) lgkmcnt(0)
	v_fmac_f64_e32 v[124:125], v[132:133], v[134:135]
	s_andn2_b64 exec, exec, s[10:11]
	s_cbranch_execnz .LBB124_867
; %bb.868:
	s_or_b64 exec, exec, s[10:11]
.LBB124_869:
	s_or_b64 exec, exec, s[8:9]
	v_mov_b32_e32 v128, 0
	ds_read_b64 v[128:129], v128 offset:224
	s_waitcnt lgkmcnt(0)
	v_mul_f64 v[124:125], v[124:125], v[128:129]
	buffer_store_dword v125, off, s[0:3], 0 offset:228
	buffer_store_dword v124, off, s[0:3], 0 offset:224
.LBB124_870:
	s_or_b64 exec, exec, s[6:7]
	buffer_load_dword v124, off, s[0:3], 0 offset:232
	buffer_load_dword v125, off, s[0:3], 0 offset:236
	v_cmp_gt_u32_e32 vcc, 29, v0
	s_waitcnt vmcnt(0)
	ds_write_b64 v126, v[124:125]
	s_waitcnt lgkmcnt(0)
	; wave barrier
	s_waitcnt lgkmcnt(0)
	s_and_saveexec_b64 s[6:7], vcc
	s_cbranch_execz .LBB124_880
; %bb.871:
	s_and_b64 vcc, exec, s[4:5]
	s_cbranch_vccnz .LBB124_873
; %bb.872:
	buffer_load_dword v124, v127, s[0:3], 0 offen
	buffer_load_dword v125, v127, s[0:3], 0 offen offset:4
	ds_read_b64 v[128:129], v126
	s_waitcnt vmcnt(0) lgkmcnt(0)
	v_mul_f64 v[124:125], v[124:125], v[128:129]
	s_cbranch_execz .LBB124_874
	s_branch .LBB124_875
.LBB124_873:
                                        ; implicit-def: $vgpr124_vgpr125
.LBB124_874:
	ds_read_b64 v[124:125], v126
.LBB124_875:
	v_cmp_ne_u32_e32 vcc, 28, v0
	s_and_saveexec_b64 s[8:9], vcc
	s_cbranch_execz .LBB124_879
; %bb.876:
	v_mov_b32_e32 v129, 0
	v_add_u32_e32 v128, 0x1f8, v1
	v_add3_u32 v129, v1, v129, 8
	s_mov_b64 s[10:11], 0
	v_mov_b32_e32 v130, v0
.LBB124_877:                            ; =>This Inner Loop Header: Depth=1
	buffer_load_dword v132, v129, s[0:3], 0 offen
	buffer_load_dword v133, v129, s[0:3], 0 offen offset:4
	ds_read_b64 v[134:135], v128
	v_add_u32_e32 v130, 1, v130
	v_cmp_lt_u32_e32 vcc, 27, v130
	v_add_u32_e32 v128, 8, v128
	v_add_u32_e32 v129, 8, v129
	s_or_b64 s[10:11], vcc, s[10:11]
	s_waitcnt vmcnt(0) lgkmcnt(0)
	v_fmac_f64_e32 v[124:125], v[132:133], v[134:135]
	s_andn2_b64 exec, exec, s[10:11]
	s_cbranch_execnz .LBB124_877
; %bb.878:
	s_or_b64 exec, exec, s[10:11]
.LBB124_879:
	s_or_b64 exec, exec, s[8:9]
	v_mov_b32_e32 v128, 0
	ds_read_b64 v[128:129], v128 offset:232
	s_waitcnt lgkmcnt(0)
	v_mul_f64 v[124:125], v[124:125], v[128:129]
	buffer_store_dword v125, off, s[0:3], 0 offset:236
	buffer_store_dword v124, off, s[0:3], 0 offset:232
.LBB124_880:
	s_or_b64 exec, exec, s[6:7]
	buffer_load_dword v124, off, s[0:3], 0 offset:240
	buffer_load_dword v125, off, s[0:3], 0 offset:244
	v_cmp_gt_u32_e32 vcc, 30, v0
	s_waitcnt vmcnt(0)
	ds_write_b64 v126, v[124:125]
	s_waitcnt lgkmcnt(0)
	; wave barrier
	s_waitcnt lgkmcnt(0)
	s_and_saveexec_b64 s[6:7], vcc
	s_cbranch_execz .LBB124_890
; %bb.881:
	s_and_b64 vcc, exec, s[4:5]
	s_cbranch_vccnz .LBB124_883
; %bb.882:
	buffer_load_dword v124, v127, s[0:3], 0 offen
	buffer_load_dword v125, v127, s[0:3], 0 offen offset:4
	ds_read_b64 v[128:129], v126
	s_waitcnt vmcnt(0) lgkmcnt(0)
	v_mul_f64 v[124:125], v[124:125], v[128:129]
	s_cbranch_execz .LBB124_884
	s_branch .LBB124_885
.LBB124_883:
                                        ; implicit-def: $vgpr124_vgpr125
.LBB124_884:
	ds_read_b64 v[124:125], v126
.LBB124_885:
	v_cmp_ne_u32_e32 vcc, 29, v0
	s_and_saveexec_b64 s[8:9], vcc
	s_cbranch_execz .LBB124_889
; %bb.886:
	v_mov_b32_e32 v129, 0
	v_add_u32_e32 v128, 0x1f8, v1
	v_add3_u32 v129, v1, v129, 8
	s_mov_b64 s[10:11], 0
	v_mov_b32_e32 v130, v0
.LBB124_887:                            ; =>This Inner Loop Header: Depth=1
	buffer_load_dword v132, v129, s[0:3], 0 offen
	buffer_load_dword v133, v129, s[0:3], 0 offen offset:4
	ds_read_b64 v[134:135], v128
	v_add_u32_e32 v130, 1, v130
	v_cmp_lt_u32_e32 vcc, 28, v130
	v_add_u32_e32 v128, 8, v128
	v_add_u32_e32 v129, 8, v129
	s_or_b64 s[10:11], vcc, s[10:11]
	s_waitcnt vmcnt(0) lgkmcnt(0)
	v_fmac_f64_e32 v[124:125], v[132:133], v[134:135]
	s_andn2_b64 exec, exec, s[10:11]
	s_cbranch_execnz .LBB124_887
; %bb.888:
	s_or_b64 exec, exec, s[10:11]
.LBB124_889:
	s_or_b64 exec, exec, s[8:9]
	v_mov_b32_e32 v128, 0
	ds_read_b64 v[128:129], v128 offset:240
	s_waitcnt lgkmcnt(0)
	v_mul_f64 v[124:125], v[124:125], v[128:129]
	buffer_store_dword v125, off, s[0:3], 0 offset:244
	buffer_store_dword v124, off, s[0:3], 0 offset:240
.LBB124_890:
	s_or_b64 exec, exec, s[6:7]
	buffer_load_dword v124, off, s[0:3], 0 offset:248
	buffer_load_dword v125, off, s[0:3], 0 offset:252
	v_cmp_gt_u32_e32 vcc, 31, v0
	s_waitcnt vmcnt(0)
	ds_write_b64 v126, v[124:125]
	s_waitcnt lgkmcnt(0)
	; wave barrier
	s_waitcnt lgkmcnt(0)
	s_and_saveexec_b64 s[6:7], vcc
	s_cbranch_execz .LBB124_900
; %bb.891:
	s_and_b64 vcc, exec, s[4:5]
	s_cbranch_vccnz .LBB124_893
; %bb.892:
	buffer_load_dword v124, v127, s[0:3], 0 offen
	buffer_load_dword v125, v127, s[0:3], 0 offen offset:4
	ds_read_b64 v[128:129], v126
	s_waitcnt vmcnt(0) lgkmcnt(0)
	v_mul_f64 v[124:125], v[124:125], v[128:129]
	s_cbranch_execz .LBB124_894
	s_branch .LBB124_895
.LBB124_893:
                                        ; implicit-def: $vgpr124_vgpr125
.LBB124_894:
	ds_read_b64 v[124:125], v126
.LBB124_895:
	v_cmp_ne_u32_e32 vcc, 30, v0
	s_and_saveexec_b64 s[8:9], vcc
	s_cbranch_execz .LBB124_899
; %bb.896:
	v_mov_b32_e32 v129, 0
	v_add_u32_e32 v128, 0x1f8, v1
	v_add3_u32 v129, v1, v129, 8
	s_mov_b64 s[10:11], 0
	v_mov_b32_e32 v130, v0
.LBB124_897:                            ; =>This Inner Loop Header: Depth=1
	buffer_load_dword v132, v129, s[0:3], 0 offen
	buffer_load_dword v133, v129, s[0:3], 0 offen offset:4
	ds_read_b64 v[134:135], v128
	v_add_u32_e32 v130, 1, v130
	v_cmp_lt_u32_e32 vcc, 29, v130
	v_add_u32_e32 v128, 8, v128
	v_add_u32_e32 v129, 8, v129
	s_or_b64 s[10:11], vcc, s[10:11]
	s_waitcnt vmcnt(0) lgkmcnt(0)
	v_fmac_f64_e32 v[124:125], v[132:133], v[134:135]
	s_andn2_b64 exec, exec, s[10:11]
	s_cbranch_execnz .LBB124_897
; %bb.898:
	s_or_b64 exec, exec, s[10:11]
.LBB124_899:
	s_or_b64 exec, exec, s[8:9]
	v_mov_b32_e32 v128, 0
	ds_read_b64 v[128:129], v128 offset:248
	s_waitcnt lgkmcnt(0)
	v_mul_f64 v[124:125], v[124:125], v[128:129]
	buffer_store_dword v125, off, s[0:3], 0 offset:252
	buffer_store_dword v124, off, s[0:3], 0 offset:248
.LBB124_900:
	s_or_b64 exec, exec, s[6:7]
	buffer_load_dword v124, off, s[0:3], 0 offset:256
	buffer_load_dword v125, off, s[0:3], 0 offset:260
	v_cmp_gt_u32_e32 vcc, 32, v0
	s_waitcnt vmcnt(0)
	ds_write_b64 v126, v[124:125]
	s_waitcnt lgkmcnt(0)
	; wave barrier
	s_waitcnt lgkmcnt(0)
	s_and_saveexec_b64 s[6:7], vcc
	s_cbranch_execz .LBB124_910
; %bb.901:
	s_and_b64 vcc, exec, s[4:5]
	s_cbranch_vccnz .LBB124_903
; %bb.902:
	buffer_load_dword v124, v127, s[0:3], 0 offen
	buffer_load_dword v125, v127, s[0:3], 0 offen offset:4
	ds_read_b64 v[128:129], v126
	s_waitcnt vmcnt(0) lgkmcnt(0)
	v_mul_f64 v[124:125], v[124:125], v[128:129]
	s_cbranch_execz .LBB124_904
	s_branch .LBB124_905
.LBB124_903:
                                        ; implicit-def: $vgpr124_vgpr125
.LBB124_904:
	ds_read_b64 v[124:125], v126
.LBB124_905:
	v_cmp_ne_u32_e32 vcc, 31, v0
	s_and_saveexec_b64 s[8:9], vcc
	s_cbranch_execz .LBB124_909
; %bb.906:
	v_mov_b32_e32 v129, 0
	v_add_u32_e32 v128, 0x1f8, v1
	v_add3_u32 v129, v1, v129, 8
	s_mov_b64 s[10:11], 0
	v_mov_b32_e32 v130, v0
.LBB124_907:                            ; =>This Inner Loop Header: Depth=1
	buffer_load_dword v132, v129, s[0:3], 0 offen
	buffer_load_dword v133, v129, s[0:3], 0 offen offset:4
	ds_read_b64 v[134:135], v128
	v_add_u32_e32 v130, 1, v130
	v_cmp_lt_u32_e32 vcc, 30, v130
	v_add_u32_e32 v128, 8, v128
	v_add_u32_e32 v129, 8, v129
	s_or_b64 s[10:11], vcc, s[10:11]
	s_waitcnt vmcnt(0) lgkmcnt(0)
	v_fmac_f64_e32 v[124:125], v[132:133], v[134:135]
	s_andn2_b64 exec, exec, s[10:11]
	s_cbranch_execnz .LBB124_907
; %bb.908:
	s_or_b64 exec, exec, s[10:11]
.LBB124_909:
	s_or_b64 exec, exec, s[8:9]
	v_mov_b32_e32 v128, 0
	ds_read_b64 v[128:129], v128 offset:256
	s_waitcnt lgkmcnt(0)
	v_mul_f64 v[124:125], v[124:125], v[128:129]
	buffer_store_dword v125, off, s[0:3], 0 offset:260
	buffer_store_dword v124, off, s[0:3], 0 offset:256
.LBB124_910:
	s_or_b64 exec, exec, s[6:7]
	buffer_load_dword v124, off, s[0:3], 0 offset:264
	buffer_load_dword v125, off, s[0:3], 0 offset:268
	v_cmp_gt_u32_e32 vcc, 33, v0
	s_waitcnt vmcnt(0)
	ds_write_b64 v126, v[124:125]
	s_waitcnt lgkmcnt(0)
	; wave barrier
	s_waitcnt lgkmcnt(0)
	s_and_saveexec_b64 s[6:7], vcc
	s_cbranch_execz .LBB124_920
; %bb.911:
	s_and_b64 vcc, exec, s[4:5]
	s_cbranch_vccnz .LBB124_913
; %bb.912:
	buffer_load_dword v124, v127, s[0:3], 0 offen
	buffer_load_dword v125, v127, s[0:3], 0 offen offset:4
	ds_read_b64 v[128:129], v126
	s_waitcnt vmcnt(0) lgkmcnt(0)
	v_mul_f64 v[124:125], v[124:125], v[128:129]
	s_cbranch_execz .LBB124_914
	s_branch .LBB124_915
.LBB124_913:
                                        ; implicit-def: $vgpr124_vgpr125
.LBB124_914:
	ds_read_b64 v[124:125], v126
.LBB124_915:
	v_cmp_ne_u32_e32 vcc, 32, v0
	s_and_saveexec_b64 s[8:9], vcc
	s_cbranch_execz .LBB124_919
; %bb.916:
	v_mov_b32_e32 v129, 0
	v_add_u32_e32 v128, 0x1f8, v1
	v_add3_u32 v129, v1, v129, 8
	s_mov_b64 s[10:11], 0
	v_mov_b32_e32 v130, v0
.LBB124_917:                            ; =>This Inner Loop Header: Depth=1
	buffer_load_dword v132, v129, s[0:3], 0 offen
	buffer_load_dword v133, v129, s[0:3], 0 offen offset:4
	ds_read_b64 v[134:135], v128
	v_add_u32_e32 v130, 1, v130
	v_cmp_lt_u32_e32 vcc, 31, v130
	v_add_u32_e32 v128, 8, v128
	v_add_u32_e32 v129, 8, v129
	s_or_b64 s[10:11], vcc, s[10:11]
	s_waitcnt vmcnt(0) lgkmcnt(0)
	v_fmac_f64_e32 v[124:125], v[132:133], v[134:135]
	s_andn2_b64 exec, exec, s[10:11]
	s_cbranch_execnz .LBB124_917
; %bb.918:
	s_or_b64 exec, exec, s[10:11]
.LBB124_919:
	s_or_b64 exec, exec, s[8:9]
	v_mov_b32_e32 v128, 0
	ds_read_b64 v[128:129], v128 offset:264
	s_waitcnt lgkmcnt(0)
	v_mul_f64 v[124:125], v[124:125], v[128:129]
	buffer_store_dword v125, off, s[0:3], 0 offset:268
	buffer_store_dword v124, off, s[0:3], 0 offset:264
.LBB124_920:
	s_or_b64 exec, exec, s[6:7]
	buffer_load_dword v124, off, s[0:3], 0 offset:272
	buffer_load_dword v125, off, s[0:3], 0 offset:276
	v_cmp_gt_u32_e32 vcc, 34, v0
	s_waitcnt vmcnt(0)
	ds_write_b64 v126, v[124:125]
	s_waitcnt lgkmcnt(0)
	; wave barrier
	s_waitcnt lgkmcnt(0)
	s_and_saveexec_b64 s[6:7], vcc
	s_cbranch_execz .LBB124_930
; %bb.921:
	s_and_b64 vcc, exec, s[4:5]
	s_cbranch_vccnz .LBB124_923
; %bb.922:
	buffer_load_dword v124, v127, s[0:3], 0 offen
	buffer_load_dword v125, v127, s[0:3], 0 offen offset:4
	ds_read_b64 v[128:129], v126
	s_waitcnt vmcnt(0) lgkmcnt(0)
	v_mul_f64 v[124:125], v[124:125], v[128:129]
	s_cbranch_execz .LBB124_924
	s_branch .LBB124_925
.LBB124_923:
                                        ; implicit-def: $vgpr124_vgpr125
.LBB124_924:
	ds_read_b64 v[124:125], v126
.LBB124_925:
	v_cmp_ne_u32_e32 vcc, 33, v0
	s_and_saveexec_b64 s[8:9], vcc
	s_cbranch_execz .LBB124_929
; %bb.926:
	v_mov_b32_e32 v129, 0
	v_add_u32_e32 v128, 0x1f8, v1
	v_add3_u32 v129, v1, v129, 8
	s_mov_b64 s[10:11], 0
	v_mov_b32_e32 v130, v0
.LBB124_927:                            ; =>This Inner Loop Header: Depth=1
	buffer_load_dword v132, v129, s[0:3], 0 offen
	buffer_load_dword v133, v129, s[0:3], 0 offen offset:4
	ds_read_b64 v[134:135], v128
	v_add_u32_e32 v130, 1, v130
	v_cmp_lt_u32_e32 vcc, 32, v130
	v_add_u32_e32 v128, 8, v128
	v_add_u32_e32 v129, 8, v129
	s_or_b64 s[10:11], vcc, s[10:11]
	s_waitcnt vmcnt(0) lgkmcnt(0)
	v_fmac_f64_e32 v[124:125], v[132:133], v[134:135]
	s_andn2_b64 exec, exec, s[10:11]
	s_cbranch_execnz .LBB124_927
; %bb.928:
	s_or_b64 exec, exec, s[10:11]
.LBB124_929:
	s_or_b64 exec, exec, s[8:9]
	v_mov_b32_e32 v128, 0
	ds_read_b64 v[128:129], v128 offset:272
	s_waitcnt lgkmcnt(0)
	v_mul_f64 v[124:125], v[124:125], v[128:129]
	buffer_store_dword v125, off, s[0:3], 0 offset:276
	buffer_store_dword v124, off, s[0:3], 0 offset:272
.LBB124_930:
	s_or_b64 exec, exec, s[6:7]
	buffer_load_dword v124, off, s[0:3], 0 offset:280
	buffer_load_dword v125, off, s[0:3], 0 offset:284
	v_cmp_gt_u32_e32 vcc, 35, v0
	s_waitcnt vmcnt(0)
	ds_write_b64 v126, v[124:125]
	s_waitcnt lgkmcnt(0)
	; wave barrier
	s_waitcnt lgkmcnt(0)
	s_and_saveexec_b64 s[6:7], vcc
	s_cbranch_execz .LBB124_940
; %bb.931:
	s_and_b64 vcc, exec, s[4:5]
	s_cbranch_vccnz .LBB124_933
; %bb.932:
	buffer_load_dword v124, v127, s[0:3], 0 offen
	buffer_load_dword v125, v127, s[0:3], 0 offen offset:4
	ds_read_b64 v[128:129], v126
	s_waitcnt vmcnt(0) lgkmcnt(0)
	v_mul_f64 v[124:125], v[124:125], v[128:129]
	s_cbranch_execz .LBB124_934
	s_branch .LBB124_935
.LBB124_933:
                                        ; implicit-def: $vgpr124_vgpr125
.LBB124_934:
	ds_read_b64 v[124:125], v126
.LBB124_935:
	v_cmp_ne_u32_e32 vcc, 34, v0
	s_and_saveexec_b64 s[8:9], vcc
	s_cbranch_execz .LBB124_939
; %bb.936:
	v_mov_b32_e32 v129, 0
	v_add_u32_e32 v128, 0x1f8, v1
	v_add3_u32 v129, v1, v129, 8
	s_mov_b64 s[10:11], 0
	v_mov_b32_e32 v130, v0
.LBB124_937:                            ; =>This Inner Loop Header: Depth=1
	buffer_load_dword v132, v129, s[0:3], 0 offen
	buffer_load_dword v133, v129, s[0:3], 0 offen offset:4
	ds_read_b64 v[134:135], v128
	v_add_u32_e32 v130, 1, v130
	v_cmp_lt_u32_e32 vcc, 33, v130
	v_add_u32_e32 v128, 8, v128
	v_add_u32_e32 v129, 8, v129
	s_or_b64 s[10:11], vcc, s[10:11]
	s_waitcnt vmcnt(0) lgkmcnt(0)
	v_fmac_f64_e32 v[124:125], v[132:133], v[134:135]
	s_andn2_b64 exec, exec, s[10:11]
	s_cbranch_execnz .LBB124_937
; %bb.938:
	s_or_b64 exec, exec, s[10:11]
.LBB124_939:
	s_or_b64 exec, exec, s[8:9]
	v_mov_b32_e32 v128, 0
	ds_read_b64 v[128:129], v128 offset:280
	s_waitcnt lgkmcnt(0)
	v_mul_f64 v[124:125], v[124:125], v[128:129]
	buffer_store_dword v125, off, s[0:3], 0 offset:284
	buffer_store_dword v124, off, s[0:3], 0 offset:280
.LBB124_940:
	s_or_b64 exec, exec, s[6:7]
	buffer_load_dword v124, off, s[0:3], 0 offset:288
	buffer_load_dword v125, off, s[0:3], 0 offset:292
	v_cmp_gt_u32_e32 vcc, 36, v0
	s_waitcnt vmcnt(0)
	ds_write_b64 v126, v[124:125]
	s_waitcnt lgkmcnt(0)
	; wave barrier
	s_waitcnt lgkmcnt(0)
	s_and_saveexec_b64 s[6:7], vcc
	s_cbranch_execz .LBB124_950
; %bb.941:
	s_and_b64 vcc, exec, s[4:5]
	s_cbranch_vccnz .LBB124_943
; %bb.942:
	buffer_load_dword v124, v127, s[0:3], 0 offen
	buffer_load_dword v125, v127, s[0:3], 0 offen offset:4
	ds_read_b64 v[128:129], v126
	s_waitcnt vmcnt(0) lgkmcnt(0)
	v_mul_f64 v[124:125], v[124:125], v[128:129]
	s_cbranch_execz .LBB124_944
	s_branch .LBB124_945
.LBB124_943:
                                        ; implicit-def: $vgpr124_vgpr125
.LBB124_944:
	ds_read_b64 v[124:125], v126
.LBB124_945:
	v_cmp_ne_u32_e32 vcc, 35, v0
	s_and_saveexec_b64 s[8:9], vcc
	s_cbranch_execz .LBB124_949
; %bb.946:
	v_mov_b32_e32 v129, 0
	v_add_u32_e32 v128, 0x1f8, v1
	v_add3_u32 v129, v1, v129, 8
	s_mov_b64 s[10:11], 0
	v_mov_b32_e32 v130, v0
.LBB124_947:                            ; =>This Inner Loop Header: Depth=1
	buffer_load_dword v132, v129, s[0:3], 0 offen
	buffer_load_dword v133, v129, s[0:3], 0 offen offset:4
	ds_read_b64 v[134:135], v128
	v_add_u32_e32 v130, 1, v130
	v_cmp_lt_u32_e32 vcc, 34, v130
	v_add_u32_e32 v128, 8, v128
	v_add_u32_e32 v129, 8, v129
	s_or_b64 s[10:11], vcc, s[10:11]
	s_waitcnt vmcnt(0) lgkmcnt(0)
	v_fmac_f64_e32 v[124:125], v[132:133], v[134:135]
	s_andn2_b64 exec, exec, s[10:11]
	s_cbranch_execnz .LBB124_947
; %bb.948:
	s_or_b64 exec, exec, s[10:11]
.LBB124_949:
	s_or_b64 exec, exec, s[8:9]
	v_mov_b32_e32 v128, 0
	ds_read_b64 v[128:129], v128 offset:288
	s_waitcnt lgkmcnt(0)
	v_mul_f64 v[124:125], v[124:125], v[128:129]
	buffer_store_dword v125, off, s[0:3], 0 offset:292
	buffer_store_dword v124, off, s[0:3], 0 offset:288
.LBB124_950:
	s_or_b64 exec, exec, s[6:7]
	buffer_load_dword v124, off, s[0:3], 0 offset:296
	buffer_load_dword v125, off, s[0:3], 0 offset:300
	v_cmp_gt_u32_e32 vcc, 37, v0
	s_waitcnt vmcnt(0)
	ds_write_b64 v126, v[124:125]
	s_waitcnt lgkmcnt(0)
	; wave barrier
	s_waitcnt lgkmcnt(0)
	s_and_saveexec_b64 s[6:7], vcc
	s_cbranch_execz .LBB124_960
; %bb.951:
	s_and_b64 vcc, exec, s[4:5]
	s_cbranch_vccnz .LBB124_953
; %bb.952:
	buffer_load_dword v124, v127, s[0:3], 0 offen
	buffer_load_dword v125, v127, s[0:3], 0 offen offset:4
	ds_read_b64 v[128:129], v126
	s_waitcnt vmcnt(0) lgkmcnt(0)
	v_mul_f64 v[124:125], v[124:125], v[128:129]
	s_cbranch_execz .LBB124_954
	s_branch .LBB124_955
.LBB124_953:
                                        ; implicit-def: $vgpr124_vgpr125
.LBB124_954:
	ds_read_b64 v[124:125], v126
.LBB124_955:
	v_cmp_ne_u32_e32 vcc, 36, v0
	s_and_saveexec_b64 s[8:9], vcc
	s_cbranch_execz .LBB124_959
; %bb.956:
	v_mov_b32_e32 v129, 0
	v_add_u32_e32 v128, 0x1f8, v1
	v_add3_u32 v129, v1, v129, 8
	s_mov_b64 s[10:11], 0
	v_mov_b32_e32 v130, v0
.LBB124_957:                            ; =>This Inner Loop Header: Depth=1
	buffer_load_dword v132, v129, s[0:3], 0 offen
	buffer_load_dword v133, v129, s[0:3], 0 offen offset:4
	ds_read_b64 v[134:135], v128
	v_add_u32_e32 v130, 1, v130
	v_cmp_lt_u32_e32 vcc, 35, v130
	v_add_u32_e32 v128, 8, v128
	v_add_u32_e32 v129, 8, v129
	s_or_b64 s[10:11], vcc, s[10:11]
	s_waitcnt vmcnt(0) lgkmcnt(0)
	v_fmac_f64_e32 v[124:125], v[132:133], v[134:135]
	s_andn2_b64 exec, exec, s[10:11]
	s_cbranch_execnz .LBB124_957
; %bb.958:
	s_or_b64 exec, exec, s[10:11]
.LBB124_959:
	s_or_b64 exec, exec, s[8:9]
	v_mov_b32_e32 v128, 0
	ds_read_b64 v[128:129], v128 offset:296
	s_waitcnt lgkmcnt(0)
	v_mul_f64 v[124:125], v[124:125], v[128:129]
	buffer_store_dword v125, off, s[0:3], 0 offset:300
	buffer_store_dword v124, off, s[0:3], 0 offset:296
.LBB124_960:
	s_or_b64 exec, exec, s[6:7]
	buffer_load_dword v124, off, s[0:3], 0 offset:304
	buffer_load_dword v125, off, s[0:3], 0 offset:308
	v_cmp_gt_u32_e32 vcc, 38, v0
	s_waitcnt vmcnt(0)
	ds_write_b64 v126, v[124:125]
	s_waitcnt lgkmcnt(0)
	; wave barrier
	s_waitcnt lgkmcnt(0)
	s_and_saveexec_b64 s[6:7], vcc
	s_cbranch_execz .LBB124_970
; %bb.961:
	s_and_b64 vcc, exec, s[4:5]
	s_cbranch_vccnz .LBB124_963
; %bb.962:
	buffer_load_dword v124, v127, s[0:3], 0 offen
	buffer_load_dword v125, v127, s[0:3], 0 offen offset:4
	ds_read_b64 v[128:129], v126
	s_waitcnt vmcnt(0) lgkmcnt(0)
	v_mul_f64 v[124:125], v[124:125], v[128:129]
	s_cbranch_execz .LBB124_964
	s_branch .LBB124_965
.LBB124_963:
                                        ; implicit-def: $vgpr124_vgpr125
.LBB124_964:
	ds_read_b64 v[124:125], v126
.LBB124_965:
	v_cmp_ne_u32_e32 vcc, 37, v0
	s_and_saveexec_b64 s[8:9], vcc
	s_cbranch_execz .LBB124_969
; %bb.966:
	v_mov_b32_e32 v129, 0
	v_add_u32_e32 v128, 0x1f8, v1
	v_add3_u32 v129, v1, v129, 8
	s_mov_b64 s[10:11], 0
	v_mov_b32_e32 v130, v0
.LBB124_967:                            ; =>This Inner Loop Header: Depth=1
	buffer_load_dword v132, v129, s[0:3], 0 offen
	buffer_load_dword v133, v129, s[0:3], 0 offen offset:4
	ds_read_b64 v[134:135], v128
	v_add_u32_e32 v130, 1, v130
	v_cmp_lt_u32_e32 vcc, 36, v130
	v_add_u32_e32 v128, 8, v128
	v_add_u32_e32 v129, 8, v129
	s_or_b64 s[10:11], vcc, s[10:11]
	s_waitcnt vmcnt(0) lgkmcnt(0)
	v_fmac_f64_e32 v[124:125], v[132:133], v[134:135]
	s_andn2_b64 exec, exec, s[10:11]
	s_cbranch_execnz .LBB124_967
; %bb.968:
	s_or_b64 exec, exec, s[10:11]
.LBB124_969:
	s_or_b64 exec, exec, s[8:9]
	v_mov_b32_e32 v128, 0
	ds_read_b64 v[128:129], v128 offset:304
	s_waitcnt lgkmcnt(0)
	v_mul_f64 v[124:125], v[124:125], v[128:129]
	buffer_store_dword v125, off, s[0:3], 0 offset:308
	buffer_store_dword v124, off, s[0:3], 0 offset:304
.LBB124_970:
	s_or_b64 exec, exec, s[6:7]
	buffer_load_dword v124, off, s[0:3], 0 offset:312
	buffer_load_dword v125, off, s[0:3], 0 offset:316
	v_cmp_gt_u32_e32 vcc, 39, v0
	s_waitcnt vmcnt(0)
	ds_write_b64 v126, v[124:125]
	s_waitcnt lgkmcnt(0)
	; wave barrier
	s_waitcnt lgkmcnt(0)
	s_and_saveexec_b64 s[6:7], vcc
	s_cbranch_execz .LBB124_980
; %bb.971:
	s_and_b64 vcc, exec, s[4:5]
	s_cbranch_vccnz .LBB124_973
; %bb.972:
	buffer_load_dword v124, v127, s[0:3], 0 offen
	buffer_load_dword v125, v127, s[0:3], 0 offen offset:4
	ds_read_b64 v[128:129], v126
	s_waitcnt vmcnt(0) lgkmcnt(0)
	v_mul_f64 v[124:125], v[124:125], v[128:129]
	s_cbranch_execz .LBB124_974
	s_branch .LBB124_975
.LBB124_973:
                                        ; implicit-def: $vgpr124_vgpr125
.LBB124_974:
	ds_read_b64 v[124:125], v126
.LBB124_975:
	v_cmp_ne_u32_e32 vcc, 38, v0
	s_and_saveexec_b64 s[8:9], vcc
	s_cbranch_execz .LBB124_979
; %bb.976:
	v_mov_b32_e32 v129, 0
	v_add_u32_e32 v128, 0x1f8, v1
	v_add3_u32 v129, v1, v129, 8
	s_mov_b64 s[10:11], 0
	v_mov_b32_e32 v130, v0
.LBB124_977:                            ; =>This Inner Loop Header: Depth=1
	buffer_load_dword v132, v129, s[0:3], 0 offen
	buffer_load_dword v133, v129, s[0:3], 0 offen offset:4
	ds_read_b64 v[134:135], v128
	v_add_u32_e32 v130, 1, v130
	v_cmp_lt_u32_e32 vcc, 37, v130
	v_add_u32_e32 v128, 8, v128
	v_add_u32_e32 v129, 8, v129
	s_or_b64 s[10:11], vcc, s[10:11]
	s_waitcnt vmcnt(0) lgkmcnt(0)
	v_fmac_f64_e32 v[124:125], v[132:133], v[134:135]
	s_andn2_b64 exec, exec, s[10:11]
	s_cbranch_execnz .LBB124_977
; %bb.978:
	s_or_b64 exec, exec, s[10:11]
.LBB124_979:
	s_or_b64 exec, exec, s[8:9]
	v_mov_b32_e32 v128, 0
	ds_read_b64 v[128:129], v128 offset:312
	s_waitcnt lgkmcnt(0)
	v_mul_f64 v[124:125], v[124:125], v[128:129]
	buffer_store_dword v125, off, s[0:3], 0 offset:316
	buffer_store_dword v124, off, s[0:3], 0 offset:312
.LBB124_980:
	s_or_b64 exec, exec, s[6:7]
	buffer_load_dword v124, off, s[0:3], 0 offset:320
	buffer_load_dword v125, off, s[0:3], 0 offset:324
	v_cmp_gt_u32_e32 vcc, 40, v0
	s_waitcnt vmcnt(0)
	ds_write_b64 v126, v[124:125]
	s_waitcnt lgkmcnt(0)
	; wave barrier
	s_waitcnt lgkmcnt(0)
	s_and_saveexec_b64 s[6:7], vcc
	s_cbranch_execz .LBB124_990
; %bb.981:
	s_and_b64 vcc, exec, s[4:5]
	s_cbranch_vccnz .LBB124_983
; %bb.982:
	buffer_load_dword v124, v127, s[0:3], 0 offen
	buffer_load_dword v125, v127, s[0:3], 0 offen offset:4
	ds_read_b64 v[128:129], v126
	s_waitcnt vmcnt(0) lgkmcnt(0)
	v_mul_f64 v[124:125], v[124:125], v[128:129]
	s_cbranch_execz .LBB124_984
	s_branch .LBB124_985
.LBB124_983:
                                        ; implicit-def: $vgpr124_vgpr125
.LBB124_984:
	ds_read_b64 v[124:125], v126
.LBB124_985:
	v_cmp_ne_u32_e32 vcc, 39, v0
	s_and_saveexec_b64 s[8:9], vcc
	s_cbranch_execz .LBB124_989
; %bb.986:
	v_mov_b32_e32 v129, 0
	v_add_u32_e32 v128, 0x1f8, v1
	v_add3_u32 v129, v1, v129, 8
	s_mov_b64 s[10:11], 0
	v_mov_b32_e32 v130, v0
.LBB124_987:                            ; =>This Inner Loop Header: Depth=1
	buffer_load_dword v132, v129, s[0:3], 0 offen
	buffer_load_dword v133, v129, s[0:3], 0 offen offset:4
	ds_read_b64 v[134:135], v128
	v_add_u32_e32 v130, 1, v130
	v_cmp_lt_u32_e32 vcc, 38, v130
	v_add_u32_e32 v128, 8, v128
	v_add_u32_e32 v129, 8, v129
	s_or_b64 s[10:11], vcc, s[10:11]
	s_waitcnt vmcnt(0) lgkmcnt(0)
	v_fmac_f64_e32 v[124:125], v[132:133], v[134:135]
	s_andn2_b64 exec, exec, s[10:11]
	s_cbranch_execnz .LBB124_987
; %bb.988:
	s_or_b64 exec, exec, s[10:11]
.LBB124_989:
	s_or_b64 exec, exec, s[8:9]
	v_mov_b32_e32 v128, 0
	ds_read_b64 v[128:129], v128 offset:320
	s_waitcnt lgkmcnt(0)
	v_mul_f64 v[124:125], v[124:125], v[128:129]
	buffer_store_dword v125, off, s[0:3], 0 offset:324
	buffer_store_dword v124, off, s[0:3], 0 offset:320
.LBB124_990:
	s_or_b64 exec, exec, s[6:7]
	buffer_load_dword v124, off, s[0:3], 0 offset:328
	buffer_load_dword v125, off, s[0:3], 0 offset:332
	v_cmp_gt_u32_e32 vcc, 41, v0
	s_waitcnt vmcnt(0)
	ds_write_b64 v126, v[124:125]
	s_waitcnt lgkmcnt(0)
	; wave barrier
	s_waitcnt lgkmcnt(0)
	s_and_saveexec_b64 s[6:7], vcc
	s_cbranch_execz .LBB124_1000
; %bb.991:
	s_and_b64 vcc, exec, s[4:5]
	s_cbranch_vccnz .LBB124_993
; %bb.992:
	buffer_load_dword v124, v127, s[0:3], 0 offen
	buffer_load_dword v125, v127, s[0:3], 0 offen offset:4
	ds_read_b64 v[128:129], v126
	s_waitcnt vmcnt(0) lgkmcnt(0)
	v_mul_f64 v[124:125], v[124:125], v[128:129]
	s_cbranch_execz .LBB124_994
	s_branch .LBB124_995
.LBB124_993:
                                        ; implicit-def: $vgpr124_vgpr125
.LBB124_994:
	ds_read_b64 v[124:125], v126
.LBB124_995:
	v_cmp_ne_u32_e32 vcc, 40, v0
	s_and_saveexec_b64 s[8:9], vcc
	s_cbranch_execz .LBB124_999
; %bb.996:
	v_mov_b32_e32 v129, 0
	v_add_u32_e32 v128, 0x1f8, v1
	v_add3_u32 v129, v1, v129, 8
	s_mov_b64 s[10:11], 0
	v_mov_b32_e32 v130, v0
.LBB124_997:                            ; =>This Inner Loop Header: Depth=1
	buffer_load_dword v132, v129, s[0:3], 0 offen
	buffer_load_dword v133, v129, s[0:3], 0 offen offset:4
	ds_read_b64 v[134:135], v128
	v_add_u32_e32 v130, 1, v130
	v_cmp_lt_u32_e32 vcc, 39, v130
	v_add_u32_e32 v128, 8, v128
	v_add_u32_e32 v129, 8, v129
	s_or_b64 s[10:11], vcc, s[10:11]
	s_waitcnt vmcnt(0) lgkmcnt(0)
	v_fmac_f64_e32 v[124:125], v[132:133], v[134:135]
	s_andn2_b64 exec, exec, s[10:11]
	s_cbranch_execnz .LBB124_997
; %bb.998:
	s_or_b64 exec, exec, s[10:11]
.LBB124_999:
	s_or_b64 exec, exec, s[8:9]
	v_mov_b32_e32 v128, 0
	ds_read_b64 v[128:129], v128 offset:328
	s_waitcnt lgkmcnt(0)
	v_mul_f64 v[124:125], v[124:125], v[128:129]
	buffer_store_dword v125, off, s[0:3], 0 offset:332
	buffer_store_dword v124, off, s[0:3], 0 offset:328
.LBB124_1000:
	s_or_b64 exec, exec, s[6:7]
	buffer_load_dword v124, off, s[0:3], 0 offset:336
	buffer_load_dword v125, off, s[0:3], 0 offset:340
	v_cmp_gt_u32_e32 vcc, 42, v0
	s_waitcnt vmcnt(0)
	ds_write_b64 v126, v[124:125]
	s_waitcnt lgkmcnt(0)
	; wave barrier
	s_waitcnt lgkmcnt(0)
	s_and_saveexec_b64 s[6:7], vcc
	s_cbranch_execz .LBB124_1010
; %bb.1001:
	s_and_b64 vcc, exec, s[4:5]
	s_cbranch_vccnz .LBB124_1003
; %bb.1002:
	buffer_load_dword v124, v127, s[0:3], 0 offen
	buffer_load_dword v125, v127, s[0:3], 0 offen offset:4
	ds_read_b64 v[128:129], v126
	s_waitcnt vmcnt(0) lgkmcnt(0)
	v_mul_f64 v[124:125], v[124:125], v[128:129]
	s_cbranch_execz .LBB124_1004
	s_branch .LBB124_1005
.LBB124_1003:
                                        ; implicit-def: $vgpr124_vgpr125
.LBB124_1004:
	ds_read_b64 v[124:125], v126
.LBB124_1005:
	v_cmp_ne_u32_e32 vcc, 41, v0
	s_and_saveexec_b64 s[8:9], vcc
	s_cbranch_execz .LBB124_1009
; %bb.1006:
	v_mov_b32_e32 v129, 0
	v_add_u32_e32 v128, 0x1f8, v1
	v_add3_u32 v129, v1, v129, 8
	s_mov_b64 s[10:11], 0
	v_mov_b32_e32 v130, v0
.LBB124_1007:                           ; =>This Inner Loop Header: Depth=1
	buffer_load_dword v132, v129, s[0:3], 0 offen
	buffer_load_dword v133, v129, s[0:3], 0 offen offset:4
	ds_read_b64 v[134:135], v128
	v_add_u32_e32 v130, 1, v130
	v_cmp_lt_u32_e32 vcc, 40, v130
	v_add_u32_e32 v128, 8, v128
	v_add_u32_e32 v129, 8, v129
	s_or_b64 s[10:11], vcc, s[10:11]
	s_waitcnt vmcnt(0) lgkmcnt(0)
	v_fmac_f64_e32 v[124:125], v[132:133], v[134:135]
	s_andn2_b64 exec, exec, s[10:11]
	s_cbranch_execnz .LBB124_1007
; %bb.1008:
	s_or_b64 exec, exec, s[10:11]
.LBB124_1009:
	s_or_b64 exec, exec, s[8:9]
	v_mov_b32_e32 v128, 0
	ds_read_b64 v[128:129], v128 offset:336
	s_waitcnt lgkmcnt(0)
	v_mul_f64 v[124:125], v[124:125], v[128:129]
	buffer_store_dword v125, off, s[0:3], 0 offset:340
	buffer_store_dword v124, off, s[0:3], 0 offset:336
.LBB124_1010:
	s_or_b64 exec, exec, s[6:7]
	buffer_load_dword v124, off, s[0:3], 0 offset:344
	buffer_load_dword v125, off, s[0:3], 0 offset:348
	v_cmp_gt_u32_e32 vcc, 43, v0
	s_waitcnt vmcnt(0)
	ds_write_b64 v126, v[124:125]
	s_waitcnt lgkmcnt(0)
	; wave barrier
	s_waitcnt lgkmcnt(0)
	s_and_saveexec_b64 s[6:7], vcc
	s_cbranch_execz .LBB124_1020
; %bb.1011:
	s_and_b64 vcc, exec, s[4:5]
	s_cbranch_vccnz .LBB124_1013
; %bb.1012:
	buffer_load_dword v124, v127, s[0:3], 0 offen
	buffer_load_dword v125, v127, s[0:3], 0 offen offset:4
	ds_read_b64 v[128:129], v126
	s_waitcnt vmcnt(0) lgkmcnt(0)
	v_mul_f64 v[124:125], v[124:125], v[128:129]
	s_cbranch_execz .LBB124_1014
	s_branch .LBB124_1015
.LBB124_1013:
                                        ; implicit-def: $vgpr124_vgpr125
.LBB124_1014:
	ds_read_b64 v[124:125], v126
.LBB124_1015:
	v_cmp_ne_u32_e32 vcc, 42, v0
	s_and_saveexec_b64 s[8:9], vcc
	s_cbranch_execz .LBB124_1019
; %bb.1016:
	v_mov_b32_e32 v129, 0
	v_add_u32_e32 v128, 0x1f8, v1
	v_add3_u32 v129, v1, v129, 8
	s_mov_b64 s[10:11], 0
	v_mov_b32_e32 v130, v0
.LBB124_1017:                           ; =>This Inner Loop Header: Depth=1
	buffer_load_dword v132, v129, s[0:3], 0 offen
	buffer_load_dword v133, v129, s[0:3], 0 offen offset:4
	ds_read_b64 v[134:135], v128
	v_add_u32_e32 v130, 1, v130
	v_cmp_lt_u32_e32 vcc, 41, v130
	v_add_u32_e32 v128, 8, v128
	v_add_u32_e32 v129, 8, v129
	s_or_b64 s[10:11], vcc, s[10:11]
	s_waitcnt vmcnt(0) lgkmcnt(0)
	v_fmac_f64_e32 v[124:125], v[132:133], v[134:135]
	s_andn2_b64 exec, exec, s[10:11]
	s_cbranch_execnz .LBB124_1017
; %bb.1018:
	s_or_b64 exec, exec, s[10:11]
.LBB124_1019:
	s_or_b64 exec, exec, s[8:9]
	v_mov_b32_e32 v128, 0
	ds_read_b64 v[128:129], v128 offset:344
	s_waitcnt lgkmcnt(0)
	v_mul_f64 v[124:125], v[124:125], v[128:129]
	buffer_store_dword v125, off, s[0:3], 0 offset:348
	buffer_store_dword v124, off, s[0:3], 0 offset:344
.LBB124_1020:
	;; [unrolled: 60-line block ×17, first 2 shown]
	s_or_b64 exec, exec, s[6:7]
	buffer_load_dword v124, off, s[0:3], 0 offset:472
	buffer_load_dword v125, off, s[0:3], 0 offset:476
	v_cmp_gt_u32_e64 s[6:7], 59, v0
	s_waitcnt vmcnt(0)
	ds_write_b64 v126, v[124:125]
	s_waitcnt lgkmcnt(0)
	; wave barrier
	s_waitcnt lgkmcnt(0)
	s_and_saveexec_b64 s[8:9], s[6:7]
	s_cbranch_execz .LBB124_1180
; %bb.1171:
	s_and_b64 vcc, exec, s[4:5]
	s_cbranch_vccnz .LBB124_1173
; %bb.1172:
	buffer_load_dword v124, v127, s[0:3], 0 offen
	buffer_load_dword v125, v127, s[0:3], 0 offen offset:4
	ds_read_b64 v[128:129], v126
	s_waitcnt vmcnt(0) lgkmcnt(0)
	v_mul_f64 v[124:125], v[124:125], v[128:129]
	s_cbranch_execz .LBB124_1174
	s_branch .LBB124_1175
.LBB124_1173:
                                        ; implicit-def: $vgpr124_vgpr125
.LBB124_1174:
	ds_read_b64 v[124:125], v126
.LBB124_1175:
	v_cmp_ne_u32_e32 vcc, 58, v0
	s_and_saveexec_b64 s[10:11], vcc
	s_cbranch_execz .LBB124_1179
; %bb.1176:
	v_mov_b32_e32 v129, 0
	v_add_u32_e32 v128, 0x1f8, v1
	v_add3_u32 v129, v1, v129, 8
	s_mov_b64 s[12:13], 0
	v_mov_b32_e32 v130, v0
.LBB124_1177:                           ; =>This Inner Loop Header: Depth=1
	buffer_load_dword v132, v129, s[0:3], 0 offen
	buffer_load_dword v133, v129, s[0:3], 0 offen offset:4
	ds_read_b64 v[134:135], v128
	v_add_u32_e32 v130, 1, v130
	v_cmp_lt_u32_e32 vcc, 57, v130
	v_add_u32_e32 v128, 8, v128
	v_add_u32_e32 v129, 8, v129
	s_or_b64 s[12:13], vcc, s[12:13]
	s_waitcnt vmcnt(0) lgkmcnt(0)
	v_fmac_f64_e32 v[124:125], v[132:133], v[134:135]
	s_andn2_b64 exec, exec, s[12:13]
	s_cbranch_execnz .LBB124_1177
; %bb.1178:
	s_or_b64 exec, exec, s[12:13]
.LBB124_1179:
	s_or_b64 exec, exec, s[10:11]
	v_mov_b32_e32 v128, 0
	ds_read_b64 v[128:129], v128 offset:472
	s_waitcnt lgkmcnt(0)
	v_mul_f64 v[124:125], v[124:125], v[128:129]
	buffer_store_dword v125, off, s[0:3], 0 offset:476
	buffer_store_dword v124, off, s[0:3], 0 offset:472
.LBB124_1180:
	s_or_b64 exec, exec, s[8:9]
	buffer_load_dword v124, off, s[0:3], 0 offset:480
	buffer_load_dword v125, off, s[0:3], 0 offset:484
	v_cmp_ne_u32_e32 vcc, 60, v0
	s_waitcnt vmcnt(0)
	ds_write_b64 v126, v[124:125]
	s_waitcnt lgkmcnt(0)
	; wave barrier
	s_waitcnt lgkmcnt(0)
	s_and_saveexec_b64 s[8:9], vcc
	s_cbranch_execz .LBB124_1190
; %bb.1181:
	s_and_b64 vcc, exec, s[4:5]
	s_cbranch_vccnz .LBB124_1183
; %bb.1182:
	buffer_load_dword v124, v127, s[0:3], 0 offen
	buffer_load_dword v125, v127, s[0:3], 0 offen offset:4
	ds_read_b64 v[128:129], v126
	s_waitcnt vmcnt(0) lgkmcnt(0)
	v_mul_f64 v[124:125], v[124:125], v[128:129]
	s_cbranch_execz .LBB124_1184
	s_branch .LBB124_1185
.LBB124_1183:
                                        ; implicit-def: $vgpr124_vgpr125
.LBB124_1184:
	ds_read_b64 v[124:125], v126
.LBB124_1185:
	s_and_saveexec_b64 s[4:5], s[6:7]
	s_cbranch_execz .LBB124_1189
; %bb.1186:
	v_mov_b32_e32 v127, 0
	v_add_u32_e32 v126, 0x1f8, v1
	v_add3_u32 v1, v1, v127, 8
	s_mov_b64 s[6:7], 0
.LBB124_1187:                           ; =>This Inner Loop Header: Depth=1
	buffer_load_dword v128, v1, s[0:3], 0 offen
	buffer_load_dword v129, v1, s[0:3], 0 offen offset:4
	ds_read_b64 v[130:131], v126
	v_add_u32_e32 v0, 1, v0
	v_cmp_lt_u32_e32 vcc, 58, v0
	v_add_u32_e32 v126, 8, v126
	v_add_u32_e32 v1, 8, v1
	s_or_b64 s[6:7], vcc, s[6:7]
	s_waitcnt vmcnt(0) lgkmcnt(0)
	v_fmac_f64_e32 v[124:125], v[128:129], v[130:131]
	s_andn2_b64 exec, exec, s[6:7]
	s_cbranch_execnz .LBB124_1187
; %bb.1188:
	s_or_b64 exec, exec, s[6:7]
.LBB124_1189:
	s_or_b64 exec, exec, s[4:5]
	v_mov_b32_e32 v0, 0
	ds_read_b64 v[0:1], v0 offset:480
	s_waitcnt lgkmcnt(0)
	v_mul_f64 v[0:1], v[124:125], v[0:1]
	buffer_store_dword v1, off, s[0:3], 0 offset:484
	buffer_store_dword v0, off, s[0:3], 0 offset:480
.LBB124_1190:
	s_or_b64 exec, exec, s[8:9]
.LBB124_1191:
	buffer_load_dword v0, off, s[0:3], 0
	buffer_load_dword v1, off, s[0:3], 0 offset:4
	buffer_load_dword v124, off, s[0:3], 0 offset:8
	;; [unrolled: 1-line block ×121, first 2 shown]
	s_waitcnt vmcnt(62)
	global_store_dwordx2 v[2:3], v[0:1], off
	global_store_dwordx2 v[4:5], v[124:125], off
	;; [unrolled: 1-line block ×30, first 2 shown]
	s_waitcnt vmcnt(62)
	global_store_dwordx2 v[62:63], v[182:183], off
	global_store_dwordx2 v[64:65], v[184:185], off
	;; [unrolled: 1-line block ×15, first 2 shown]
	s_waitcnt vmcnt(62)
	global_store_dwordx2 v[92:93], v[212:213], off
	global_store_dwordx2 v[94:95], v[214:215], off
	;; [unrolled: 1-line block ×7, first 2 shown]
	s_waitcnt vmcnt(62)
	global_store_dwordx2 v[106:107], v[226:227], off
	global_store_dwordx2 v[108:109], v[228:229], off
	;; [unrolled: 1-line block ×4, first 2 shown]
	s_waitcnt vmcnt(62)
	global_store_dwordx2 v[114:115], v[234:235], off
	global_store_dwordx2 v[116:117], v[236:237], off
	s_waitcnt vmcnt(62)
	global_store_dwordx2 v[118:119], v[238:239], off
	s_waitcnt vmcnt(61)
	;; [unrolled: 2-line block ×3, first 2 shown]
	global_store_dwordx2 v[122:123], v[242:243], off
.LBB124_1192:
	s_endpgm
	.section	.rodata,"a",@progbits
	.p2align	6, 0x0
	.amdhsa_kernel _ZN9rocsolver6v33100L18trti2_kernel_smallILi61EdPKPdEEv13rocblas_fill_17rocblas_diagonal_T1_iil
		.amdhsa_group_segment_fixed_size 984
		.amdhsa_private_segment_fixed_size 496
		.amdhsa_kernarg_size 32
		.amdhsa_user_sgpr_count 8
		.amdhsa_user_sgpr_private_segment_buffer 1
		.amdhsa_user_sgpr_dispatch_ptr 0
		.amdhsa_user_sgpr_queue_ptr 0
		.amdhsa_user_sgpr_kernarg_segment_ptr 1
		.amdhsa_user_sgpr_dispatch_id 0
		.amdhsa_user_sgpr_flat_scratch_init 1
		.amdhsa_user_sgpr_kernarg_preload_length 0
		.amdhsa_user_sgpr_kernarg_preload_offset 0
		.amdhsa_user_sgpr_private_segment_size 0
		.amdhsa_uses_dynamic_stack 0
		.amdhsa_system_sgpr_private_segment_wavefront_offset 1
		.amdhsa_system_sgpr_workgroup_id_x 1
		.amdhsa_system_sgpr_workgroup_id_y 0
		.amdhsa_system_sgpr_workgroup_id_z 0
		.amdhsa_system_sgpr_workgroup_info 0
		.amdhsa_system_vgpr_workitem_id 0
		.amdhsa_next_free_vgpr 244
		.amdhsa_next_free_sgpr 16
		.amdhsa_accum_offset 244
		.amdhsa_reserve_vcc 1
		.amdhsa_reserve_flat_scratch 0
		.amdhsa_float_round_mode_32 0
		.amdhsa_float_round_mode_16_64 0
		.amdhsa_float_denorm_mode_32 3
		.amdhsa_float_denorm_mode_16_64 3
		.amdhsa_dx10_clamp 1
		.amdhsa_ieee_mode 1
		.amdhsa_fp16_overflow 0
		.amdhsa_tg_split 0
		.amdhsa_exception_fp_ieee_invalid_op 0
		.amdhsa_exception_fp_denorm_src 0
		.amdhsa_exception_fp_ieee_div_zero 0
		.amdhsa_exception_fp_ieee_overflow 0
		.amdhsa_exception_fp_ieee_underflow 0
		.amdhsa_exception_fp_ieee_inexact 0
		.amdhsa_exception_int_div_zero 0
	.end_amdhsa_kernel
	.section	.text._ZN9rocsolver6v33100L18trti2_kernel_smallILi61EdPKPdEEv13rocblas_fill_17rocblas_diagonal_T1_iil,"axG",@progbits,_ZN9rocsolver6v33100L18trti2_kernel_smallILi61EdPKPdEEv13rocblas_fill_17rocblas_diagonal_T1_iil,comdat
.Lfunc_end124:
	.size	_ZN9rocsolver6v33100L18trti2_kernel_smallILi61EdPKPdEEv13rocblas_fill_17rocblas_diagonal_T1_iil, .Lfunc_end124-_ZN9rocsolver6v33100L18trti2_kernel_smallILi61EdPKPdEEv13rocblas_fill_17rocblas_diagonal_T1_iil
                                        ; -- End function
	.section	.AMDGPU.csdata,"",@progbits
; Kernel info:
; codeLenInByte = 35752
; NumSgprs: 20
; NumVgprs: 244
; NumAgprs: 0
; TotalNumVgprs: 244
; ScratchSize: 496
; MemoryBound: 0
; FloatMode: 240
; IeeeMode: 1
; LDSByteSize: 984 bytes/workgroup (compile time only)
; SGPRBlocks: 2
; VGPRBlocks: 30
; NumSGPRsForWavesPerEU: 20
; NumVGPRsForWavesPerEU: 244
; AccumOffset: 244
; Occupancy: 2
; WaveLimiterHint : 1
; COMPUTE_PGM_RSRC2:SCRATCH_EN: 1
; COMPUTE_PGM_RSRC2:USER_SGPR: 8
; COMPUTE_PGM_RSRC2:TRAP_HANDLER: 0
; COMPUTE_PGM_RSRC2:TGID_X_EN: 1
; COMPUTE_PGM_RSRC2:TGID_Y_EN: 0
; COMPUTE_PGM_RSRC2:TGID_Z_EN: 0
; COMPUTE_PGM_RSRC2:TIDIG_COMP_CNT: 0
; COMPUTE_PGM_RSRC3_GFX90A:ACCUM_OFFSET: 60
; COMPUTE_PGM_RSRC3_GFX90A:TG_SPLIT: 0
	.section	.text._ZN9rocsolver6v33100L18trti2_kernel_smallILi62EdPKPdEEv13rocblas_fill_17rocblas_diagonal_T1_iil,"axG",@progbits,_ZN9rocsolver6v33100L18trti2_kernel_smallILi62EdPKPdEEv13rocblas_fill_17rocblas_diagonal_T1_iil,comdat
	.globl	_ZN9rocsolver6v33100L18trti2_kernel_smallILi62EdPKPdEEv13rocblas_fill_17rocblas_diagonal_T1_iil ; -- Begin function _ZN9rocsolver6v33100L18trti2_kernel_smallILi62EdPKPdEEv13rocblas_fill_17rocblas_diagonal_T1_iil
	.p2align	8
	.type	_ZN9rocsolver6v33100L18trti2_kernel_smallILi62EdPKPdEEv13rocblas_fill_17rocblas_diagonal_T1_iil,@function
_ZN9rocsolver6v33100L18trti2_kernel_smallILi62EdPKPdEEv13rocblas_fill_17rocblas_diagonal_T1_iil: ; @_ZN9rocsolver6v33100L18trti2_kernel_smallILi62EdPKPdEEv13rocblas_fill_17rocblas_diagonal_T1_iil
; %bb.0:
	s_add_u32 s0, s0, s9
	s_addc_u32 s1, s1, 0
	v_cmp_gt_u32_e32 vcc, 62, v0
	s_and_saveexec_b64 s[6:7], vcc
	s_cbranch_execz .LBB125_1212
; %bb.1:
	s_load_dwordx2 s[6:7], s[4:5], 0x10
	s_load_dwordx4 s[12:15], s[4:5], 0x0
	s_ashr_i32 s9, s8, 31
	s_lshl_b64 s[4:5], s[8:9], 3
	s_waitcnt lgkmcnt(0)
	s_ashr_i32 s9, s6, 31
	s_add_u32 s4, s14, s4
	s_addc_u32 s5, s15, s5
	s_load_dwordx2 s[4:5], s[4:5], 0x0
	s_mov_b32 s8, s6
	s_lshl_b64 s[8:9], s[8:9], 3
	s_waitcnt lgkmcnt(0)
	s_add_u32 s4, s4, s8
	s_addc_u32 s5, s5, s9
	s_add_i32 s6, s7, s7
	v_add_u32_e32 v4, s6, v0
	v_ashrrev_i32_e32 v5, 31, v4
	v_lshlrev_b64 v[2:3], 3, v[4:5]
	v_add_u32_e32 v6, s7, v4
	v_mov_b32_e32 v1, s5
	v_add_co_u32_e32 v2, vcc, s4, v2
	v_ashrrev_i32_e32 v7, 31, v6
	v_addc_co_u32_e32 v3, vcc, v1, v3, vcc
	v_lshlrev_b64 v[4:5], 3, v[6:7]
	v_add_u32_e32 v8, s7, v6
	v_add_co_u32_e32 v4, vcc, s4, v4
	v_ashrrev_i32_e32 v9, 31, v8
	v_addc_co_u32_e32 v5, vcc, v1, v5, vcc
	v_lshlrev_b64 v[6:7], 3, v[8:9]
	v_add_u32_e32 v10, s7, v8
	;; [unrolled: 5-line block ×51, first 2 shown]
	v_add_co_u32_e32 v104, vcc, s4, v104
	v_ashrrev_i32_e32 v109, 31, v108
	v_addc_co_u32_e32 v105, vcc, v1, v105, vcc
	v_lshlrev_b64 v[106:107], 3, v[108:109]
	v_add_co_u32_e32 v106, vcc, s4, v106
	v_addc_co_u32_e32 v107, vcc, v1, v107, vcc
	v_lshlrev_b32_e32 v1, 3, v0
	global_load_dwordx2 v[126:127], v1, s[4:5]
	global_load_dwordx2 v[130:131], v[2:3], off
	global_load_dwordx2 v[132:133], v[4:5], off
	;; [unrolled: 1-line block ×3, first 2 shown]
	v_mov_b32_e32 v109, s5
	v_add_co_u32_e32 v116, vcc, s4, v1
	s_ashr_i32 s9, s7, 31
	s_mov_b32 s8, s7
	v_addc_co_u32_e32 v117, vcc, 0, v109, vcc
	s_lshl_b64 s[8:9], s[8:9], 3
	v_mov_b32_e32 v109, s9
	v_add_co_u32_e32 v118, vcc, s8, v116
	v_addc_co_u32_e32 v119, vcc, v117, v109, vcc
	global_load_dwordx2 v[128:129], v[118:119], off
	global_load_dwordx2 v[136:137], v[8:9], off
	;; [unrolled: 1-line block ×7, first 2 shown]
	v_add_u32_e32 v110, s7, v108
	global_load_dwordx2 v[148:149], v[20:21], off
	global_load_dwordx2 v[150:151], v[22:23], off
	v_ashrrev_i32_e32 v111, 31, v110
	v_lshlrev_b64 v[108:109], 3, v[110:111]
	v_mov_b32_e32 v112, s5
	v_add_co_u32_e32 v108, vcc, s4, v108
	v_addc_co_u32_e32 v109, vcc, v112, v109, vcc
	v_add_u32_e32 v112, s7, v110
	v_ashrrev_i32_e32 v113, 31, v112
	v_lshlrev_b64 v[110:111], 3, v[112:113]
	v_mov_b32_e32 v114, s5
	v_add_co_u32_e32 v110, vcc, s4, v110
	v_addc_co_u32_e32 v111, vcc, v114, v111, vcc
	v_add_u32_e32 v114, s7, v112
	v_ashrrev_i32_e32 v115, 31, v114
	global_load_dwordx2 v[152:153], v[24:25], off
	global_load_dwordx2 v[154:155], v[26:27], off
	v_lshlrev_b64 v[112:113], 3, v[114:115]
	v_mov_b32_e32 v120, s5
	v_add_co_u32_e32 v112, vcc, s4, v112
	v_addc_co_u32_e32 v113, vcc, v120, v113, vcc
	v_add_u32_e32 v120, s7, v114
	v_ashrrev_i32_e32 v121, 31, v120
	v_lshlrev_b64 v[114:115], 3, v[120:121]
	v_mov_b32_e32 v122, s5
	v_add_co_u32_e32 v114, vcc, s4, v114
	v_addc_co_u32_e32 v115, vcc, v122, v115, vcc
	v_add_u32_e32 v122, s7, v120
	global_load_dwordx2 v[156:157], v[28:29], off
	global_load_dwordx2 v[158:159], v[30:31], off
	v_ashrrev_i32_e32 v123, 31, v122
	v_lshlrev_b64 v[120:121], 3, v[122:123]
	v_mov_b32_e32 v124, s5
	v_add_co_u32_e32 v120, vcc, s4, v120
	v_addc_co_u32_e32 v121, vcc, v124, v121, vcc
	v_add_u32_e32 v124, s7, v122
	v_ashrrev_i32_e32 v125, 31, v124
	v_lshlrev_b64 v[122:123], 3, v[124:125]
	v_mov_b32_e32 v160, s5
	v_add_co_u32_e32 v122, vcc, s4, v122
	v_addc_co_u32_e32 v123, vcc, v160, v123, vcc
	global_load_dwordx2 v[160:161], v[32:33], off
	global_load_dwordx2 v[162:163], v[34:35], off
	v_add_u32_e32 v124, s7, v124
	v_ashrrev_i32_e32 v125, 31, v124
	v_lshlrev_b64 v[124:125], 3, v[124:125]
	global_load_dwordx2 v[164:165], v[36:37], off
	v_mov_b32_e32 v166, s5
	v_add_co_u32_e32 v124, vcc, s4, v124
	v_addc_co_u32_e32 v125, vcc, v166, v125, vcc
	global_load_dwordx2 v[166:167], v[124:125], off
	global_load_dwordx2 v[168:169], v[38:39], off
	s_waitcnt vmcnt(21)
	buffer_store_dword v127, off, s[0:3], 0 offset:4
	buffer_store_dword v126, off, s[0:3], 0
	global_load_dwordx2 v[126:127], v[40:41], off
	s_cmpk_lg_i32 s13, 0x84
	global_load_dwordx2 v[170:171], v[42:43], off
	global_load_dwordx2 v[172:173], v[46:47], off
	;; [unrolled: 1-line block ×20, first 2 shown]
	s_cselect_b64 s[8:9], -1, 0
	s_waitcnt vmcnt(40)
	buffer_store_dword v129, off, s[0:3], 0 offset:12
	buffer_store_dword v128, off, s[0:3], 0 offset:8
	global_load_dwordx2 v[128:129], v[44:45], off
	s_cmpk_eq_i32 s13, 0x84
	buffer_store_dword v131, off, s[0:3], 0 offset:20
	buffer_store_dword v130, off, s[0:3], 0 offset:16
	global_load_dwordx2 v[130:131], v[48:49], off
	s_nop 0
	buffer_store_dword v133, off, s[0:3], 0 offset:28
	buffer_store_dword v132, off, s[0:3], 0 offset:24
	global_load_dwordx2 v[132:133], v[52:53], off
	s_nop 0
	buffer_store_dword v135, off, s[0:3], 0 offset:36
	buffer_store_dword v134, off, s[0:3], 0 offset:32
	global_load_dwordx2 v[134:135], v[56:57], off
	s_waitcnt vmcnt(51)
	buffer_store_dword v137, off, s[0:3], 0 offset:44
	buffer_store_dword v136, off, s[0:3], 0 offset:40
	global_load_dwordx2 v[136:137], v[60:61], off
	s_waitcnt vmcnt(53)
	;; [unrolled: 4-line block ×7, first 2 shown]
	buffer_store_dword v148, off, s[0:3], 0 offset:88
	buffer_store_dword v149, off, s[0:3], 0 offset:92
	global_load_dwordx2 v[148:149], v[84:85], off
	s_nop 0
	buffer_store_dword v150, off, s[0:3], 0 offset:96
	buffer_store_dword v151, off, s[0:3], 0 offset:100
	global_load_dwordx2 v[150:151], v[88:89], off
	s_waitcnt vmcnt(62)
	buffer_store_dword v152, off, s[0:3], 0 offset:104
	buffer_store_dword v153, off, s[0:3], 0 offset:108
	global_load_dwordx2 v[152:153], v[92:93], off
	s_nop 0
	buffer_store_dword v155, off, s[0:3], 0 offset:116
	buffer_store_dword v154, off, s[0:3], 0 offset:112
	global_load_dwordx2 v[154:155], v[96:97], off
	s_nop 0
	;; [unrolled: 4-line block ×5, first 2 shown]
	buffer_store_dword v162, off, s[0:3], 0 offset:144
	buffer_store_dword v163, off, s[0:3], 0 offset:148
	global_load_dwordx2 v[162:163], v[112:113], off
	s_waitcnt vmcnt(62)
	buffer_store_dword v165, off, s[0:3], 0 offset:156
	buffer_store_dword v164, off, s[0:3], 0 offset:152
	global_load_dwordx2 v[164:165], v[120:121], off
	s_nop 0
	buffer_store_dword v169, off, s[0:3], 0 offset:164
	buffer_store_dword v168, off, s[0:3], 0 offset:160
	;; [unrolled: 1-line block ×6, first 2 shown]
	s_waitcnt vmcnt(60)
	buffer_store_dword v128, off, s[0:3], 0 offset:184
	buffer_store_dword v129, off, s[0:3], 0 offset:188
	buffer_store_dword v172, off, s[0:3], 0 offset:192
	buffer_store_dword v173, off, s[0:3], 0 offset:196
	s_waitcnt vmcnt(61)
	buffer_store_dword v131, off, s[0:3], 0 offset:204
	buffer_store_dword v130, off, s[0:3], 0 offset:200
	buffer_store_dword v175, off, s[0:3], 0 offset:212
	buffer_store_dword v174, off, s[0:3], 0 offset:208
	;; [unrolled: 5-line block ×6, first 2 shown]
	buffer_store_dword v140, off, s[0:3], 0 offset:280
	buffer_store_dword v141, off, s[0:3], 0 offset:284
	;; [unrolled: 1-line block ×4, first 2 shown]
	s_waitcnt vmcnt(62)
	buffer_store_dword v143, off, s[0:3], 0 offset:300
	buffer_store_dword v142, off, s[0:3], 0 offset:296
	;; [unrolled: 1-line block ×8, first 2 shown]
	s_waitcnt vmcnt(62)
	buffer_store_dword v146, off, s[0:3], 0 offset:328
	buffer_store_dword v147, off, s[0:3], 0 offset:332
	;; [unrolled: 1-line block ×12, first 2 shown]
	s_waitcnt vmcnt(62)
	buffer_store_dword v152, off, s[0:3], 0 offset:376
	buffer_store_dword v153, off, s[0:3], 0 offset:380
	;; [unrolled: 1-line block ×16, first 2 shown]
	s_waitcnt vmcnt(62)
	buffer_store_dword v161, off, s[0:3], 0 offset:444
	buffer_store_dword v160, off, s[0:3], 0 offset:440
	;; [unrolled: 1-line block ×14, first 2 shown]
	v_mov_b32_e32 v126, 0
	v_mov_b32_e32 v188, 0
	;; [unrolled: 1-line block ×3, first 2 shown]
	s_cbranch_scc1 .LBB125_3
; %bb.2:
	v_lshl_add_u32 v136, v0, 3, v188
	buffer_load_dword v126, v136, s[0:3], 0 offen
	buffer_load_dword v127, v136, s[0:3], 0 offen offset:4
	s_waitcnt vmcnt(0)
	v_div_scale_f64 v[128:129], s[4:5], v[126:127], v[126:127], 1.0
	v_rcp_f64_e32 v[130:131], v[128:129]
	v_div_scale_f64 v[132:133], vcc, 1.0, v[126:127], 1.0
	v_fma_f64 v[134:135], -v[128:129], v[130:131], 1.0
	v_fmac_f64_e32 v[130:131], v[130:131], v[134:135]
	v_fma_f64 v[134:135], -v[128:129], v[130:131], 1.0
	v_fmac_f64_e32 v[130:131], v[130:131], v[134:135]
	v_mul_f64 v[134:135], v[132:133], v[130:131]
	v_fma_f64 v[128:129], -v[128:129], v[134:135], v[132:133]
	v_div_fmas_f64 v[128:129], v[128:129], v[130:131], v[134:135]
	v_div_fixup_f64 v[126:127], v[128:129], v[126:127], 1.0
	buffer_store_dword v126, v136, s[0:3], 0 offen
	buffer_store_dword v127, v136, s[0:3], 0 offen offset:4
	v_xor_b32_e32 v127, 0x80000000, v127
.LBB125_3:
	s_cmpk_eq_i32 s12, 0x79
	v_add_u32_e32 v128, 0x1f0, v1
	v_add_u32_e32 v129, 0, v1
	s_mov_b64 s[4:5], -1
	ds_write_b64 v1, v[126:127]
	s_cbranch_scc1 .LBB125_607
; %bb.4:
	buffer_load_dword v126, off, s[0:3], 0 offset:480
	buffer_load_dword v127, off, s[0:3], 0 offset:484
	v_cmp_eq_u32_e64 s[4:5], 61, v0
	s_waitcnt vmcnt(0)
	ds_write_b64 v128, v[126:127]
	s_waitcnt lgkmcnt(0)
	; wave barrier
	s_waitcnt lgkmcnt(0)
	s_and_saveexec_b64 s[6:7], s[4:5]
	s_cbranch_execz .LBB125_10
; %bb.5:
	s_and_b64 vcc, exec, s[8:9]
	s_cbranch_vccz .LBB125_7
; %bb.6:
	buffer_load_dword v126, v129, s[0:3], 0 offen
	buffer_load_dword v127, v129, s[0:3], 0 offen offset:4
	ds_read_b64 v[130:131], v128
	s_waitcnt vmcnt(0) lgkmcnt(0)
	v_mul_f64 v[126:127], v[126:127], v[130:131]
	s_cbranch_execz .LBB125_8
	s_branch .LBB125_9
.LBB125_7:
                                        ; implicit-def: $vgpr126_vgpr127
.LBB125_8:
	ds_read_b64 v[126:127], v128
.LBB125_9:
	v_mov_b32_e32 v130, 0
	ds_read_b64 v[130:131], v130 offset:480
	s_waitcnt lgkmcnt(0)
	v_mul_f64 v[126:127], v[126:127], v[130:131]
	buffer_store_dword v127, off, s[0:3], 0 offset:484
	buffer_store_dword v126, off, s[0:3], 0 offset:480
.LBB125_10:
	s_or_b64 exec, exec, s[6:7]
	buffer_load_dword v126, off, s[0:3], 0 offset:472
	buffer_load_dword v127, off, s[0:3], 0 offset:476
	v_or_b32_e32 v130, 8, v188
	v_add_u32_e32 v131, 16, v188
	v_add_u32_e32 v132, 24, v188
	;; [unrolled: 1-line block ×58, first 2 shown]
	v_cmp_lt_u32_e64 s[6:7], 59, v0
	s_waitcnt vmcnt(0)
	ds_write_b64 v128, v[126:127]
	s_waitcnt lgkmcnt(0)
	; wave barrier
	s_waitcnt lgkmcnt(0)
	s_and_saveexec_b64 s[10:11], s[6:7]
	s_cbranch_execz .LBB125_16
; %bb.11:
	s_andn2_b64 vcc, exec, s[8:9]
	s_cbranch_vccnz .LBB125_13
; %bb.12:
	buffer_load_dword v126, v129, s[0:3], 0 offen
	buffer_load_dword v127, v129, s[0:3], 0 offen offset:4
	ds_read_b64 v[190:191], v128
	s_waitcnt vmcnt(0) lgkmcnt(0)
	v_mul_f64 v[126:127], v[126:127], v[190:191]
	s_cbranch_execz .LBB125_14
	s_branch .LBB125_15
.LBB125_13:
                                        ; implicit-def: $vgpr126_vgpr127
.LBB125_14:
	ds_read_b64 v[126:127], v128
.LBB125_15:
	buffer_load_dword v194, off, s[0:3], 0 offset:480
	buffer_load_dword v195, off, s[0:3], 0 offset:484
	v_mov_b32_e32 v189, 0
	ds_read2_b64 v[190:193], v189 offset0:59 offset1:122
	s_waitcnt vmcnt(0) lgkmcnt(0)
	v_fma_f64 v[192:193], v[194:195], v[192:193], v[126:127]
	v_cndmask_b32_e64 v127, v127, v193, s[4:5]
	v_cndmask_b32_e64 v126, v126, v192, s[4:5]
	v_mul_f64 v[126:127], v[126:127], v[190:191]
	buffer_store_dword v127, off, s[0:3], 0 offset:476
	buffer_store_dword v126, off, s[0:3], 0 offset:472
.LBB125_16:
	s_or_b64 exec, exec, s[10:11]
	buffer_load_dword v126, off, s[0:3], 0 offset:464
	buffer_load_dword v127, off, s[0:3], 0 offset:468
	v_cmp_lt_u32_e64 s[4:5], 58, v0
	s_waitcnt vmcnt(0)
	ds_write_b64 v128, v[126:127]
	s_waitcnt lgkmcnt(0)
	; wave barrier
	s_waitcnt lgkmcnt(0)
	s_and_saveexec_b64 s[10:11], s[4:5]
	s_cbranch_execz .LBB125_26
; %bb.17:
	s_andn2_b64 vcc, exec, s[8:9]
	s_cbranch_vccnz .LBB125_19
; %bb.18:
	buffer_load_dword v126, v129, s[0:3], 0 offen
	buffer_load_dword v127, v129, s[0:3], 0 offen offset:4
	ds_read_b64 v[190:191], v128
	s_waitcnt vmcnt(0) lgkmcnt(0)
	v_mul_f64 v[126:127], v[126:127], v[190:191]
	s_cbranch_execz .LBB125_20
	s_branch .LBB125_21
.LBB125_19:
                                        ; implicit-def: $vgpr126_vgpr127
.LBB125_20:
	ds_read_b64 v[126:127], v128
.LBB125_21:
	s_and_saveexec_b64 s[12:13], s[6:7]
	s_cbranch_execz .LBB125_25
; %bb.22:
	v_subrev_u32_e32 v189, 59, v0
	s_movk_i32 s14, 0x3c8
	s_mov_b64 s[6:7], 0
.LBB125_23:                             ; =>This Inner Loop Header: Depth=1
	buffer_load_dword v190, v188, s[0:3], 0 offen
	buffer_load_dword v191, v188, s[0:3], 0 offen offset:4
	v_mov_b32_e32 v192, s14
	ds_read_b64 v[192:193], v192
	v_add_u32_e32 v189, -1, v189
	s_add_i32 s14, s14, 8
	v_cmp_eq_u32_e32 vcc, 0, v189
	v_add_u32_e32 v188, 8, v188
	s_or_b64 s[6:7], vcc, s[6:7]
	s_waitcnt vmcnt(0) lgkmcnt(0)
	v_fmac_f64_e32 v[126:127], v[190:191], v[192:193]
	s_andn2_b64 exec, exec, s[6:7]
	s_cbranch_execnz .LBB125_23
; %bb.24:
	s_or_b64 exec, exec, s[6:7]
.LBB125_25:
	s_or_b64 exec, exec, s[12:13]
	v_mov_b32_e32 v188, 0
	ds_read_b64 v[188:189], v188 offset:464
	s_waitcnt lgkmcnt(0)
	v_mul_f64 v[126:127], v[126:127], v[188:189]
	buffer_store_dword v127, off, s[0:3], 0 offset:468
	buffer_store_dword v126, off, s[0:3], 0 offset:464
.LBB125_26:
	s_or_b64 exec, exec, s[10:11]
	buffer_load_dword v126, off, s[0:3], 0 offset:456
	buffer_load_dword v127, off, s[0:3], 0 offset:460
	v_cmp_lt_u32_e64 s[6:7], 57, v0
	s_waitcnt vmcnt(0)
	ds_write_b64 v128, v[126:127]
	s_waitcnt lgkmcnt(0)
	; wave barrier
	s_waitcnt lgkmcnt(0)
	s_and_saveexec_b64 s[10:11], s[6:7]
	s_cbranch_execz .LBB125_36
; %bb.27:
	s_andn2_b64 vcc, exec, s[8:9]
	s_cbranch_vccnz .LBB125_29
; %bb.28:
	buffer_load_dword v126, v129, s[0:3], 0 offen
	buffer_load_dword v127, v129, s[0:3], 0 offen offset:4
	ds_read_b64 v[188:189], v128
	s_waitcnt vmcnt(0) lgkmcnt(0)
	v_mul_f64 v[126:127], v[126:127], v[188:189]
	s_cbranch_execz .LBB125_30
	s_branch .LBB125_31
.LBB125_29:
                                        ; implicit-def: $vgpr126_vgpr127
.LBB125_30:
	ds_read_b64 v[126:127], v128
.LBB125_31:
	s_and_saveexec_b64 s[12:13], s[4:5]
	s_cbranch_execz .LBB125_35
; %bb.32:
	v_subrev_u32_e32 v188, 58, v0
	s_movk_i32 s14, 0x3c0
	s_mov_b64 s[4:5], 0
.LBB125_33:                             ; =>This Inner Loop Header: Depth=1
	buffer_load_dword v190, v187, s[0:3], 0 offen
	buffer_load_dword v191, v187, s[0:3], 0 offen offset:4
	v_mov_b32_e32 v189, s14
	ds_read_b64 v[192:193], v189
	v_add_u32_e32 v188, -1, v188
	s_add_i32 s14, s14, 8
	v_cmp_eq_u32_e32 vcc, 0, v188
	v_add_u32_e32 v187, 8, v187
	s_or_b64 s[4:5], vcc, s[4:5]
	s_waitcnt vmcnt(0) lgkmcnt(0)
	v_fmac_f64_e32 v[126:127], v[190:191], v[192:193]
	s_andn2_b64 exec, exec, s[4:5]
	s_cbranch_execnz .LBB125_33
; %bb.34:
	s_or_b64 exec, exec, s[4:5]
.LBB125_35:
	s_or_b64 exec, exec, s[12:13]
	v_mov_b32_e32 v187, 0
	ds_read_b64 v[188:189], v187 offset:456
	s_waitcnt lgkmcnt(0)
	v_mul_f64 v[126:127], v[126:127], v[188:189]
	buffer_store_dword v127, off, s[0:3], 0 offset:460
	buffer_store_dword v126, off, s[0:3], 0 offset:456
.LBB125_36:
	;; [unrolled: 58-line block ×8, first 2 shown]
	s_or_b64 exec, exec, s[10:11]
	buffer_load_dword v126, off, s[0:3], 0 offset:400
	buffer_load_dword v127, off, s[0:3], 0 offset:404
	v_cmp_lt_u32_e64 s[4:5], 50, v0
	s_waitcnt vmcnt(0)
	ds_write_b64 v128, v[126:127]
	s_waitcnt lgkmcnt(0)
	; wave barrier
	s_waitcnt lgkmcnt(0)
	s_and_saveexec_b64 s[10:11], s[4:5]
	s_cbranch_execz .LBB125_106
; %bb.97:
	s_andn2_b64 vcc, exec, s[8:9]
	s_cbranch_vccnz .LBB125_99
; %bb.98:
	buffer_load_dword v126, v129, s[0:3], 0 offen
	buffer_load_dword v127, v129, s[0:3], 0 offen offset:4
	ds_read_b64 v[182:183], v128
	s_waitcnt vmcnt(0) lgkmcnt(0)
	v_mul_f64 v[126:127], v[126:127], v[182:183]
	s_cbranch_execz .LBB125_100
	s_branch .LBB125_101
.LBB125_99:
                                        ; implicit-def: $vgpr126_vgpr127
.LBB125_100:
	ds_read_b64 v[126:127], v128
.LBB125_101:
	s_and_saveexec_b64 s[12:13], s[6:7]
	s_cbranch_execz .LBB125_105
; %bb.102:
	v_subrev_u32_e32 v181, 51, v0
	s_movk_i32 s14, 0x388
	s_mov_b64 s[6:7], 0
.LBB125_103:                            ; =>This Inner Loop Header: Depth=1
	buffer_load_dword v182, v180, s[0:3], 0 offen
	buffer_load_dword v183, v180, s[0:3], 0 offen offset:4
	v_mov_b32_e32 v184, s14
	ds_read_b64 v[184:185], v184
	v_add_u32_e32 v181, -1, v181
	s_add_i32 s14, s14, 8
	v_cmp_eq_u32_e32 vcc, 0, v181
	v_add_u32_e32 v180, 8, v180
	s_or_b64 s[6:7], vcc, s[6:7]
	s_waitcnt vmcnt(0) lgkmcnt(0)
	v_fmac_f64_e32 v[126:127], v[182:183], v[184:185]
	s_andn2_b64 exec, exec, s[6:7]
	s_cbranch_execnz .LBB125_103
; %bb.104:
	s_or_b64 exec, exec, s[6:7]
.LBB125_105:
	s_or_b64 exec, exec, s[12:13]
	v_mov_b32_e32 v180, 0
	ds_read_b64 v[180:181], v180 offset:400
	s_waitcnt lgkmcnt(0)
	v_mul_f64 v[126:127], v[126:127], v[180:181]
	buffer_store_dword v127, off, s[0:3], 0 offset:404
	buffer_store_dword v126, off, s[0:3], 0 offset:400
.LBB125_106:
	s_or_b64 exec, exec, s[10:11]
	buffer_load_dword v126, off, s[0:3], 0 offset:392
	buffer_load_dword v127, off, s[0:3], 0 offset:396
	v_cmp_lt_u32_e64 s[6:7], 49, v0
	s_waitcnt vmcnt(0)
	ds_write_b64 v128, v[126:127]
	s_waitcnt lgkmcnt(0)
	; wave barrier
	s_waitcnt lgkmcnt(0)
	s_and_saveexec_b64 s[10:11], s[6:7]
	s_cbranch_execz .LBB125_116
; %bb.107:
	s_andn2_b64 vcc, exec, s[8:9]
	s_cbranch_vccnz .LBB125_109
; %bb.108:
	buffer_load_dword v126, v129, s[0:3], 0 offen
	buffer_load_dword v127, v129, s[0:3], 0 offen offset:4
	ds_read_b64 v[180:181], v128
	s_waitcnt vmcnt(0) lgkmcnt(0)
	v_mul_f64 v[126:127], v[126:127], v[180:181]
	s_cbranch_execz .LBB125_110
	s_branch .LBB125_111
.LBB125_109:
                                        ; implicit-def: $vgpr126_vgpr127
.LBB125_110:
	ds_read_b64 v[126:127], v128
.LBB125_111:
	s_and_saveexec_b64 s[12:13], s[4:5]
	s_cbranch_execz .LBB125_115
; %bb.112:
	v_subrev_u32_e32 v180, 50, v0
	s_movk_i32 s14, 0x380
	s_mov_b64 s[4:5], 0
.LBB125_113:                            ; =>This Inner Loop Header: Depth=1
	buffer_load_dword v182, v179, s[0:3], 0 offen
	buffer_load_dword v183, v179, s[0:3], 0 offen offset:4
	v_mov_b32_e32 v181, s14
	ds_read_b64 v[184:185], v181
	v_add_u32_e32 v180, -1, v180
	s_add_i32 s14, s14, 8
	v_cmp_eq_u32_e32 vcc, 0, v180
	v_add_u32_e32 v179, 8, v179
	s_or_b64 s[4:5], vcc, s[4:5]
	s_waitcnt vmcnt(0) lgkmcnt(0)
	v_fmac_f64_e32 v[126:127], v[182:183], v[184:185]
	s_andn2_b64 exec, exec, s[4:5]
	s_cbranch_execnz .LBB125_113
; %bb.114:
	s_or_b64 exec, exec, s[4:5]
.LBB125_115:
	s_or_b64 exec, exec, s[12:13]
	v_mov_b32_e32 v179, 0
	ds_read_b64 v[180:181], v179 offset:392
	s_waitcnt lgkmcnt(0)
	v_mul_f64 v[126:127], v[126:127], v[180:181]
	buffer_store_dword v127, off, s[0:3], 0 offset:396
	buffer_store_dword v126, off, s[0:3], 0 offset:392
.LBB125_116:
	;; [unrolled: 58-line block ×35, first 2 shown]
	s_or_b64 exec, exec, s[10:11]
	buffer_load_dword v126, off, s[0:3], 0 offset:120
	buffer_load_dword v127, off, s[0:3], 0 offset:124
	v_cmp_lt_u32_e64 s[6:7], 15, v0
	s_waitcnt vmcnt(0)
	ds_write_b64 v128, v[126:127]
	s_waitcnt lgkmcnt(0)
	; wave barrier
	s_waitcnt lgkmcnt(0)
	s_and_saveexec_b64 s[10:11], s[6:7]
	s_cbranch_execz .LBB125_456
; %bb.447:
	s_andn2_b64 vcc, exec, s[8:9]
	s_cbranch_vccnz .LBB125_449
; %bb.448:
	buffer_load_dword v126, v129, s[0:3], 0 offen
	buffer_load_dword v127, v129, s[0:3], 0 offen offset:4
	ds_read_b64 v[146:147], v128
	s_waitcnt vmcnt(0) lgkmcnt(0)
	v_mul_f64 v[126:127], v[126:127], v[146:147]
	s_cbranch_execz .LBB125_450
	s_branch .LBB125_451
.LBB125_449:
                                        ; implicit-def: $vgpr126_vgpr127
.LBB125_450:
	ds_read_b64 v[126:127], v128
.LBB125_451:
	s_and_saveexec_b64 s[12:13], s[4:5]
	s_cbranch_execz .LBB125_455
; %bb.452:
	v_add_u32_e32 v146, -16, v0
	s_movk_i32 s14, 0x270
	s_mov_b64 s[4:5], 0
.LBB125_453:                            ; =>This Inner Loop Header: Depth=1
	buffer_load_dword v148, v145, s[0:3], 0 offen
	buffer_load_dword v149, v145, s[0:3], 0 offen offset:4
	v_mov_b32_e32 v147, s14
	ds_read_b64 v[150:151], v147
	v_add_u32_e32 v146, -1, v146
	s_add_i32 s14, s14, 8
	v_cmp_eq_u32_e32 vcc, 0, v146
	v_add_u32_e32 v145, 8, v145
	s_or_b64 s[4:5], vcc, s[4:5]
	s_waitcnt vmcnt(0) lgkmcnt(0)
	v_fmac_f64_e32 v[126:127], v[148:149], v[150:151]
	s_andn2_b64 exec, exec, s[4:5]
	s_cbranch_execnz .LBB125_453
; %bb.454:
	s_or_b64 exec, exec, s[4:5]
.LBB125_455:
	s_or_b64 exec, exec, s[12:13]
	v_mov_b32_e32 v145, 0
	ds_read_b64 v[146:147], v145 offset:120
	s_waitcnt lgkmcnt(0)
	v_mul_f64 v[126:127], v[126:127], v[146:147]
	buffer_store_dword v127, off, s[0:3], 0 offset:124
	buffer_store_dword v126, off, s[0:3], 0 offset:120
.LBB125_456:
	s_or_b64 exec, exec, s[10:11]
	buffer_load_dword v126, off, s[0:3], 0 offset:112
	buffer_load_dword v127, off, s[0:3], 0 offset:116
	v_cmp_lt_u32_e64 s[4:5], 14, v0
	s_waitcnt vmcnt(0)
	ds_write_b64 v128, v[126:127]
	s_waitcnt lgkmcnt(0)
	; wave barrier
	s_waitcnt lgkmcnt(0)
	s_and_saveexec_b64 s[10:11], s[4:5]
	s_cbranch_execz .LBB125_466
; %bb.457:
	s_andn2_b64 vcc, exec, s[8:9]
	s_cbranch_vccnz .LBB125_459
; %bb.458:
	buffer_load_dword v126, v129, s[0:3], 0 offen
	buffer_load_dword v127, v129, s[0:3], 0 offen offset:4
	ds_read_b64 v[146:147], v128
	s_waitcnt vmcnt(0) lgkmcnt(0)
	v_mul_f64 v[126:127], v[126:127], v[146:147]
	s_cbranch_execz .LBB125_460
	s_branch .LBB125_461
.LBB125_459:
                                        ; implicit-def: $vgpr126_vgpr127
.LBB125_460:
	ds_read_b64 v[126:127], v128
.LBB125_461:
	s_and_saveexec_b64 s[12:13], s[6:7]
	s_cbranch_execz .LBB125_465
; %bb.462:
	v_add_u32_e32 v145, -15, v0
	s_movk_i32 s14, 0x268
	s_mov_b64 s[6:7], 0
.LBB125_463:                            ; =>This Inner Loop Header: Depth=1
	buffer_load_dword v146, v144, s[0:3], 0 offen
	buffer_load_dword v147, v144, s[0:3], 0 offen offset:4
	v_mov_b32_e32 v148, s14
	ds_read_b64 v[148:149], v148
	v_add_u32_e32 v145, -1, v145
	s_add_i32 s14, s14, 8
	v_cmp_eq_u32_e32 vcc, 0, v145
	v_add_u32_e32 v144, 8, v144
	s_or_b64 s[6:7], vcc, s[6:7]
	s_waitcnt vmcnt(0) lgkmcnt(0)
	v_fmac_f64_e32 v[126:127], v[146:147], v[148:149]
	s_andn2_b64 exec, exec, s[6:7]
	s_cbranch_execnz .LBB125_463
; %bb.464:
	s_or_b64 exec, exec, s[6:7]
.LBB125_465:
	s_or_b64 exec, exec, s[12:13]
	v_mov_b32_e32 v144, 0
	ds_read_b64 v[144:145], v144 offset:112
	s_waitcnt lgkmcnt(0)
	v_mul_f64 v[126:127], v[126:127], v[144:145]
	buffer_store_dword v127, off, s[0:3], 0 offset:116
	buffer_store_dword v126, off, s[0:3], 0 offset:112
.LBB125_466:
	;; [unrolled: 58-line block ×15, first 2 shown]
	s_or_b64 exec, exec, s[10:11]
	buffer_load_dword v126, off, s[0:3], 0
	buffer_load_dword v127, off, s[0:3], 0 offset:4
	v_cmp_ne_u32_e32 vcc, 0, v0
	s_waitcnt vmcnt(0)
	ds_write_b64 v128, v[126:127]
	s_waitcnt lgkmcnt(0)
	; wave barrier
	s_waitcnt lgkmcnt(0)
	s_and_saveexec_b64 s[4:5], vcc
	s_cbranch_execz .LBB125_606
; %bb.597:
	s_andn2_b64 vcc, exec, s[8:9]
	s_cbranch_vccnz .LBB125_599
; %bb.598:
	buffer_load_dword v126, v129, s[0:3], 0 offen
	buffer_load_dword v127, v129, s[0:3], 0 offen offset:4
	ds_read_b64 v[132:133], v128
	s_waitcnt vmcnt(0) lgkmcnt(0)
	v_mul_f64 v[126:127], v[126:127], v[132:133]
	s_cbranch_execz .LBB125_600
	s_branch .LBB125_601
.LBB125_599:
                                        ; implicit-def: $vgpr126_vgpr127
.LBB125_600:
	ds_read_b64 v[126:127], v128
.LBB125_601:
	s_and_saveexec_b64 s[10:11], s[6:7]
	s_cbranch_execz .LBB125_605
; %bb.602:
	v_add_u32_e32 v131, -1, v0
	s_movk_i32 s12, 0x1f8
	s_mov_b64 s[6:7], 0
.LBB125_603:                            ; =>This Inner Loop Header: Depth=1
	buffer_load_dword v132, v130, s[0:3], 0 offen
	buffer_load_dword v133, v130, s[0:3], 0 offen offset:4
	v_mov_b32_e32 v134, s12
	ds_read_b64 v[134:135], v134
	v_add_u32_e32 v131, -1, v131
	s_add_i32 s12, s12, 8
	v_cmp_eq_u32_e32 vcc, 0, v131
	v_add_u32_e32 v130, 8, v130
	s_or_b64 s[6:7], vcc, s[6:7]
	s_waitcnt vmcnt(0) lgkmcnt(0)
	v_fmac_f64_e32 v[126:127], v[132:133], v[134:135]
	s_andn2_b64 exec, exec, s[6:7]
	s_cbranch_execnz .LBB125_603
; %bb.604:
	s_or_b64 exec, exec, s[6:7]
.LBB125_605:
	s_or_b64 exec, exec, s[10:11]
	v_mov_b32_e32 v130, 0
	ds_read_b64 v[130:131], v130
	s_waitcnt lgkmcnt(0)
	v_mul_f64 v[126:127], v[126:127], v[130:131]
	buffer_store_dword v127, off, s[0:3], 0 offset:4
	buffer_store_dword v126, off, s[0:3], 0
.LBB125_606:
	s_or_b64 exec, exec, s[4:5]
	s_mov_b64 s[4:5], 0
.LBB125_607:
	s_and_b64 vcc, exec, s[4:5]
	s_cbranch_vccz .LBB125_1211
; %bb.608:
	buffer_load_dword v126, off, s[0:3], 0 offset:8
	buffer_load_dword v127, off, s[0:3], 0 offset:12
	v_cmp_eq_u32_e64 s[6:7], 0, v0
	s_waitcnt vmcnt(0)
	ds_write_b64 v128, v[126:127]
	s_waitcnt lgkmcnt(0)
	; wave barrier
	s_waitcnt lgkmcnt(0)
	s_and_saveexec_b64 s[4:5], s[6:7]
	s_cbranch_execz .LBB125_614
; %bb.609:
	s_and_b64 vcc, exec, s[8:9]
	s_cbranch_vccz .LBB125_611
; %bb.610:
	buffer_load_dword v126, v129, s[0:3], 0 offen
	buffer_load_dword v127, v129, s[0:3], 0 offen offset:4
	ds_read_b64 v[130:131], v128
	s_waitcnt vmcnt(0) lgkmcnt(0)
	v_mul_f64 v[126:127], v[126:127], v[130:131]
	s_cbranch_execz .LBB125_612
	s_branch .LBB125_613
.LBB125_611:
                                        ; implicit-def: $vgpr126_vgpr127
.LBB125_612:
	ds_read_b64 v[126:127], v128
.LBB125_613:
	v_mov_b32_e32 v130, 0
	ds_read_b64 v[130:131], v130 offset:8
	s_waitcnt lgkmcnt(0)
	v_mul_f64 v[126:127], v[126:127], v[130:131]
	buffer_store_dword v127, off, s[0:3], 0 offset:12
	buffer_store_dword v126, off, s[0:3], 0 offset:8
.LBB125_614:
	s_or_b64 exec, exec, s[4:5]
	buffer_load_dword v126, off, s[0:3], 0 offset:16
	buffer_load_dword v127, off, s[0:3], 0 offset:20
	v_cndmask_b32_e64 v130, 0, 1, s[8:9]
	v_cmp_gt_u32_e32 vcc, 2, v0
	v_cmp_ne_u32_e64 s[4:5], 1, v130
	s_waitcnt vmcnt(0)
	ds_write_b64 v128, v[126:127]
	s_waitcnt lgkmcnt(0)
	; wave barrier
	s_waitcnt lgkmcnt(0)
	s_and_saveexec_b64 s[8:9], vcc
	s_cbranch_execz .LBB125_622
; %bb.615:
	s_and_b64 vcc, exec, s[4:5]
	s_cbranch_vccnz .LBB125_617
; %bb.616:
	buffer_load_dword v126, v129, s[0:3], 0 offen
	buffer_load_dword v127, v129, s[0:3], 0 offen offset:4
	ds_read_b64 v[130:131], v128
	s_waitcnt vmcnt(0) lgkmcnt(0)
	v_mul_f64 v[126:127], v[126:127], v[130:131]
	s_cbranch_execz .LBB125_618
	s_branch .LBB125_619
.LBB125_617:
                                        ; implicit-def: $vgpr126_vgpr127
.LBB125_618:
	ds_read_b64 v[126:127], v128
.LBB125_619:
	s_and_saveexec_b64 s[10:11], s[6:7]
	s_cbranch_execz .LBB125_621
; %bb.620:
	buffer_load_dword v130, v129, s[0:3], 0 offen offset:8
	buffer_load_dword v131, v129, s[0:3], 0 offen offset:12
	ds_read_b64 v[132:133], v128 offset:8
	s_waitcnt vmcnt(0) lgkmcnt(0)
	v_fmac_f64_e32 v[126:127], v[130:131], v[132:133]
.LBB125_621:
	s_or_b64 exec, exec, s[10:11]
	v_mov_b32_e32 v130, 0
	ds_read_b64 v[130:131], v130 offset:16
	s_waitcnt lgkmcnt(0)
	v_mul_f64 v[126:127], v[126:127], v[130:131]
	buffer_store_dword v127, off, s[0:3], 0 offset:20
	buffer_store_dword v126, off, s[0:3], 0 offset:16
.LBB125_622:
	s_or_b64 exec, exec, s[8:9]
	buffer_load_dword v126, off, s[0:3], 0 offset:24
	buffer_load_dword v127, off, s[0:3], 0 offset:28
	v_cmp_gt_u32_e32 vcc, 3, v0
	s_waitcnt vmcnt(0)
	ds_write_b64 v128, v[126:127]
	s_waitcnt lgkmcnt(0)
	; wave barrier
	s_waitcnt lgkmcnt(0)
	s_and_saveexec_b64 s[8:9], vcc
	s_cbranch_execz .LBB125_630
; %bb.623:
	s_and_b64 vcc, exec, s[4:5]
	s_cbranch_vccnz .LBB125_625
; %bb.624:
	buffer_load_dword v126, v129, s[0:3], 0 offen
	buffer_load_dword v127, v129, s[0:3], 0 offen offset:4
	ds_read_b64 v[130:131], v128
	s_waitcnt vmcnt(0) lgkmcnt(0)
	v_mul_f64 v[126:127], v[126:127], v[130:131]
	s_cbranch_execz .LBB125_626
	s_branch .LBB125_627
.LBB125_625:
                                        ; implicit-def: $vgpr126_vgpr127
.LBB125_626:
	ds_read_b64 v[126:127], v128
.LBB125_627:
	v_cmp_ne_u32_e32 vcc, 2, v0
	s_and_saveexec_b64 s[10:11], vcc
	s_cbranch_execz .LBB125_629
; %bb.628:
	buffer_load_dword v131, v129, s[0:3], 0 offen offset:12
	buffer_load_dword v132, off, s[0:3], 0 offset:16
	buffer_load_dword v130, v129, s[0:3], 0 offen offset:8
	buffer_load_dword v133, off, s[0:3], 0 offset:20
	v_mov_b32_e32 v136, 0
	ds_read_b64 v[134:135], v128 offset:8
	ds_read_b64 v[136:137], v136 offset:512
	s_waitcnt vmcnt(1) lgkmcnt(1)
	v_fmac_f64_e32 v[126:127], v[130:131], v[134:135]
	s_waitcnt vmcnt(0) lgkmcnt(0)
	v_fma_f64 v[130:131], v[132:133], v[136:137], v[126:127]
	v_cndmask_b32_e64 v127, v127, v131, s[6:7]
	v_cndmask_b32_e64 v126, v126, v130, s[6:7]
.LBB125_629:
	s_or_b64 exec, exec, s[10:11]
	v_mov_b32_e32 v130, 0
	ds_read_b64 v[130:131], v130 offset:24
	s_waitcnt lgkmcnt(0)
	v_mul_f64 v[126:127], v[126:127], v[130:131]
	buffer_store_dword v127, off, s[0:3], 0 offset:28
	buffer_store_dword v126, off, s[0:3], 0 offset:24
.LBB125_630:
	s_or_b64 exec, exec, s[8:9]
	buffer_load_dword v126, off, s[0:3], 0 offset:32
	buffer_load_dword v127, off, s[0:3], 0 offset:36
	v_cmp_gt_u32_e32 vcc, 4, v0
	s_waitcnt vmcnt(0)
	ds_write_b64 v128, v[126:127]
	s_waitcnt lgkmcnt(0)
	; wave barrier
	s_waitcnt lgkmcnt(0)
	s_and_saveexec_b64 s[6:7], vcc
	s_cbranch_execz .LBB125_640
; %bb.631:
	s_and_b64 vcc, exec, s[4:5]
	s_cbranch_vccnz .LBB125_633
; %bb.632:
	buffer_load_dword v126, v129, s[0:3], 0 offen
	buffer_load_dword v127, v129, s[0:3], 0 offen offset:4
	ds_read_b64 v[130:131], v128
	s_waitcnt vmcnt(0) lgkmcnt(0)
	v_mul_f64 v[126:127], v[126:127], v[130:131]
	s_cbranch_execz .LBB125_634
	s_branch .LBB125_635
.LBB125_633:
                                        ; implicit-def: $vgpr126_vgpr127
.LBB125_634:
	ds_read_b64 v[126:127], v128
.LBB125_635:
	v_cmp_ne_u32_e32 vcc, 3, v0
	s_and_saveexec_b64 s[8:9], vcc
	s_cbranch_execz .LBB125_639
; %bb.636:
	v_mov_b32_e32 v131, 0
	v_add_u32_e32 v130, 0x1f8, v1
	v_add3_u32 v131, v1, v131, 8
	s_mov_b64 s[10:11], 0
	v_mov_b32_e32 v132, v0
.LBB125_637:                            ; =>This Inner Loop Header: Depth=1
	buffer_load_dword v134, v131, s[0:3], 0 offen
	buffer_load_dword v135, v131, s[0:3], 0 offen offset:4
	ds_read_b64 v[136:137], v130
	v_add_u32_e32 v132, 1, v132
	v_cmp_lt_u32_e32 vcc, 2, v132
	v_add_u32_e32 v130, 8, v130
	v_add_u32_e32 v131, 8, v131
	s_or_b64 s[10:11], vcc, s[10:11]
	s_waitcnt vmcnt(0) lgkmcnt(0)
	v_fmac_f64_e32 v[126:127], v[134:135], v[136:137]
	s_andn2_b64 exec, exec, s[10:11]
	s_cbranch_execnz .LBB125_637
; %bb.638:
	s_or_b64 exec, exec, s[10:11]
.LBB125_639:
	s_or_b64 exec, exec, s[8:9]
	v_mov_b32_e32 v130, 0
	ds_read_b64 v[130:131], v130 offset:32
	s_waitcnt lgkmcnt(0)
	v_mul_f64 v[126:127], v[126:127], v[130:131]
	buffer_store_dword v127, off, s[0:3], 0 offset:36
	buffer_store_dword v126, off, s[0:3], 0 offset:32
.LBB125_640:
	s_or_b64 exec, exec, s[6:7]
	buffer_load_dword v126, off, s[0:3], 0 offset:40
	buffer_load_dword v127, off, s[0:3], 0 offset:44
	v_cmp_gt_u32_e32 vcc, 5, v0
	s_waitcnt vmcnt(0)
	ds_write_b64 v128, v[126:127]
	s_waitcnt lgkmcnt(0)
	; wave barrier
	s_waitcnt lgkmcnt(0)
	s_and_saveexec_b64 s[6:7], vcc
	s_cbranch_execz .LBB125_650
; %bb.641:
	s_and_b64 vcc, exec, s[4:5]
	s_cbranch_vccnz .LBB125_643
; %bb.642:
	buffer_load_dword v126, v129, s[0:3], 0 offen
	buffer_load_dword v127, v129, s[0:3], 0 offen offset:4
	ds_read_b64 v[130:131], v128
	s_waitcnt vmcnt(0) lgkmcnt(0)
	v_mul_f64 v[126:127], v[126:127], v[130:131]
	s_cbranch_execz .LBB125_644
	s_branch .LBB125_645
.LBB125_643:
                                        ; implicit-def: $vgpr126_vgpr127
.LBB125_644:
	ds_read_b64 v[126:127], v128
.LBB125_645:
	v_cmp_ne_u32_e32 vcc, 4, v0
	s_and_saveexec_b64 s[8:9], vcc
	s_cbranch_execz .LBB125_649
; %bb.646:
	v_mov_b32_e32 v131, 0
	v_add_u32_e32 v130, 0x1f8, v1
	v_add3_u32 v131, v1, v131, 8
	s_mov_b64 s[10:11], 0
	v_mov_b32_e32 v132, v0
.LBB125_647:                            ; =>This Inner Loop Header: Depth=1
	buffer_load_dword v134, v131, s[0:3], 0 offen
	buffer_load_dword v135, v131, s[0:3], 0 offen offset:4
	ds_read_b64 v[136:137], v130
	v_add_u32_e32 v132, 1, v132
	v_cmp_lt_u32_e32 vcc, 3, v132
	v_add_u32_e32 v130, 8, v130
	v_add_u32_e32 v131, 8, v131
	s_or_b64 s[10:11], vcc, s[10:11]
	s_waitcnt vmcnt(0) lgkmcnt(0)
	v_fmac_f64_e32 v[126:127], v[134:135], v[136:137]
	s_andn2_b64 exec, exec, s[10:11]
	s_cbranch_execnz .LBB125_647
; %bb.648:
	s_or_b64 exec, exec, s[10:11]
.LBB125_649:
	s_or_b64 exec, exec, s[8:9]
	v_mov_b32_e32 v130, 0
	ds_read_b64 v[130:131], v130 offset:40
	s_waitcnt lgkmcnt(0)
	v_mul_f64 v[126:127], v[126:127], v[130:131]
	buffer_store_dword v127, off, s[0:3], 0 offset:44
	buffer_store_dword v126, off, s[0:3], 0 offset:40
.LBB125_650:
	;; [unrolled: 60-line block ×37, first 2 shown]
	s_or_b64 exec, exec, s[6:7]
	buffer_load_dword v126, off, s[0:3], 0 offset:328
	buffer_load_dword v127, off, s[0:3], 0 offset:332
	v_cmp_gt_u32_e32 vcc, 41, v0
	s_waitcnt vmcnt(0)
	ds_write_b64 v128, v[126:127]
	s_waitcnt lgkmcnt(0)
	; wave barrier
	s_waitcnt lgkmcnt(0)
	s_and_saveexec_b64 s[6:7], vcc
	s_cbranch_execz .LBB125_1010
; %bb.1001:
	s_and_b64 vcc, exec, s[4:5]
	s_cbranch_vccnz .LBB125_1003
; %bb.1002:
	buffer_load_dword v126, v129, s[0:3], 0 offen
	buffer_load_dword v127, v129, s[0:3], 0 offen offset:4
	ds_read_b64 v[130:131], v128
	s_waitcnt vmcnt(0) lgkmcnt(0)
	v_mul_f64 v[126:127], v[126:127], v[130:131]
	s_cbranch_execz .LBB125_1004
	s_branch .LBB125_1005
.LBB125_1003:
                                        ; implicit-def: $vgpr126_vgpr127
.LBB125_1004:
	ds_read_b64 v[126:127], v128
.LBB125_1005:
	v_cmp_ne_u32_e32 vcc, 40, v0
	s_and_saveexec_b64 s[8:9], vcc
	s_cbranch_execz .LBB125_1009
; %bb.1006:
	v_mov_b32_e32 v131, 0
	v_add_u32_e32 v130, 0x1f8, v1
	v_add3_u32 v131, v1, v131, 8
	s_mov_b64 s[10:11], 0
	v_mov_b32_e32 v132, v0
.LBB125_1007:                           ; =>This Inner Loop Header: Depth=1
	buffer_load_dword v134, v131, s[0:3], 0 offen
	buffer_load_dword v135, v131, s[0:3], 0 offen offset:4
	ds_read_b64 v[136:137], v130
	v_add_u32_e32 v132, 1, v132
	v_cmp_lt_u32_e32 vcc, 39, v132
	v_add_u32_e32 v130, 8, v130
	v_add_u32_e32 v131, 8, v131
	s_or_b64 s[10:11], vcc, s[10:11]
	s_waitcnt vmcnt(0) lgkmcnt(0)
	v_fmac_f64_e32 v[126:127], v[134:135], v[136:137]
	s_andn2_b64 exec, exec, s[10:11]
	s_cbranch_execnz .LBB125_1007
; %bb.1008:
	s_or_b64 exec, exec, s[10:11]
.LBB125_1009:
	s_or_b64 exec, exec, s[8:9]
	v_mov_b32_e32 v130, 0
	ds_read_b64 v[130:131], v130 offset:328
	s_waitcnt lgkmcnt(0)
	v_mul_f64 v[126:127], v[126:127], v[130:131]
	buffer_store_dword v127, off, s[0:3], 0 offset:332
	buffer_store_dword v126, off, s[0:3], 0 offset:328
.LBB125_1010:
	s_or_b64 exec, exec, s[6:7]
	buffer_load_dword v126, off, s[0:3], 0 offset:336
	buffer_load_dword v127, off, s[0:3], 0 offset:340
	v_cmp_gt_u32_e32 vcc, 42, v0
	s_waitcnt vmcnt(0)
	ds_write_b64 v128, v[126:127]
	s_waitcnt lgkmcnt(0)
	; wave barrier
	s_waitcnt lgkmcnt(0)
	s_and_saveexec_b64 s[6:7], vcc
	s_cbranch_execz .LBB125_1020
; %bb.1011:
	s_and_b64 vcc, exec, s[4:5]
	s_cbranch_vccnz .LBB125_1013
; %bb.1012:
	buffer_load_dword v126, v129, s[0:3], 0 offen
	buffer_load_dword v127, v129, s[0:3], 0 offen offset:4
	ds_read_b64 v[130:131], v128
	s_waitcnt vmcnt(0) lgkmcnt(0)
	v_mul_f64 v[126:127], v[126:127], v[130:131]
	s_cbranch_execz .LBB125_1014
	s_branch .LBB125_1015
.LBB125_1013:
                                        ; implicit-def: $vgpr126_vgpr127
.LBB125_1014:
	ds_read_b64 v[126:127], v128
.LBB125_1015:
	v_cmp_ne_u32_e32 vcc, 41, v0
	s_and_saveexec_b64 s[8:9], vcc
	s_cbranch_execz .LBB125_1019
; %bb.1016:
	v_mov_b32_e32 v131, 0
	v_add_u32_e32 v130, 0x1f8, v1
	v_add3_u32 v131, v1, v131, 8
	s_mov_b64 s[10:11], 0
	v_mov_b32_e32 v132, v0
.LBB125_1017:                           ; =>This Inner Loop Header: Depth=1
	buffer_load_dword v134, v131, s[0:3], 0 offen
	buffer_load_dword v135, v131, s[0:3], 0 offen offset:4
	ds_read_b64 v[136:137], v130
	v_add_u32_e32 v132, 1, v132
	v_cmp_lt_u32_e32 vcc, 40, v132
	v_add_u32_e32 v130, 8, v130
	v_add_u32_e32 v131, 8, v131
	s_or_b64 s[10:11], vcc, s[10:11]
	s_waitcnt vmcnt(0) lgkmcnt(0)
	v_fmac_f64_e32 v[126:127], v[134:135], v[136:137]
	s_andn2_b64 exec, exec, s[10:11]
	s_cbranch_execnz .LBB125_1017
; %bb.1018:
	s_or_b64 exec, exec, s[10:11]
.LBB125_1019:
	s_or_b64 exec, exec, s[8:9]
	v_mov_b32_e32 v130, 0
	ds_read_b64 v[130:131], v130 offset:336
	s_waitcnt lgkmcnt(0)
	v_mul_f64 v[126:127], v[126:127], v[130:131]
	buffer_store_dword v127, off, s[0:3], 0 offset:340
	buffer_store_dword v126, off, s[0:3], 0 offset:336
.LBB125_1020:
	;; [unrolled: 60-line block ×19, first 2 shown]
	s_or_b64 exec, exec, s[6:7]
	buffer_load_dword v126, off, s[0:3], 0 offset:480
	buffer_load_dword v127, off, s[0:3], 0 offset:484
	v_cmp_gt_u32_e64 s[6:7], 60, v0
	s_waitcnt vmcnt(0)
	ds_write_b64 v128, v[126:127]
	s_waitcnt lgkmcnt(0)
	; wave barrier
	s_waitcnt lgkmcnt(0)
	s_and_saveexec_b64 s[8:9], s[6:7]
	s_cbranch_execz .LBB125_1200
; %bb.1191:
	s_and_b64 vcc, exec, s[4:5]
	s_cbranch_vccnz .LBB125_1193
; %bb.1192:
	buffer_load_dword v126, v129, s[0:3], 0 offen
	buffer_load_dword v127, v129, s[0:3], 0 offen offset:4
	ds_read_b64 v[130:131], v128
	s_waitcnt vmcnt(0) lgkmcnt(0)
	v_mul_f64 v[126:127], v[126:127], v[130:131]
	s_cbranch_execz .LBB125_1194
	s_branch .LBB125_1195
.LBB125_1193:
                                        ; implicit-def: $vgpr126_vgpr127
.LBB125_1194:
	ds_read_b64 v[126:127], v128
.LBB125_1195:
	v_cmp_ne_u32_e32 vcc, 59, v0
	s_and_saveexec_b64 s[10:11], vcc
	s_cbranch_execz .LBB125_1199
; %bb.1196:
	v_mov_b32_e32 v131, 0
	v_add_u32_e32 v130, 0x1f8, v1
	v_add3_u32 v131, v1, v131, 8
	s_mov_b64 s[12:13], 0
	v_mov_b32_e32 v132, v0
.LBB125_1197:                           ; =>This Inner Loop Header: Depth=1
	buffer_load_dword v134, v131, s[0:3], 0 offen
	buffer_load_dword v135, v131, s[0:3], 0 offen offset:4
	ds_read_b64 v[136:137], v130
	v_add_u32_e32 v132, 1, v132
	v_cmp_lt_u32_e32 vcc, 58, v132
	v_add_u32_e32 v130, 8, v130
	v_add_u32_e32 v131, 8, v131
	s_or_b64 s[12:13], vcc, s[12:13]
	s_waitcnt vmcnt(0) lgkmcnt(0)
	v_fmac_f64_e32 v[126:127], v[134:135], v[136:137]
	s_andn2_b64 exec, exec, s[12:13]
	s_cbranch_execnz .LBB125_1197
; %bb.1198:
	s_or_b64 exec, exec, s[12:13]
.LBB125_1199:
	s_or_b64 exec, exec, s[10:11]
	v_mov_b32_e32 v130, 0
	ds_read_b64 v[130:131], v130 offset:480
	s_waitcnt lgkmcnt(0)
	v_mul_f64 v[126:127], v[126:127], v[130:131]
	buffer_store_dword v127, off, s[0:3], 0 offset:484
	buffer_store_dword v126, off, s[0:3], 0 offset:480
.LBB125_1200:
	s_or_b64 exec, exec, s[8:9]
	buffer_load_dword v126, off, s[0:3], 0 offset:488
	buffer_load_dword v127, off, s[0:3], 0 offset:492
	v_cmp_ne_u32_e32 vcc, 61, v0
	s_waitcnt vmcnt(0)
	ds_write_b64 v128, v[126:127]
	s_waitcnt lgkmcnt(0)
	; wave barrier
	s_waitcnt lgkmcnt(0)
	s_and_saveexec_b64 s[8:9], vcc
	s_cbranch_execz .LBB125_1210
; %bb.1201:
	s_and_b64 vcc, exec, s[4:5]
	s_cbranch_vccnz .LBB125_1203
; %bb.1202:
	buffer_load_dword v126, v129, s[0:3], 0 offen
	buffer_load_dword v127, v129, s[0:3], 0 offen offset:4
	ds_read_b64 v[130:131], v128
	s_waitcnt vmcnt(0) lgkmcnt(0)
	v_mul_f64 v[126:127], v[126:127], v[130:131]
	s_cbranch_execz .LBB125_1204
	s_branch .LBB125_1205
.LBB125_1203:
                                        ; implicit-def: $vgpr126_vgpr127
.LBB125_1204:
	ds_read_b64 v[126:127], v128
.LBB125_1205:
	s_and_saveexec_b64 s[4:5], s[6:7]
	s_cbranch_execz .LBB125_1209
; %bb.1206:
	v_mov_b32_e32 v129, 0
	v_add_u32_e32 v128, 0x1f8, v1
	v_add3_u32 v1, v1, v129, 8
	s_mov_b64 s[6:7], 0
.LBB125_1207:                           ; =>This Inner Loop Header: Depth=1
	buffer_load_dword v130, v1, s[0:3], 0 offen
	buffer_load_dword v131, v1, s[0:3], 0 offen offset:4
	ds_read_b64 v[132:133], v128
	v_add_u32_e32 v0, 1, v0
	v_cmp_lt_u32_e32 vcc, 59, v0
	v_add_u32_e32 v128, 8, v128
	v_add_u32_e32 v1, 8, v1
	s_or_b64 s[6:7], vcc, s[6:7]
	s_waitcnt vmcnt(0) lgkmcnt(0)
	v_fmac_f64_e32 v[126:127], v[130:131], v[132:133]
	s_andn2_b64 exec, exec, s[6:7]
	s_cbranch_execnz .LBB125_1207
; %bb.1208:
	s_or_b64 exec, exec, s[6:7]
.LBB125_1209:
	s_or_b64 exec, exec, s[4:5]
	v_mov_b32_e32 v0, 0
	ds_read_b64 v[0:1], v0 offset:488
	s_waitcnt lgkmcnt(0)
	v_mul_f64 v[0:1], v[126:127], v[0:1]
	buffer_store_dword v1, off, s[0:3], 0 offset:492
	buffer_store_dword v0, off, s[0:3], 0 offset:488
.LBB125_1210:
	s_or_b64 exec, exec, s[8:9]
.LBB125_1211:
	buffer_load_dword v0, off, s[0:3], 0
	buffer_load_dword v1, off, s[0:3], 0 offset:4
	buffer_load_dword v126, off, s[0:3], 0 offset:8
	buffer_load_dword v127, off, s[0:3], 0 offset:12
	buffer_load_dword v128, off, s[0:3], 0 offset:16
	buffer_load_dword v129, off, s[0:3], 0 offset:20
	buffer_load_dword v130, off, s[0:3], 0 offset:24
	buffer_load_dword v131, off, s[0:3], 0 offset:28
	buffer_load_dword v132, off, s[0:3], 0 offset:32
	buffer_load_dword v133, off, s[0:3], 0 offset:36
	buffer_load_dword v134, off, s[0:3], 0 offset:40
	buffer_load_dword v135, off, s[0:3], 0 offset:44
	buffer_load_dword v136, off, s[0:3], 0 offset:48
	buffer_load_dword v137, off, s[0:3], 0 offset:52
	buffer_load_dword v138, off, s[0:3], 0 offset:56
	buffer_load_dword v139, off, s[0:3], 0 offset:60
	buffer_load_dword v140, off, s[0:3], 0 offset:72
	buffer_load_dword v141, off, s[0:3], 0 offset:76
	buffer_load_dword v142, off, s[0:3], 0 offset:80
	buffer_load_dword v143, off, s[0:3], 0 offset:84
	buffer_load_dword v144, off, s[0:3], 0 offset:88
	buffer_load_dword v145, off, s[0:3], 0 offset:92
	buffer_load_dword v147, off, s[0:3], 0 offset:68
	buffer_load_dword v146, off, s[0:3], 0 offset:64
	buffer_load_dword v148, off, s[0:3], 0 offset:96
	buffer_load_dword v149, off, s[0:3], 0 offset:100
	buffer_load_dword v150, off, s[0:3], 0 offset:104
	buffer_load_dword v151, off, s[0:3], 0 offset:108
	buffer_load_dword v152, off, s[0:3], 0 offset:112
	buffer_load_dword v153, off, s[0:3], 0 offset:116
	buffer_load_dword v154, off, s[0:3], 0 offset:120
	buffer_load_dword v155, off, s[0:3], 0 offset:124
	buffer_load_dword v156, off, s[0:3], 0 offset:128
	buffer_load_dword v157, off, s[0:3], 0 offset:132
	buffer_load_dword v158, off, s[0:3], 0 offset:136
	buffer_load_dword v159, off, s[0:3], 0 offset:140
	buffer_load_dword v160, off, s[0:3], 0 offset:144
	buffer_load_dword v161, off, s[0:3], 0 offset:148
	buffer_load_dword v162, off, s[0:3], 0 offset:152
	buffer_load_dword v163, off, s[0:3], 0 offset:156
	buffer_load_dword v164, off, s[0:3], 0 offset:160
	buffer_load_dword v165, off, s[0:3], 0 offset:164
	buffer_load_dword v166, off, s[0:3], 0 offset:168
	buffer_load_dword v167, off, s[0:3], 0 offset:172
	buffer_load_dword v168, off, s[0:3], 0 offset:176
	buffer_load_dword v169, off, s[0:3], 0 offset:180
	buffer_load_dword v170, off, s[0:3], 0 offset:184
	buffer_load_dword v171, off, s[0:3], 0 offset:188
	buffer_load_dword v172, off, s[0:3], 0 offset:192
	buffer_load_dword v173, off, s[0:3], 0 offset:196
	buffer_load_dword v174, off, s[0:3], 0 offset:200
	buffer_load_dword v175, off, s[0:3], 0 offset:204
	buffer_load_dword v176, off, s[0:3], 0 offset:208
	buffer_load_dword v177, off, s[0:3], 0 offset:212
	buffer_load_dword v178, off, s[0:3], 0 offset:216
	buffer_load_dword v179, off, s[0:3], 0 offset:220
	buffer_load_dword v180, off, s[0:3], 0 offset:224
	buffer_load_dword v181, off, s[0:3], 0 offset:228
	buffer_load_dword v182, off, s[0:3], 0 offset:232
	buffer_load_dword v183, off, s[0:3], 0 offset:236
	buffer_load_dword v184, off, s[0:3], 0 offset:240
	buffer_load_dword v185, off, s[0:3], 0 offset:244
	buffer_load_dword v186, off, s[0:3], 0 offset:248
	buffer_load_dword v187, off, s[0:3], 0 offset:252
	buffer_load_dword v188, off, s[0:3], 0 offset:256
	buffer_load_dword v189, off, s[0:3], 0 offset:260
	buffer_load_dword v190, off, s[0:3], 0 offset:264
	buffer_load_dword v191, off, s[0:3], 0 offset:268
	buffer_load_dword v192, off, s[0:3], 0 offset:272
	buffer_load_dword v193, off, s[0:3], 0 offset:276
	buffer_load_dword v194, off, s[0:3], 0 offset:280
	buffer_load_dword v195, off, s[0:3], 0 offset:284
	buffer_load_dword v196, off, s[0:3], 0 offset:288
	buffer_load_dword v197, off, s[0:3], 0 offset:292
	buffer_load_dword v198, off, s[0:3], 0 offset:296
	buffer_load_dword v199, off, s[0:3], 0 offset:300
	buffer_load_dword v200, off, s[0:3], 0 offset:304
	buffer_load_dword v201, off, s[0:3], 0 offset:308
	buffer_load_dword v202, off, s[0:3], 0 offset:312
	buffer_load_dword v203, off, s[0:3], 0 offset:316
	buffer_load_dword v204, off, s[0:3], 0 offset:320
	buffer_load_dword v205, off, s[0:3], 0 offset:324
	buffer_load_dword v206, off, s[0:3], 0 offset:328
	buffer_load_dword v207, off, s[0:3], 0 offset:332
	buffer_load_dword v208, off, s[0:3], 0 offset:336
	buffer_load_dword v209, off, s[0:3], 0 offset:340
	buffer_load_dword v210, off, s[0:3], 0 offset:344
	buffer_load_dword v211, off, s[0:3], 0 offset:348
	buffer_load_dword v212, off, s[0:3], 0 offset:352
	buffer_load_dword v213, off, s[0:3], 0 offset:356
	buffer_load_dword v214, off, s[0:3], 0 offset:360
	buffer_load_dword v215, off, s[0:3], 0 offset:364
	buffer_load_dword v216, off, s[0:3], 0 offset:368
	buffer_load_dword v217, off, s[0:3], 0 offset:372
	buffer_load_dword v218, off, s[0:3], 0 offset:376
	buffer_load_dword v219, off, s[0:3], 0 offset:380
	buffer_load_dword v220, off, s[0:3], 0 offset:384
	buffer_load_dword v221, off, s[0:3], 0 offset:388
	buffer_load_dword v222, off, s[0:3], 0 offset:392
	buffer_load_dword v223, off, s[0:3], 0 offset:396
	buffer_load_dword v224, off, s[0:3], 0 offset:400
	buffer_load_dword v225, off, s[0:3], 0 offset:404
	buffer_load_dword v226, off, s[0:3], 0 offset:408
	buffer_load_dword v227, off, s[0:3], 0 offset:412
	buffer_load_dword v228, off, s[0:3], 0 offset:416
	buffer_load_dword v229, off, s[0:3], 0 offset:420
	buffer_load_dword v230, off, s[0:3], 0 offset:424
	buffer_load_dword v231, off, s[0:3], 0 offset:428
	buffer_load_dword v232, off, s[0:3], 0 offset:432
	buffer_load_dword v233, off, s[0:3], 0 offset:436
	buffer_load_dword v234, off, s[0:3], 0 offset:440
	buffer_load_dword v235, off, s[0:3], 0 offset:444
	buffer_load_dword v236, off, s[0:3], 0 offset:448
	buffer_load_dword v237, off, s[0:3], 0 offset:452
	buffer_load_dword v238, off, s[0:3], 0 offset:456
	buffer_load_dword v239, off, s[0:3], 0 offset:460
	buffer_load_dword v240, off, s[0:3], 0 offset:464
	buffer_load_dword v241, off, s[0:3], 0 offset:468
	buffer_load_dword v242, off, s[0:3], 0 offset:472
	buffer_load_dword v243, off, s[0:3], 0 offset:476
	buffer_load_dword v244, off, s[0:3], 0 offset:480
	buffer_load_dword v245, off, s[0:3], 0 offset:484
	buffer_load_dword v246, off, s[0:3], 0 offset:488
	buffer_load_dword v247, off, s[0:3], 0 offset:492
	s_waitcnt vmcnt(62)
	global_store_dwordx2 v[116:117], v[0:1], off
	global_store_dwordx2 v[118:119], v[126:127], off
	;; [unrolled: 1-line block ×31, first 2 shown]
	s_waitcnt vmcnt(62)
	global_store_dwordx2 v[60:61], v[186:187], off
	global_store_dwordx2 v[62:63], v[188:189], off
	;; [unrolled: 1-line block ×15, first 2 shown]
	s_waitcnt vmcnt(62)
	global_store_dwordx2 v[90:91], v[216:217], off
	global_store_dwordx2 v[92:93], v[218:219], off
	;; [unrolled: 1-line block ×8, first 2 shown]
	s_waitcnt vmcnt(62)
	global_store_dwordx2 v[106:107], v[232:233], off
	global_store_dwordx2 v[108:109], v[234:235], off
	;; [unrolled: 1-line block ×4, first 2 shown]
	s_waitcnt vmcnt(62)
	global_store_dwordx2 v[114:115], v[240:241], off
	global_store_dwordx2 v[120:121], v[242:243], off
	s_waitcnt vmcnt(62)
	global_store_dwordx2 v[122:123], v[244:245], off
	s_waitcnt vmcnt(61)
	global_store_dwordx2 v[124:125], v[246:247], off
.LBB125_1212:
	s_endpgm
	.section	.rodata,"a",@progbits
	.p2align	6, 0x0
	.amdhsa_kernel _ZN9rocsolver6v33100L18trti2_kernel_smallILi62EdPKPdEEv13rocblas_fill_17rocblas_diagonal_T1_iil
		.amdhsa_group_segment_fixed_size 992
		.amdhsa_private_segment_fixed_size 512
		.amdhsa_kernarg_size 32
		.amdhsa_user_sgpr_count 8
		.amdhsa_user_sgpr_private_segment_buffer 1
		.amdhsa_user_sgpr_dispatch_ptr 0
		.amdhsa_user_sgpr_queue_ptr 0
		.amdhsa_user_sgpr_kernarg_segment_ptr 1
		.amdhsa_user_sgpr_dispatch_id 0
		.amdhsa_user_sgpr_flat_scratch_init 1
		.amdhsa_user_sgpr_kernarg_preload_length 0
		.amdhsa_user_sgpr_kernarg_preload_offset 0
		.amdhsa_user_sgpr_private_segment_size 0
		.amdhsa_uses_dynamic_stack 0
		.amdhsa_system_sgpr_private_segment_wavefront_offset 1
		.amdhsa_system_sgpr_workgroup_id_x 1
		.amdhsa_system_sgpr_workgroup_id_y 0
		.amdhsa_system_sgpr_workgroup_id_z 0
		.amdhsa_system_sgpr_workgroup_info 0
		.amdhsa_system_vgpr_workitem_id 0
		.amdhsa_next_free_vgpr 248
		.amdhsa_next_free_sgpr 16
		.amdhsa_accum_offset 248
		.amdhsa_reserve_vcc 1
		.amdhsa_reserve_flat_scratch 0
		.amdhsa_float_round_mode_32 0
		.amdhsa_float_round_mode_16_64 0
		.amdhsa_float_denorm_mode_32 3
		.amdhsa_float_denorm_mode_16_64 3
		.amdhsa_dx10_clamp 1
		.amdhsa_ieee_mode 1
		.amdhsa_fp16_overflow 0
		.amdhsa_tg_split 0
		.amdhsa_exception_fp_ieee_invalid_op 0
		.amdhsa_exception_fp_denorm_src 0
		.amdhsa_exception_fp_ieee_div_zero 0
		.amdhsa_exception_fp_ieee_overflow 0
		.amdhsa_exception_fp_ieee_underflow 0
		.amdhsa_exception_fp_ieee_inexact 0
		.amdhsa_exception_int_div_zero 0
	.end_amdhsa_kernel
	.section	.text._ZN9rocsolver6v33100L18trti2_kernel_smallILi62EdPKPdEEv13rocblas_fill_17rocblas_diagonal_T1_iil,"axG",@progbits,_ZN9rocsolver6v33100L18trti2_kernel_smallILi62EdPKPdEEv13rocblas_fill_17rocblas_diagonal_T1_iil,comdat
.Lfunc_end125:
	.size	_ZN9rocsolver6v33100L18trti2_kernel_smallILi62EdPKPdEEv13rocblas_fill_17rocblas_diagonal_T1_iil, .Lfunc_end125-_ZN9rocsolver6v33100L18trti2_kernel_smallILi62EdPKPdEEv13rocblas_fill_17rocblas_diagonal_T1_iil
                                        ; -- End function
	.section	.AMDGPU.csdata,"",@progbits
; Kernel info:
; codeLenInByte = 36056
; NumSgprs: 20
; NumVgprs: 248
; NumAgprs: 0
; TotalNumVgprs: 248
; ScratchSize: 512
; MemoryBound: 0
; FloatMode: 240
; IeeeMode: 1
; LDSByteSize: 992 bytes/workgroup (compile time only)
; SGPRBlocks: 2
; VGPRBlocks: 30
; NumSGPRsForWavesPerEU: 20
; NumVGPRsForWavesPerEU: 248
; AccumOffset: 248
; Occupancy: 2
; WaveLimiterHint : 1
; COMPUTE_PGM_RSRC2:SCRATCH_EN: 1
; COMPUTE_PGM_RSRC2:USER_SGPR: 8
; COMPUTE_PGM_RSRC2:TRAP_HANDLER: 0
; COMPUTE_PGM_RSRC2:TGID_X_EN: 1
; COMPUTE_PGM_RSRC2:TGID_Y_EN: 0
; COMPUTE_PGM_RSRC2:TGID_Z_EN: 0
; COMPUTE_PGM_RSRC2:TIDIG_COMP_CNT: 0
; COMPUTE_PGM_RSRC3_GFX90A:ACCUM_OFFSET: 61
; COMPUTE_PGM_RSRC3_GFX90A:TG_SPLIT: 0
	.section	.text._ZN9rocsolver6v33100L18trti2_kernel_smallILi63EdPKPdEEv13rocblas_fill_17rocblas_diagonal_T1_iil,"axG",@progbits,_ZN9rocsolver6v33100L18trti2_kernel_smallILi63EdPKPdEEv13rocblas_fill_17rocblas_diagonal_T1_iil,comdat
	.globl	_ZN9rocsolver6v33100L18trti2_kernel_smallILi63EdPKPdEEv13rocblas_fill_17rocblas_diagonal_T1_iil ; -- Begin function _ZN9rocsolver6v33100L18trti2_kernel_smallILi63EdPKPdEEv13rocblas_fill_17rocblas_diagonal_T1_iil
	.p2align	8
	.type	_ZN9rocsolver6v33100L18trti2_kernel_smallILi63EdPKPdEEv13rocblas_fill_17rocblas_diagonal_T1_iil,@function
_ZN9rocsolver6v33100L18trti2_kernel_smallILi63EdPKPdEEv13rocblas_fill_17rocblas_diagonal_T1_iil: ; @_ZN9rocsolver6v33100L18trti2_kernel_smallILi63EdPKPdEEv13rocblas_fill_17rocblas_diagonal_T1_iil
; %bb.0:
	s_add_u32 s0, s0, s9
	s_addc_u32 s1, s1, 0
	v_cmp_gt_u32_e32 vcc, 63, v0
	s_and_saveexec_b64 s[6:7], vcc
	s_cbranch_execz .LBB126_1232
; %bb.1:
	s_load_dwordx2 s[6:7], s[4:5], 0x10
	s_load_dwordx4 s[12:15], s[4:5], 0x0
	s_ashr_i32 s9, s8, 31
	s_lshl_b64 s[4:5], s[8:9], 3
	s_waitcnt lgkmcnt(0)
	s_ashr_i32 s9, s6, 31
	s_add_u32 s4, s14, s4
	s_addc_u32 s5, s15, s5
	s_load_dwordx2 s[4:5], s[4:5], 0x0
	s_mov_b32 s8, s6
	s_lshl_b64 s[8:9], s[8:9], 3
	s_waitcnt lgkmcnt(0)
	s_add_u32 s4, s4, s8
	s_addc_u32 s5, s5, s9
	s_add_i32 s6, s7, s7
	v_add_u32_e32 v4, s6, v0
	v_ashrrev_i32_e32 v5, 31, v4
	v_lshlrev_b64 v[2:3], 3, v[4:5]
	v_add_u32_e32 v6, s7, v4
	v_mov_b32_e32 v1, s5
	v_add_co_u32_e32 v2, vcc, s4, v2
	v_ashrrev_i32_e32 v7, 31, v6
	v_addc_co_u32_e32 v3, vcc, v1, v3, vcc
	v_lshlrev_b64 v[4:5], 3, v[6:7]
	v_add_u32_e32 v8, s7, v6
	v_add_co_u32_e32 v4, vcc, s4, v4
	v_ashrrev_i32_e32 v9, 31, v8
	v_addc_co_u32_e32 v5, vcc, v1, v5, vcc
	v_lshlrev_b64 v[6:7], 3, v[8:9]
	v_add_u32_e32 v10, s7, v8
	;; [unrolled: 5-line block ×52, first 2 shown]
	v_add_co_u32_e32 v106, vcc, s4, v106
	v_ashrrev_i32_e32 v111, 31, v110
	v_addc_co_u32_e32 v107, vcc, v1, v107, vcc
	v_lshlrev_b64 v[108:109], 3, v[110:111]
	v_add_co_u32_e32 v108, vcc, s4, v108
	v_addc_co_u32_e32 v109, vcc, v1, v109, vcc
	v_lshlrev_b32_e32 v1, 3, v0
	v_mov_b32_e32 v111, s5
	v_add_co_u32_e32 v118, vcc, s4, v1
	s_ashr_i32 s9, s7, 31
	s_mov_b32 s8, s7
	v_addc_co_u32_e32 v119, vcc, 0, v111, vcc
	s_lshl_b64 s[8:9], s[8:9], 3
	v_mov_b32_e32 v111, s9
	v_add_co_u32_e32 v120, vcc, s8, v118
	global_load_dwordx2 v[128:129], v1, s[4:5]
	global_load_dwordx2 v[132:133], v[2:3], off
	global_load_dwordx2 v[134:135], v[4:5], off
	;; [unrolled: 1-line block ×3, first 2 shown]
	v_addc_co_u32_e32 v121, vcc, v119, v111, vcc
	global_load_dwordx2 v[130:131], v[120:121], off
	global_load_dwordx2 v[142:143], v[12:13], off
	;; [unrolled: 1-line block ×10, first 2 shown]
	v_add_u32_e32 v112, s7, v110
	v_ashrrev_i32_e32 v113, 31, v112
	v_lshlrev_b64 v[110:111], 3, v[112:113]
	v_mov_b32_e32 v114, s5
	v_add_co_u32_e32 v110, vcc, s4, v110
	v_addc_co_u32_e32 v111, vcc, v114, v111, vcc
	v_add_u32_e32 v114, s7, v112
	v_ashrrev_i32_e32 v115, 31, v114
	v_lshlrev_b64 v[112:113], 3, v[114:115]
	v_mov_b32_e32 v116, s5
	v_add_co_u32_e32 v112, vcc, s4, v112
	v_addc_co_u32_e32 v113, vcc, v116, v113, vcc
	v_add_u32_e32 v116, s7, v114
	global_load_dwordx2 v[156:157], v[26:27], off
	global_load_dwordx2 v[158:159], v[28:29], off
	v_ashrrev_i32_e32 v117, 31, v116
	v_lshlrev_b64 v[114:115], 3, v[116:117]
	v_mov_b32_e32 v122, s5
	v_add_co_u32_e32 v114, vcc, s4, v114
	v_addc_co_u32_e32 v115, vcc, v122, v115, vcc
	v_add_u32_e32 v122, s7, v116
	v_ashrrev_i32_e32 v123, 31, v122
	v_lshlrev_b64 v[116:117], 3, v[122:123]
	v_mov_b32_e32 v124, s5
	v_add_co_u32_e32 v116, vcc, s4, v116
	v_addc_co_u32_e32 v117, vcc, v124, v117, vcc
	v_add_u32_e32 v124, s7, v122
	v_ashrrev_i32_e32 v125, 31, v124
	global_load_dwordx2 v[160:161], v[30:31], off
	global_load_dwordx2 v[162:163], v[32:33], off
	v_lshlrev_b64 v[122:123], 3, v[124:125]
	v_mov_b32_e32 v126, s5
	v_add_co_u32_e32 v122, vcc, s4, v122
	v_addc_co_u32_e32 v123, vcc, v126, v123, vcc
	v_add_u32_e32 v126, s7, v124
	v_ashrrev_i32_e32 v127, 31, v126
	v_lshlrev_b64 v[124:125], 3, v[126:127]
	v_mov_b32_e32 v164, s5
	v_add_co_u32_e32 v124, vcc, s4, v124
	v_addc_co_u32_e32 v125, vcc, v164, v125, vcc
	global_load_dwordx2 v[164:165], v[34:35], off
	global_load_dwordx2 v[166:167], v[36:37], off
	v_add_u32_e32 v126, s7, v126
	v_ashrrev_i32_e32 v127, 31, v126
	v_lshlrev_b64 v[126:127], 3, v[126:127]
	v_mov_b32_e32 v168, s5
	v_add_co_u32_e32 v126, vcc, s4, v126
	v_addc_co_u32_e32 v127, vcc, v168, v127, vcc
	global_load_dwordx2 v[168:169], v[38:39], off
	global_load_dwordx2 v[170:171], v[126:127], off
	s_waitcnt vmcnt(21)
	buffer_store_dword v129, off, s[0:3], 0 offset:4
	buffer_store_dword v128, off, s[0:3], 0
	global_load_dwordx2 v[128:129], v[40:41], off
	s_waitcnt vmcnt(20)
	buffer_store_dword v131, off, s[0:3], 0 offset:12
	buffer_store_dword v130, off, s[0:3], 0 offset:8
	global_load_dwordx2 v[130:131], v[42:43], off
	s_nop 0
	global_load_dwordx2 v[172:173], v[44:45], off
	global_load_dwordx2 v[174:175], v[48:49], off
	global_load_dwordx2 v[176:177], v[52:53], off
	global_load_dwordx2 v[178:179], v[56:57], off
	global_load_dwordx2 v[180:181], v[60:61], off
	global_load_dwordx2 v[182:183], v[64:65], off
	global_load_dwordx2 v[184:185], v[68:69], off
	global_load_dwordx2 v[186:187], v[72:73], off
	global_load_dwordx2 v[188:189], v[76:77], off
	global_load_dwordx2 v[190:191], v[80:81], off
	global_load_dwordx2 v[192:193], v[84:85], off
	global_load_dwordx2 v[194:195], v[88:89], off
	global_load_dwordx2 v[196:197], v[92:93], off
	global_load_dwordx2 v[198:199], v[96:97], off
	global_load_dwordx2 v[200:201], v[100:101], off
	global_load_dwordx2 v[202:203], v[104:105], off
	global_load_dwordx2 v[204:205], v[108:109], off
	global_load_dwordx2 v[206:207], v[112:113], off
	global_load_dwordx2 v[208:209], v[116:117], off
	global_load_dwordx2 v[210:211], v[124:125], off
	s_cmpk_lg_i32 s13, 0x84
	buffer_store_dword v133, off, s[0:3], 0 offset:20
	buffer_store_dword v132, off, s[0:3], 0 offset:16
	global_load_dwordx2 v[132:133], v[46:47], off
	s_cselect_b64 s[8:9], -1, 0
	buffer_store_dword v135, off, s[0:3], 0 offset:28
	buffer_store_dword v134, off, s[0:3], 0 offset:24
	global_load_dwordx2 v[134:135], v[50:51], off
	s_cmpk_eq_i32 s13, 0x84
	buffer_store_dword v137, off, s[0:3], 0 offset:36
	buffer_store_dword v136, off, s[0:3], 0 offset:32
	global_load_dwordx2 v[136:137], v[54:55], off
	s_waitcnt vmcnt(50)
	buffer_store_dword v139, off, s[0:3], 0 offset:44
	buffer_store_dword v138, off, s[0:3], 0 offset:40
	global_load_dwordx2 v[138:139], v[58:59], off
	s_waitcnt vmcnt(52)
	buffer_store_dword v141, off, s[0:3], 0 offset:52
	buffer_store_dword v140, off, s[0:3], 0 offset:48
	global_load_dwordx2 v[140:141], v[62:63], off
	s_nop 0
	buffer_store_dword v143, off, s[0:3], 0 offset:60
	buffer_store_dword v142, off, s[0:3], 0 offset:56
	global_load_dwordx2 v[142:143], v[66:67], off
	s_waitcnt vmcnt(57)
	buffer_store_dword v145, off, s[0:3], 0 offset:68
	buffer_store_dword v144, off, s[0:3], 0 offset:64
	global_load_dwordx2 v[144:145], v[70:71], off
	s_waitcnt vmcnt(59)
	;; [unrolled: 4-line block ×4, first 2 shown]
	buffer_store_dword v150, off, s[0:3], 0 offset:88
	buffer_store_dword v151, off, s[0:3], 0 offset:92
	global_load_dwordx2 v[150:151], v[82:83], off
	s_nop 0
	buffer_store_dword v152, off, s[0:3], 0 offset:96
	buffer_store_dword v153, off, s[0:3], 0 offset:100
	global_load_dwordx2 v[152:153], v[86:87], off
	s_waitcnt vmcnt(62)
	buffer_store_dword v154, off, s[0:3], 0 offset:104
	buffer_store_dword v155, off, s[0:3], 0 offset:108
	global_load_dwordx2 v[154:155], v[90:91], off
	s_nop 0
	buffer_store_dword v157, off, s[0:3], 0 offset:116
	buffer_store_dword v156, off, s[0:3], 0 offset:112
	global_load_dwordx2 v[156:157], v[94:95], off
	s_nop 0
	;; [unrolled: 4-line block ×5, first 2 shown]
	buffer_store_dword v164, off, s[0:3], 0 offset:144
	buffer_store_dword v165, off, s[0:3], 0 offset:148
	global_load_dwordx2 v[164:165], v[110:111], off
	s_waitcnt vmcnt(62)
	buffer_store_dword v167, off, s[0:3], 0 offset:156
	buffer_store_dword v166, off, s[0:3], 0 offset:152
	global_load_dwordx2 v[166:167], v[114:115], off
	s_nop 0
	buffer_store_dword v169, off, s[0:3], 0 offset:164
	buffer_store_dword v168, off, s[0:3], 0 offset:160
	global_load_dwordx2 v[168:169], v[122:123], off
	s_nop 0
	buffer_store_dword v128, off, s[0:3], 0 offset:168
	buffer_store_dword v129, off, s[0:3], 0 offset:172
	;; [unrolled: 1-line block ×6, first 2 shown]
	s_waitcnt vmcnt(60)
	buffer_store_dword v132, off, s[0:3], 0 offset:192
	buffer_store_dword v133, off, s[0:3], 0 offset:196
	buffer_store_dword v175, off, s[0:3], 0 offset:204
	buffer_store_dword v174, off, s[0:3], 0 offset:200
	s_waitcnt vmcnt(61)
	buffer_store_dword v135, off, s[0:3], 0 offset:212
	buffer_store_dword v134, off, s[0:3], 0 offset:208
	buffer_store_dword v176, off, s[0:3], 0 offset:216
	buffer_store_dword v177, off, s[0:3], 0 offset:220
	;; [unrolled: 5-line block ×6, first 2 shown]
	buffer_store_dword v144, off, s[0:3], 0 offset:288
	buffer_store_dword v145, off, s[0:3], 0 offset:292
	;; [unrolled: 1-line block ×4, first 2 shown]
	s_waitcnt vmcnt(62)
	buffer_store_dword v147, off, s[0:3], 0 offset:308
	buffer_store_dword v146, off, s[0:3], 0 offset:304
	;; [unrolled: 1-line block ×8, first 2 shown]
	s_waitcnt vmcnt(62)
	buffer_store_dword v150, off, s[0:3], 0 offset:336
	buffer_store_dword v151, off, s[0:3], 0 offset:340
	;; [unrolled: 1-line block ×12, first 2 shown]
	s_waitcnt vmcnt(62)
	buffer_store_dword v156, off, s[0:3], 0 offset:384
	buffer_store_dword v157, off, s[0:3], 0 offset:388
	;; [unrolled: 1-line block ×16, first 2 shown]
	s_waitcnt vmcnt(62)
	buffer_store_dword v165, off, s[0:3], 0 offset:452
	buffer_store_dword v164, off, s[0:3], 0 offset:448
	;; [unrolled: 1-line block ×14, first 2 shown]
	v_mov_b32_e32 v128, 0
	v_mov_b32_e32 v191, 0
	;; [unrolled: 1-line block ×3, first 2 shown]
	s_cbranch_scc1 .LBB126_3
; %bb.2:
	v_lshl_add_u32 v138, v0, 3, v191
	buffer_load_dword v128, v138, s[0:3], 0 offen
	buffer_load_dword v129, v138, s[0:3], 0 offen offset:4
	s_waitcnt vmcnt(0)
	v_div_scale_f64 v[130:131], s[4:5], v[128:129], v[128:129], 1.0
	v_rcp_f64_e32 v[132:133], v[130:131]
	v_div_scale_f64 v[134:135], vcc, 1.0, v[128:129], 1.0
	v_fma_f64 v[136:137], -v[130:131], v[132:133], 1.0
	v_fmac_f64_e32 v[132:133], v[132:133], v[136:137]
	v_fma_f64 v[136:137], -v[130:131], v[132:133], 1.0
	v_fmac_f64_e32 v[132:133], v[132:133], v[136:137]
	v_mul_f64 v[136:137], v[134:135], v[132:133]
	v_fma_f64 v[130:131], -v[130:131], v[136:137], v[134:135]
	v_div_fmas_f64 v[130:131], v[130:131], v[132:133], v[136:137]
	v_div_fixup_f64 v[128:129], v[130:131], v[128:129], 1.0
	buffer_store_dword v128, v138, s[0:3], 0 offen
	buffer_store_dword v129, v138, s[0:3], 0 offen offset:4
	v_xor_b32_e32 v129, 0x80000000, v129
.LBB126_3:
	s_cmpk_eq_i32 s12, 0x79
	v_or_b32_e32 v130, 0x200, v1
	v_add_u32_e32 v131, 0, v1
	s_mov_b64 s[4:5], -1
	ds_write_b64 v1, v[128:129]
	s_cbranch_scc1 .LBB126_617
; %bb.4:
	buffer_load_dword v128, off, s[0:3], 0 offset:488
	buffer_load_dword v129, off, s[0:3], 0 offset:492
	v_cmp_eq_u32_e64 s[4:5], 62, v0
	s_waitcnt vmcnt(0)
	ds_write_b64 v130, v[128:129]
	s_waitcnt lgkmcnt(0)
	; wave barrier
	s_waitcnt lgkmcnt(0)
	s_and_saveexec_b64 s[6:7], s[4:5]
	s_cbranch_execz .LBB126_10
; %bb.5:
	s_and_b64 vcc, exec, s[8:9]
	s_cbranch_vccz .LBB126_7
; %bb.6:
	buffer_load_dword v128, v131, s[0:3], 0 offen
	buffer_load_dword v129, v131, s[0:3], 0 offen offset:4
	ds_read_b64 v[132:133], v130
	s_waitcnt vmcnt(0) lgkmcnt(0)
	v_mul_f64 v[128:129], v[128:129], v[132:133]
	s_cbranch_execz .LBB126_8
	s_branch .LBB126_9
.LBB126_7:
                                        ; implicit-def: $vgpr128_vgpr129
.LBB126_8:
	ds_read_b64 v[128:129], v130
.LBB126_9:
	v_mov_b32_e32 v132, 0
	ds_read_b64 v[132:133], v132 offset:488
	s_waitcnt lgkmcnt(0)
	v_mul_f64 v[128:129], v[128:129], v[132:133]
	buffer_store_dword v129, off, s[0:3], 0 offset:492
	buffer_store_dword v128, off, s[0:3], 0 offset:488
.LBB126_10:
	s_or_b64 exec, exec, s[6:7]
	buffer_load_dword v128, off, s[0:3], 0 offset:480
	buffer_load_dword v129, off, s[0:3], 0 offset:484
	v_or_b32_e32 v132, 8, v191
	v_add_u32_e32 v133, 16, v191
	v_add_u32_e32 v134, 24, v191
	;; [unrolled: 1-line block ×59, first 2 shown]
	v_cmp_lt_u32_e64 s[6:7], 60, v0
	s_waitcnt vmcnt(0)
	ds_write_b64 v130, v[128:129]
	s_waitcnt lgkmcnt(0)
	; wave barrier
	s_waitcnt lgkmcnt(0)
	s_and_saveexec_b64 s[10:11], s[6:7]
	s_cbranch_execz .LBB126_16
; %bb.11:
	s_andn2_b64 vcc, exec, s[8:9]
	s_cbranch_vccnz .LBB126_13
; %bb.12:
	buffer_load_dword v128, v131, s[0:3], 0 offen
	buffer_load_dword v129, v131, s[0:3], 0 offen offset:4
	ds_read_b64 v[192:193], v130
	s_waitcnt vmcnt(0) lgkmcnt(0)
	v_mul_f64 v[128:129], v[128:129], v[192:193]
	s_cbranch_execz .LBB126_14
	s_branch .LBB126_15
.LBB126_13:
                                        ; implicit-def: $vgpr128_vgpr129
.LBB126_14:
	ds_read_b64 v[128:129], v130
.LBB126_15:
	buffer_load_dword v196, off, s[0:3], 0 offset:488
	buffer_load_dword v197, off, s[0:3], 0 offset:492
	v_mov_b32_e32 v192, 0
	ds_read2_b64 v[192:195], v192 offset0:60 offset1:125
	s_waitcnt vmcnt(0) lgkmcnt(0)
	v_fma_f64 v[194:195], v[196:197], v[194:195], v[128:129]
	v_cndmask_b32_e64 v129, v129, v195, s[4:5]
	v_cndmask_b32_e64 v128, v128, v194, s[4:5]
	v_mul_f64 v[128:129], v[128:129], v[192:193]
	buffer_store_dword v129, off, s[0:3], 0 offset:484
	buffer_store_dword v128, off, s[0:3], 0 offset:480
.LBB126_16:
	s_or_b64 exec, exec, s[10:11]
	buffer_load_dword v128, off, s[0:3], 0 offset:472
	buffer_load_dword v129, off, s[0:3], 0 offset:476
	v_cmp_lt_u32_e64 s[4:5], 59, v0
	s_waitcnt vmcnt(0)
	ds_write_b64 v130, v[128:129]
	s_waitcnt lgkmcnt(0)
	; wave barrier
	s_waitcnt lgkmcnt(0)
	s_and_saveexec_b64 s[10:11], s[4:5]
	s_cbranch_execz .LBB126_26
; %bb.17:
	s_andn2_b64 vcc, exec, s[8:9]
	s_cbranch_vccnz .LBB126_19
; %bb.18:
	buffer_load_dword v128, v131, s[0:3], 0 offen
	buffer_load_dword v129, v131, s[0:3], 0 offen offset:4
	ds_read_b64 v[192:193], v130
	s_waitcnt vmcnt(0) lgkmcnt(0)
	v_mul_f64 v[128:129], v[128:129], v[192:193]
	s_cbranch_execz .LBB126_20
	s_branch .LBB126_21
.LBB126_19:
                                        ; implicit-def: $vgpr128_vgpr129
.LBB126_20:
	ds_read_b64 v[128:129], v130
.LBB126_21:
	s_and_saveexec_b64 s[12:13], s[6:7]
	s_cbranch_execz .LBB126_25
; %bb.22:
	v_subrev_u32_e32 v192, 60, v0
	s_movk_i32 s14, 0x3e0
	s_mov_b64 s[6:7], 0
.LBB126_23:                             ; =>This Inner Loop Header: Depth=1
	buffer_load_dword v194, v191, s[0:3], 0 offen
	buffer_load_dword v195, v191, s[0:3], 0 offen offset:4
	v_mov_b32_e32 v193, s14
	ds_read_b64 v[196:197], v193
	v_add_u32_e32 v192, -1, v192
	s_add_i32 s14, s14, 8
	v_cmp_eq_u32_e32 vcc, 0, v192
	v_add_u32_e32 v191, 8, v191
	s_or_b64 s[6:7], vcc, s[6:7]
	s_waitcnt vmcnt(0) lgkmcnt(0)
	v_fmac_f64_e32 v[128:129], v[194:195], v[196:197]
	s_andn2_b64 exec, exec, s[6:7]
	s_cbranch_execnz .LBB126_23
; %bb.24:
	s_or_b64 exec, exec, s[6:7]
.LBB126_25:
	s_or_b64 exec, exec, s[12:13]
	v_mov_b32_e32 v191, 0
	ds_read_b64 v[192:193], v191 offset:472
	s_waitcnt lgkmcnt(0)
	v_mul_f64 v[128:129], v[128:129], v[192:193]
	buffer_store_dword v129, off, s[0:3], 0 offset:476
	buffer_store_dword v128, off, s[0:3], 0 offset:472
.LBB126_26:
	s_or_b64 exec, exec, s[10:11]
	buffer_load_dword v128, off, s[0:3], 0 offset:464
	buffer_load_dword v129, off, s[0:3], 0 offset:468
	v_cmp_lt_u32_e64 s[6:7], 58, v0
	s_waitcnt vmcnt(0)
	ds_write_b64 v130, v[128:129]
	s_waitcnt lgkmcnt(0)
	; wave barrier
	s_waitcnt lgkmcnt(0)
	s_and_saveexec_b64 s[10:11], s[6:7]
	s_cbranch_execz .LBB126_36
; %bb.27:
	s_andn2_b64 vcc, exec, s[8:9]
	s_cbranch_vccnz .LBB126_29
; %bb.28:
	buffer_load_dword v128, v131, s[0:3], 0 offen
	buffer_load_dword v129, v131, s[0:3], 0 offen offset:4
	ds_read_b64 v[192:193], v130
	s_waitcnt vmcnt(0) lgkmcnt(0)
	v_mul_f64 v[128:129], v[128:129], v[192:193]
	s_cbranch_execz .LBB126_30
	s_branch .LBB126_31
.LBB126_29:
                                        ; implicit-def: $vgpr128_vgpr129
.LBB126_30:
	ds_read_b64 v[128:129], v130
.LBB126_31:
	s_and_saveexec_b64 s[12:13], s[4:5]
	s_cbranch_execz .LBB126_35
; %bb.32:
	v_subrev_u32_e32 v191, 59, v0
	s_movk_i32 s14, 0x3d8
	s_mov_b64 s[4:5], 0
.LBB126_33:                             ; =>This Inner Loop Header: Depth=1
	buffer_load_dword v192, v190, s[0:3], 0 offen
	buffer_load_dword v193, v190, s[0:3], 0 offen offset:4
	v_mov_b32_e32 v194, s14
	ds_read_b64 v[194:195], v194
	v_add_u32_e32 v191, -1, v191
	s_add_i32 s14, s14, 8
	v_cmp_eq_u32_e32 vcc, 0, v191
	v_add_u32_e32 v190, 8, v190
	s_or_b64 s[4:5], vcc, s[4:5]
	s_waitcnt vmcnt(0) lgkmcnt(0)
	v_fmac_f64_e32 v[128:129], v[192:193], v[194:195]
	s_andn2_b64 exec, exec, s[4:5]
	s_cbranch_execnz .LBB126_33
; %bb.34:
	s_or_b64 exec, exec, s[4:5]
.LBB126_35:
	s_or_b64 exec, exec, s[12:13]
	v_mov_b32_e32 v190, 0
	ds_read_b64 v[190:191], v190 offset:464
	s_waitcnt lgkmcnt(0)
	v_mul_f64 v[128:129], v[128:129], v[190:191]
	buffer_store_dword v129, off, s[0:3], 0 offset:468
	buffer_store_dword v128, off, s[0:3], 0 offset:464
.LBB126_36:
	;; [unrolled: 58-line block ×8, first 2 shown]
	s_or_b64 exec, exec, s[10:11]
	buffer_load_dword v128, off, s[0:3], 0 offset:408
	buffer_load_dword v129, off, s[0:3], 0 offset:412
	v_cmp_lt_u32_e64 s[4:5], 51, v0
	s_waitcnt vmcnt(0)
	ds_write_b64 v130, v[128:129]
	s_waitcnt lgkmcnt(0)
	; wave barrier
	s_waitcnt lgkmcnt(0)
	s_and_saveexec_b64 s[10:11], s[4:5]
	s_cbranch_execz .LBB126_106
; %bb.97:
	s_andn2_b64 vcc, exec, s[8:9]
	s_cbranch_vccnz .LBB126_99
; %bb.98:
	buffer_load_dword v128, v131, s[0:3], 0 offen
	buffer_load_dword v129, v131, s[0:3], 0 offen offset:4
	ds_read_b64 v[184:185], v130
	s_waitcnt vmcnt(0) lgkmcnt(0)
	v_mul_f64 v[128:129], v[128:129], v[184:185]
	s_cbranch_execz .LBB126_100
	s_branch .LBB126_101
.LBB126_99:
                                        ; implicit-def: $vgpr128_vgpr129
.LBB126_100:
	ds_read_b64 v[128:129], v130
.LBB126_101:
	s_and_saveexec_b64 s[12:13], s[6:7]
	s_cbranch_execz .LBB126_105
; %bb.102:
	v_subrev_u32_e32 v184, 52, v0
	s_movk_i32 s14, 0x3a0
	s_mov_b64 s[6:7], 0
.LBB126_103:                            ; =>This Inner Loop Header: Depth=1
	buffer_load_dword v186, v183, s[0:3], 0 offen
	buffer_load_dword v187, v183, s[0:3], 0 offen offset:4
	v_mov_b32_e32 v185, s14
	ds_read_b64 v[188:189], v185
	v_add_u32_e32 v184, -1, v184
	s_add_i32 s14, s14, 8
	v_cmp_eq_u32_e32 vcc, 0, v184
	v_add_u32_e32 v183, 8, v183
	s_or_b64 s[6:7], vcc, s[6:7]
	s_waitcnt vmcnt(0) lgkmcnt(0)
	v_fmac_f64_e32 v[128:129], v[186:187], v[188:189]
	s_andn2_b64 exec, exec, s[6:7]
	s_cbranch_execnz .LBB126_103
; %bb.104:
	s_or_b64 exec, exec, s[6:7]
.LBB126_105:
	s_or_b64 exec, exec, s[12:13]
	v_mov_b32_e32 v183, 0
	ds_read_b64 v[184:185], v183 offset:408
	s_waitcnt lgkmcnt(0)
	v_mul_f64 v[128:129], v[128:129], v[184:185]
	buffer_store_dword v129, off, s[0:3], 0 offset:412
	buffer_store_dword v128, off, s[0:3], 0 offset:408
.LBB126_106:
	s_or_b64 exec, exec, s[10:11]
	buffer_load_dword v128, off, s[0:3], 0 offset:400
	buffer_load_dword v129, off, s[0:3], 0 offset:404
	v_cmp_lt_u32_e64 s[6:7], 50, v0
	s_waitcnt vmcnt(0)
	ds_write_b64 v130, v[128:129]
	s_waitcnt lgkmcnt(0)
	; wave barrier
	s_waitcnt lgkmcnt(0)
	s_and_saveexec_b64 s[10:11], s[6:7]
	s_cbranch_execz .LBB126_116
; %bb.107:
	s_andn2_b64 vcc, exec, s[8:9]
	s_cbranch_vccnz .LBB126_109
; %bb.108:
	buffer_load_dword v128, v131, s[0:3], 0 offen
	buffer_load_dword v129, v131, s[0:3], 0 offen offset:4
	ds_read_b64 v[184:185], v130
	s_waitcnt vmcnt(0) lgkmcnt(0)
	v_mul_f64 v[128:129], v[128:129], v[184:185]
	s_cbranch_execz .LBB126_110
	s_branch .LBB126_111
.LBB126_109:
                                        ; implicit-def: $vgpr128_vgpr129
.LBB126_110:
	ds_read_b64 v[128:129], v130
.LBB126_111:
	s_and_saveexec_b64 s[12:13], s[4:5]
	s_cbranch_execz .LBB126_115
; %bb.112:
	v_subrev_u32_e32 v183, 51, v0
	s_movk_i32 s14, 0x398
	s_mov_b64 s[4:5], 0
.LBB126_113:                            ; =>This Inner Loop Header: Depth=1
	buffer_load_dword v184, v182, s[0:3], 0 offen
	buffer_load_dword v185, v182, s[0:3], 0 offen offset:4
	v_mov_b32_e32 v186, s14
	ds_read_b64 v[186:187], v186
	v_add_u32_e32 v183, -1, v183
	s_add_i32 s14, s14, 8
	v_cmp_eq_u32_e32 vcc, 0, v183
	v_add_u32_e32 v182, 8, v182
	s_or_b64 s[4:5], vcc, s[4:5]
	s_waitcnt vmcnt(0) lgkmcnt(0)
	v_fmac_f64_e32 v[128:129], v[184:185], v[186:187]
	s_andn2_b64 exec, exec, s[4:5]
	s_cbranch_execnz .LBB126_113
; %bb.114:
	s_or_b64 exec, exec, s[4:5]
.LBB126_115:
	s_or_b64 exec, exec, s[12:13]
	v_mov_b32_e32 v182, 0
	ds_read_b64 v[182:183], v182 offset:400
	s_waitcnt lgkmcnt(0)
	v_mul_f64 v[128:129], v[128:129], v[182:183]
	buffer_store_dword v129, off, s[0:3], 0 offset:404
	buffer_store_dword v128, off, s[0:3], 0 offset:400
.LBB126_116:
	s_or_b64 exec, exec, s[10:11]
	buffer_load_dword v128, off, s[0:3], 0 offset:392
	buffer_load_dword v129, off, s[0:3], 0 offset:396
	v_cmp_lt_u32_e64 s[4:5], 49, v0
	s_waitcnt vmcnt(0)
	ds_write_b64 v130, v[128:129]
	s_waitcnt lgkmcnt(0)
	; wave barrier
	s_waitcnt lgkmcnt(0)
	s_and_saveexec_b64 s[10:11], s[4:5]
	s_cbranch_execz .LBB126_126
; %bb.117:
	s_andn2_b64 vcc, exec, s[8:9]
	s_cbranch_vccnz .LBB126_119
; %bb.118:
	buffer_load_dword v128, v131, s[0:3], 0 offen
	buffer_load_dword v129, v131, s[0:3], 0 offen offset:4
	ds_read_b64 v[182:183], v130
	s_waitcnt vmcnt(0) lgkmcnt(0)
	v_mul_f64 v[128:129], v[128:129], v[182:183]
	s_cbranch_execz .LBB126_120
	s_branch .LBB126_121
.LBB126_119:
                                        ; implicit-def: $vgpr128_vgpr129
.LBB126_120:
	ds_read_b64 v[128:129], v130
.LBB126_121:
	s_and_saveexec_b64 s[12:13], s[6:7]
	s_cbranch_execz .LBB126_125
; %bb.122:
	v_subrev_u32_e32 v182, 50, v0
	s_movk_i32 s14, 0x390
	s_mov_b64 s[6:7], 0
.LBB126_123:                            ; =>This Inner Loop Header: Depth=1
	buffer_load_dword v184, v181, s[0:3], 0 offen
	buffer_load_dword v185, v181, s[0:3], 0 offen offset:4
	v_mov_b32_e32 v183, s14
	ds_read_b64 v[186:187], v183
	v_add_u32_e32 v182, -1, v182
	s_add_i32 s14, s14, 8
	v_cmp_eq_u32_e32 vcc, 0, v182
	v_add_u32_e32 v181, 8, v181
	s_or_b64 s[6:7], vcc, s[6:7]
	s_waitcnt vmcnt(0) lgkmcnt(0)
	v_fmac_f64_e32 v[128:129], v[184:185], v[186:187]
	s_andn2_b64 exec, exec, s[6:7]
	s_cbranch_execnz .LBB126_123
; %bb.124:
	s_or_b64 exec, exec, s[6:7]
.LBB126_125:
	s_or_b64 exec, exec, s[12:13]
	v_mov_b32_e32 v181, 0
	ds_read_b64 v[182:183], v181 offset:392
	s_waitcnt lgkmcnt(0)
	v_mul_f64 v[128:129], v[128:129], v[182:183]
	buffer_store_dword v129, off, s[0:3], 0 offset:396
	buffer_store_dword v128, off, s[0:3], 0 offset:392
.LBB126_126:
	s_or_b64 exec, exec, s[10:11]
	buffer_load_dword v128, off, s[0:3], 0 offset:384
	buffer_load_dword v129, off, s[0:3], 0 offset:388
	v_cmp_lt_u32_e64 s[6:7], 48, v0
	s_waitcnt vmcnt(0)
	ds_write_b64 v130, v[128:129]
	s_waitcnt lgkmcnt(0)
	; wave barrier
	s_waitcnt lgkmcnt(0)
	s_and_saveexec_b64 s[10:11], s[6:7]
	s_cbranch_execz .LBB126_136
; %bb.127:
	s_andn2_b64 vcc, exec, s[8:9]
	s_cbranch_vccnz .LBB126_129
; %bb.128:
	buffer_load_dword v128, v131, s[0:3], 0 offen
	buffer_load_dword v129, v131, s[0:3], 0 offen offset:4
	ds_read_b64 v[182:183], v130
	s_waitcnt vmcnt(0) lgkmcnt(0)
	v_mul_f64 v[128:129], v[128:129], v[182:183]
	s_cbranch_execz .LBB126_130
	s_branch .LBB126_131
.LBB126_129:
                                        ; implicit-def: $vgpr128_vgpr129
.LBB126_130:
	ds_read_b64 v[128:129], v130
.LBB126_131:
	s_and_saveexec_b64 s[12:13], s[4:5]
	s_cbranch_execz .LBB126_135
; %bb.132:
	v_subrev_u32_e32 v181, 49, v0
	s_movk_i32 s14, 0x388
	s_mov_b64 s[4:5], 0
.LBB126_133:                            ; =>This Inner Loop Header: Depth=1
	buffer_load_dword v182, v180, s[0:3], 0 offen
	buffer_load_dword v183, v180, s[0:3], 0 offen offset:4
	v_mov_b32_e32 v184, s14
	ds_read_b64 v[184:185], v184
	v_add_u32_e32 v181, -1, v181
	s_add_i32 s14, s14, 8
	v_cmp_eq_u32_e32 vcc, 0, v181
	v_add_u32_e32 v180, 8, v180
	s_or_b64 s[4:5], vcc, s[4:5]
	s_waitcnt vmcnt(0) lgkmcnt(0)
	v_fmac_f64_e32 v[128:129], v[182:183], v[184:185]
	s_andn2_b64 exec, exec, s[4:5]
	s_cbranch_execnz .LBB126_133
; %bb.134:
	s_or_b64 exec, exec, s[4:5]
.LBB126_135:
	s_or_b64 exec, exec, s[12:13]
	v_mov_b32_e32 v180, 0
	ds_read_b64 v[180:181], v180 offset:384
	s_waitcnt lgkmcnt(0)
	v_mul_f64 v[128:129], v[128:129], v[180:181]
	buffer_store_dword v129, off, s[0:3], 0 offset:388
	buffer_store_dword v128, off, s[0:3], 0 offset:384
.LBB126_136:
	s_or_b64 exec, exec, s[10:11]
	buffer_load_dword v128, off, s[0:3], 0 offset:376
	buffer_load_dword v129, off, s[0:3], 0 offset:380
	v_cmp_lt_u32_e64 s[4:5], 47, v0
	s_waitcnt vmcnt(0)
	ds_write_b64 v130, v[128:129]
	s_waitcnt lgkmcnt(0)
	; wave barrier
	s_waitcnt lgkmcnt(0)
	s_and_saveexec_b64 s[10:11], s[4:5]
	s_cbranch_execz .LBB126_146
; %bb.137:
	s_andn2_b64 vcc, exec, s[8:9]
	s_cbranch_vccnz .LBB126_139
; %bb.138:
	buffer_load_dword v128, v131, s[0:3], 0 offen
	buffer_load_dword v129, v131, s[0:3], 0 offen offset:4
	ds_read_b64 v[180:181], v130
	s_waitcnt vmcnt(0) lgkmcnt(0)
	v_mul_f64 v[128:129], v[128:129], v[180:181]
	s_cbranch_execz .LBB126_140
	s_branch .LBB126_141
.LBB126_139:
                                        ; implicit-def: $vgpr128_vgpr129
.LBB126_140:
	ds_read_b64 v[128:129], v130
.LBB126_141:
	s_and_saveexec_b64 s[12:13], s[6:7]
	s_cbranch_execz .LBB126_145
; %bb.142:
	v_subrev_u32_e32 v180, 48, v0
	s_movk_i32 s14, 0x380
	s_mov_b64 s[6:7], 0
.LBB126_143:                            ; =>This Inner Loop Header: Depth=1
	buffer_load_dword v182, v179, s[0:3], 0 offen
	buffer_load_dword v183, v179, s[0:3], 0 offen offset:4
	v_mov_b32_e32 v181, s14
	ds_read_b64 v[184:185], v181
	v_add_u32_e32 v180, -1, v180
	s_add_i32 s14, s14, 8
	v_cmp_eq_u32_e32 vcc, 0, v180
	v_add_u32_e32 v179, 8, v179
	s_or_b64 s[6:7], vcc, s[6:7]
	s_waitcnt vmcnt(0) lgkmcnt(0)
	v_fmac_f64_e32 v[128:129], v[182:183], v[184:185]
	s_andn2_b64 exec, exec, s[6:7]
	s_cbranch_execnz .LBB126_143
; %bb.144:
	s_or_b64 exec, exec, s[6:7]
.LBB126_145:
	s_or_b64 exec, exec, s[12:13]
	v_mov_b32_e32 v179, 0
	ds_read_b64 v[180:181], v179 offset:376
	s_waitcnt lgkmcnt(0)
	v_mul_f64 v[128:129], v[128:129], v[180:181]
	buffer_store_dword v129, off, s[0:3], 0 offset:380
	buffer_store_dword v128, off, s[0:3], 0 offset:376
.LBB126_146:
	s_or_b64 exec, exec, s[10:11]
	buffer_load_dword v128, off, s[0:3], 0 offset:368
	buffer_load_dword v129, off, s[0:3], 0 offset:372
	v_cmp_lt_u32_e64 s[6:7], 46, v0
	s_waitcnt vmcnt(0)
	ds_write_b64 v130, v[128:129]
	s_waitcnt lgkmcnt(0)
	; wave barrier
	s_waitcnt lgkmcnt(0)
	s_and_saveexec_b64 s[10:11], s[6:7]
	s_cbranch_execz .LBB126_156
; %bb.147:
	s_andn2_b64 vcc, exec, s[8:9]
	s_cbranch_vccnz .LBB126_149
; %bb.148:
	buffer_load_dword v128, v131, s[0:3], 0 offen
	buffer_load_dword v129, v131, s[0:3], 0 offen offset:4
	ds_read_b64 v[180:181], v130
	s_waitcnt vmcnt(0) lgkmcnt(0)
	v_mul_f64 v[128:129], v[128:129], v[180:181]
	s_cbranch_execz .LBB126_150
	s_branch .LBB126_151
.LBB126_149:
                                        ; implicit-def: $vgpr128_vgpr129
.LBB126_150:
	ds_read_b64 v[128:129], v130
.LBB126_151:
	s_and_saveexec_b64 s[12:13], s[4:5]
	s_cbranch_execz .LBB126_155
; %bb.152:
	v_subrev_u32_e32 v179, 47, v0
	s_movk_i32 s14, 0x378
	s_mov_b64 s[4:5], 0
.LBB126_153:                            ; =>This Inner Loop Header: Depth=1
	buffer_load_dword v180, v178, s[0:3], 0 offen
	buffer_load_dword v181, v178, s[0:3], 0 offen offset:4
	v_mov_b32_e32 v182, s14
	ds_read_b64 v[182:183], v182
	v_add_u32_e32 v179, -1, v179
	s_add_i32 s14, s14, 8
	v_cmp_eq_u32_e32 vcc, 0, v179
	v_add_u32_e32 v178, 8, v178
	s_or_b64 s[4:5], vcc, s[4:5]
	s_waitcnt vmcnt(0) lgkmcnt(0)
	v_fmac_f64_e32 v[128:129], v[180:181], v[182:183]
	s_andn2_b64 exec, exec, s[4:5]
	s_cbranch_execnz .LBB126_153
; %bb.154:
	s_or_b64 exec, exec, s[4:5]
.LBB126_155:
	s_or_b64 exec, exec, s[12:13]
	v_mov_b32_e32 v178, 0
	ds_read_b64 v[178:179], v178 offset:368
	s_waitcnt lgkmcnt(0)
	v_mul_f64 v[128:129], v[128:129], v[178:179]
	buffer_store_dword v129, off, s[0:3], 0 offset:372
	buffer_store_dword v128, off, s[0:3], 0 offset:368
.LBB126_156:
	s_or_b64 exec, exec, s[10:11]
	buffer_load_dword v128, off, s[0:3], 0 offset:360
	buffer_load_dword v129, off, s[0:3], 0 offset:364
	v_cmp_lt_u32_e64 s[4:5], 45, v0
	s_waitcnt vmcnt(0)
	ds_write_b64 v130, v[128:129]
	s_waitcnt lgkmcnt(0)
	; wave barrier
	s_waitcnt lgkmcnt(0)
	s_and_saveexec_b64 s[10:11], s[4:5]
	s_cbranch_execz .LBB126_166
; %bb.157:
	s_andn2_b64 vcc, exec, s[8:9]
	s_cbranch_vccnz .LBB126_159
; %bb.158:
	buffer_load_dword v128, v131, s[0:3], 0 offen
	buffer_load_dword v129, v131, s[0:3], 0 offen offset:4
	ds_read_b64 v[178:179], v130
	s_waitcnt vmcnt(0) lgkmcnt(0)
	v_mul_f64 v[128:129], v[128:129], v[178:179]
	s_cbranch_execz .LBB126_160
	s_branch .LBB126_161
.LBB126_159:
                                        ; implicit-def: $vgpr128_vgpr129
.LBB126_160:
	ds_read_b64 v[128:129], v130
.LBB126_161:
	s_and_saveexec_b64 s[12:13], s[6:7]
	s_cbranch_execz .LBB126_165
; %bb.162:
	v_subrev_u32_e32 v178, 46, v0
	s_movk_i32 s14, 0x370
	s_mov_b64 s[6:7], 0
.LBB126_163:                            ; =>This Inner Loop Header: Depth=1
	buffer_load_dword v180, v177, s[0:3], 0 offen
	buffer_load_dword v181, v177, s[0:3], 0 offen offset:4
	v_mov_b32_e32 v179, s14
	ds_read_b64 v[182:183], v179
	v_add_u32_e32 v178, -1, v178
	s_add_i32 s14, s14, 8
	v_cmp_eq_u32_e32 vcc, 0, v178
	v_add_u32_e32 v177, 8, v177
	s_or_b64 s[6:7], vcc, s[6:7]
	s_waitcnt vmcnt(0) lgkmcnt(0)
	v_fmac_f64_e32 v[128:129], v[180:181], v[182:183]
	s_andn2_b64 exec, exec, s[6:7]
	s_cbranch_execnz .LBB126_163
; %bb.164:
	s_or_b64 exec, exec, s[6:7]
.LBB126_165:
	s_or_b64 exec, exec, s[12:13]
	v_mov_b32_e32 v177, 0
	ds_read_b64 v[178:179], v177 offset:360
	s_waitcnt lgkmcnt(0)
	v_mul_f64 v[128:129], v[128:129], v[178:179]
	buffer_store_dword v129, off, s[0:3], 0 offset:364
	buffer_store_dword v128, off, s[0:3], 0 offset:360
.LBB126_166:
	s_or_b64 exec, exec, s[10:11]
	buffer_load_dword v128, off, s[0:3], 0 offset:352
	buffer_load_dword v129, off, s[0:3], 0 offset:356
	v_cmp_lt_u32_e64 s[6:7], 44, v0
	s_waitcnt vmcnt(0)
	ds_write_b64 v130, v[128:129]
	s_waitcnt lgkmcnt(0)
	; wave barrier
	s_waitcnt lgkmcnt(0)
	s_and_saveexec_b64 s[10:11], s[6:7]
	s_cbranch_execz .LBB126_176
; %bb.167:
	s_andn2_b64 vcc, exec, s[8:9]
	s_cbranch_vccnz .LBB126_169
; %bb.168:
	buffer_load_dword v128, v131, s[0:3], 0 offen
	buffer_load_dword v129, v131, s[0:3], 0 offen offset:4
	ds_read_b64 v[178:179], v130
	s_waitcnt vmcnt(0) lgkmcnt(0)
	v_mul_f64 v[128:129], v[128:129], v[178:179]
	s_cbranch_execz .LBB126_170
	s_branch .LBB126_171
.LBB126_169:
                                        ; implicit-def: $vgpr128_vgpr129
.LBB126_170:
	ds_read_b64 v[128:129], v130
.LBB126_171:
	s_and_saveexec_b64 s[12:13], s[4:5]
	s_cbranch_execz .LBB126_175
; %bb.172:
	v_subrev_u32_e32 v177, 45, v0
	s_movk_i32 s14, 0x368
	s_mov_b64 s[4:5], 0
.LBB126_173:                            ; =>This Inner Loop Header: Depth=1
	buffer_load_dword v178, v176, s[0:3], 0 offen
	buffer_load_dword v179, v176, s[0:3], 0 offen offset:4
	v_mov_b32_e32 v180, s14
	ds_read_b64 v[180:181], v180
	v_add_u32_e32 v177, -1, v177
	s_add_i32 s14, s14, 8
	v_cmp_eq_u32_e32 vcc, 0, v177
	v_add_u32_e32 v176, 8, v176
	s_or_b64 s[4:5], vcc, s[4:5]
	s_waitcnt vmcnt(0) lgkmcnt(0)
	v_fmac_f64_e32 v[128:129], v[178:179], v[180:181]
	s_andn2_b64 exec, exec, s[4:5]
	s_cbranch_execnz .LBB126_173
; %bb.174:
	s_or_b64 exec, exec, s[4:5]
.LBB126_175:
	s_or_b64 exec, exec, s[12:13]
	v_mov_b32_e32 v176, 0
	ds_read_b64 v[176:177], v176 offset:352
	s_waitcnt lgkmcnt(0)
	v_mul_f64 v[128:129], v[128:129], v[176:177]
	buffer_store_dword v129, off, s[0:3], 0 offset:356
	buffer_store_dword v128, off, s[0:3], 0 offset:352
.LBB126_176:
	s_or_b64 exec, exec, s[10:11]
	buffer_load_dword v128, off, s[0:3], 0 offset:344
	buffer_load_dword v129, off, s[0:3], 0 offset:348
	v_cmp_lt_u32_e64 s[4:5], 43, v0
	s_waitcnt vmcnt(0)
	ds_write_b64 v130, v[128:129]
	s_waitcnt lgkmcnt(0)
	; wave barrier
	s_waitcnt lgkmcnt(0)
	s_and_saveexec_b64 s[10:11], s[4:5]
	s_cbranch_execz .LBB126_186
; %bb.177:
	s_andn2_b64 vcc, exec, s[8:9]
	s_cbranch_vccnz .LBB126_179
; %bb.178:
	buffer_load_dword v128, v131, s[0:3], 0 offen
	buffer_load_dword v129, v131, s[0:3], 0 offen offset:4
	ds_read_b64 v[176:177], v130
	s_waitcnt vmcnt(0) lgkmcnt(0)
	v_mul_f64 v[128:129], v[128:129], v[176:177]
	s_cbranch_execz .LBB126_180
	s_branch .LBB126_181
.LBB126_179:
                                        ; implicit-def: $vgpr128_vgpr129
.LBB126_180:
	ds_read_b64 v[128:129], v130
.LBB126_181:
	s_and_saveexec_b64 s[12:13], s[6:7]
	s_cbranch_execz .LBB126_185
; %bb.182:
	v_subrev_u32_e32 v176, 44, v0
	s_movk_i32 s14, 0x360
	s_mov_b64 s[6:7], 0
.LBB126_183:                            ; =>This Inner Loop Header: Depth=1
	buffer_load_dword v178, v175, s[0:3], 0 offen
	buffer_load_dword v179, v175, s[0:3], 0 offen offset:4
	v_mov_b32_e32 v177, s14
	ds_read_b64 v[180:181], v177
	v_add_u32_e32 v176, -1, v176
	s_add_i32 s14, s14, 8
	v_cmp_eq_u32_e32 vcc, 0, v176
	v_add_u32_e32 v175, 8, v175
	s_or_b64 s[6:7], vcc, s[6:7]
	s_waitcnt vmcnt(0) lgkmcnt(0)
	v_fmac_f64_e32 v[128:129], v[178:179], v[180:181]
	s_andn2_b64 exec, exec, s[6:7]
	s_cbranch_execnz .LBB126_183
; %bb.184:
	s_or_b64 exec, exec, s[6:7]
.LBB126_185:
	s_or_b64 exec, exec, s[12:13]
	v_mov_b32_e32 v175, 0
	ds_read_b64 v[176:177], v175 offset:344
	s_waitcnt lgkmcnt(0)
	v_mul_f64 v[128:129], v[128:129], v[176:177]
	buffer_store_dword v129, off, s[0:3], 0 offset:348
	buffer_store_dword v128, off, s[0:3], 0 offset:344
.LBB126_186:
	s_or_b64 exec, exec, s[10:11]
	buffer_load_dword v128, off, s[0:3], 0 offset:336
	buffer_load_dword v129, off, s[0:3], 0 offset:340
	v_cmp_lt_u32_e64 s[6:7], 42, v0
	s_waitcnt vmcnt(0)
	ds_write_b64 v130, v[128:129]
	s_waitcnt lgkmcnt(0)
	; wave barrier
	s_waitcnt lgkmcnt(0)
	s_and_saveexec_b64 s[10:11], s[6:7]
	s_cbranch_execz .LBB126_196
; %bb.187:
	s_andn2_b64 vcc, exec, s[8:9]
	s_cbranch_vccnz .LBB126_189
; %bb.188:
	buffer_load_dword v128, v131, s[0:3], 0 offen
	buffer_load_dword v129, v131, s[0:3], 0 offen offset:4
	ds_read_b64 v[176:177], v130
	s_waitcnt vmcnt(0) lgkmcnt(0)
	v_mul_f64 v[128:129], v[128:129], v[176:177]
	s_cbranch_execz .LBB126_190
	s_branch .LBB126_191
.LBB126_189:
                                        ; implicit-def: $vgpr128_vgpr129
.LBB126_190:
	ds_read_b64 v[128:129], v130
.LBB126_191:
	s_and_saveexec_b64 s[12:13], s[4:5]
	s_cbranch_execz .LBB126_195
; %bb.192:
	v_subrev_u32_e32 v175, 43, v0
	s_movk_i32 s14, 0x358
	s_mov_b64 s[4:5], 0
.LBB126_193:                            ; =>This Inner Loop Header: Depth=1
	buffer_load_dword v176, v174, s[0:3], 0 offen
	buffer_load_dword v177, v174, s[0:3], 0 offen offset:4
	v_mov_b32_e32 v178, s14
	ds_read_b64 v[178:179], v178
	v_add_u32_e32 v175, -1, v175
	s_add_i32 s14, s14, 8
	v_cmp_eq_u32_e32 vcc, 0, v175
	v_add_u32_e32 v174, 8, v174
	s_or_b64 s[4:5], vcc, s[4:5]
	s_waitcnt vmcnt(0) lgkmcnt(0)
	v_fmac_f64_e32 v[128:129], v[176:177], v[178:179]
	s_andn2_b64 exec, exec, s[4:5]
	s_cbranch_execnz .LBB126_193
; %bb.194:
	s_or_b64 exec, exec, s[4:5]
.LBB126_195:
	s_or_b64 exec, exec, s[12:13]
	v_mov_b32_e32 v174, 0
	ds_read_b64 v[174:175], v174 offset:336
	s_waitcnt lgkmcnt(0)
	v_mul_f64 v[128:129], v[128:129], v[174:175]
	buffer_store_dword v129, off, s[0:3], 0 offset:340
	buffer_store_dword v128, off, s[0:3], 0 offset:336
.LBB126_196:
	s_or_b64 exec, exec, s[10:11]
	buffer_load_dword v128, off, s[0:3], 0 offset:328
	buffer_load_dword v129, off, s[0:3], 0 offset:332
	v_cmp_lt_u32_e64 s[4:5], 41, v0
	s_waitcnt vmcnt(0)
	ds_write_b64 v130, v[128:129]
	s_waitcnt lgkmcnt(0)
	; wave barrier
	s_waitcnt lgkmcnt(0)
	s_and_saveexec_b64 s[10:11], s[4:5]
	s_cbranch_execz .LBB126_206
; %bb.197:
	s_andn2_b64 vcc, exec, s[8:9]
	s_cbranch_vccnz .LBB126_199
; %bb.198:
	buffer_load_dword v128, v131, s[0:3], 0 offen
	buffer_load_dword v129, v131, s[0:3], 0 offen offset:4
	ds_read_b64 v[174:175], v130
	s_waitcnt vmcnt(0) lgkmcnt(0)
	v_mul_f64 v[128:129], v[128:129], v[174:175]
	s_cbranch_execz .LBB126_200
	s_branch .LBB126_201
.LBB126_199:
                                        ; implicit-def: $vgpr128_vgpr129
.LBB126_200:
	ds_read_b64 v[128:129], v130
.LBB126_201:
	s_and_saveexec_b64 s[12:13], s[6:7]
	s_cbranch_execz .LBB126_205
; %bb.202:
	v_subrev_u32_e32 v174, 42, v0
	s_movk_i32 s14, 0x350
	s_mov_b64 s[6:7], 0
.LBB126_203:                            ; =>This Inner Loop Header: Depth=1
	buffer_load_dword v176, v173, s[0:3], 0 offen
	buffer_load_dword v177, v173, s[0:3], 0 offen offset:4
	v_mov_b32_e32 v175, s14
	ds_read_b64 v[178:179], v175
	v_add_u32_e32 v174, -1, v174
	s_add_i32 s14, s14, 8
	v_cmp_eq_u32_e32 vcc, 0, v174
	v_add_u32_e32 v173, 8, v173
	s_or_b64 s[6:7], vcc, s[6:7]
	s_waitcnt vmcnt(0) lgkmcnt(0)
	v_fmac_f64_e32 v[128:129], v[176:177], v[178:179]
	s_andn2_b64 exec, exec, s[6:7]
	s_cbranch_execnz .LBB126_203
; %bb.204:
	s_or_b64 exec, exec, s[6:7]
.LBB126_205:
	s_or_b64 exec, exec, s[12:13]
	v_mov_b32_e32 v173, 0
	ds_read_b64 v[174:175], v173 offset:328
	s_waitcnt lgkmcnt(0)
	v_mul_f64 v[128:129], v[128:129], v[174:175]
	buffer_store_dword v129, off, s[0:3], 0 offset:332
	buffer_store_dword v128, off, s[0:3], 0 offset:328
.LBB126_206:
	s_or_b64 exec, exec, s[10:11]
	buffer_load_dword v128, off, s[0:3], 0 offset:320
	buffer_load_dword v129, off, s[0:3], 0 offset:324
	v_cmp_lt_u32_e64 s[6:7], 40, v0
	s_waitcnt vmcnt(0)
	ds_write_b64 v130, v[128:129]
	s_waitcnt lgkmcnt(0)
	; wave barrier
	s_waitcnt lgkmcnt(0)
	s_and_saveexec_b64 s[10:11], s[6:7]
	s_cbranch_execz .LBB126_216
; %bb.207:
	s_andn2_b64 vcc, exec, s[8:9]
	s_cbranch_vccnz .LBB126_209
; %bb.208:
	buffer_load_dword v128, v131, s[0:3], 0 offen
	buffer_load_dword v129, v131, s[0:3], 0 offen offset:4
	ds_read_b64 v[174:175], v130
	s_waitcnt vmcnt(0) lgkmcnt(0)
	v_mul_f64 v[128:129], v[128:129], v[174:175]
	s_cbranch_execz .LBB126_210
	s_branch .LBB126_211
.LBB126_209:
                                        ; implicit-def: $vgpr128_vgpr129
.LBB126_210:
	ds_read_b64 v[128:129], v130
.LBB126_211:
	s_and_saveexec_b64 s[12:13], s[4:5]
	s_cbranch_execz .LBB126_215
; %bb.212:
	v_subrev_u32_e32 v173, 41, v0
	s_movk_i32 s14, 0x348
	s_mov_b64 s[4:5], 0
.LBB126_213:                            ; =>This Inner Loop Header: Depth=1
	buffer_load_dword v174, v172, s[0:3], 0 offen
	buffer_load_dword v175, v172, s[0:3], 0 offen offset:4
	v_mov_b32_e32 v176, s14
	ds_read_b64 v[176:177], v176
	v_add_u32_e32 v173, -1, v173
	s_add_i32 s14, s14, 8
	v_cmp_eq_u32_e32 vcc, 0, v173
	v_add_u32_e32 v172, 8, v172
	s_or_b64 s[4:5], vcc, s[4:5]
	s_waitcnt vmcnt(0) lgkmcnt(0)
	v_fmac_f64_e32 v[128:129], v[174:175], v[176:177]
	s_andn2_b64 exec, exec, s[4:5]
	s_cbranch_execnz .LBB126_213
; %bb.214:
	s_or_b64 exec, exec, s[4:5]
.LBB126_215:
	s_or_b64 exec, exec, s[12:13]
	v_mov_b32_e32 v172, 0
	ds_read_b64 v[172:173], v172 offset:320
	s_waitcnt lgkmcnt(0)
	v_mul_f64 v[128:129], v[128:129], v[172:173]
	buffer_store_dword v129, off, s[0:3], 0 offset:324
	buffer_store_dword v128, off, s[0:3], 0 offset:320
.LBB126_216:
	s_or_b64 exec, exec, s[10:11]
	buffer_load_dword v128, off, s[0:3], 0 offset:312
	buffer_load_dword v129, off, s[0:3], 0 offset:316
	v_cmp_lt_u32_e64 s[4:5], 39, v0
	s_waitcnt vmcnt(0)
	ds_write_b64 v130, v[128:129]
	s_waitcnt lgkmcnt(0)
	; wave barrier
	s_waitcnt lgkmcnt(0)
	s_and_saveexec_b64 s[10:11], s[4:5]
	s_cbranch_execz .LBB126_226
; %bb.217:
	s_andn2_b64 vcc, exec, s[8:9]
	s_cbranch_vccnz .LBB126_219
; %bb.218:
	buffer_load_dword v128, v131, s[0:3], 0 offen
	buffer_load_dword v129, v131, s[0:3], 0 offen offset:4
	ds_read_b64 v[172:173], v130
	s_waitcnt vmcnt(0) lgkmcnt(0)
	v_mul_f64 v[128:129], v[128:129], v[172:173]
	s_cbranch_execz .LBB126_220
	s_branch .LBB126_221
.LBB126_219:
                                        ; implicit-def: $vgpr128_vgpr129
.LBB126_220:
	ds_read_b64 v[128:129], v130
.LBB126_221:
	s_and_saveexec_b64 s[12:13], s[6:7]
	s_cbranch_execz .LBB126_225
; %bb.222:
	v_subrev_u32_e32 v172, 40, v0
	s_movk_i32 s14, 0x340
	s_mov_b64 s[6:7], 0
.LBB126_223:                            ; =>This Inner Loop Header: Depth=1
	buffer_load_dword v174, v171, s[0:3], 0 offen
	buffer_load_dword v175, v171, s[0:3], 0 offen offset:4
	v_mov_b32_e32 v173, s14
	ds_read_b64 v[176:177], v173
	v_add_u32_e32 v172, -1, v172
	s_add_i32 s14, s14, 8
	v_cmp_eq_u32_e32 vcc, 0, v172
	v_add_u32_e32 v171, 8, v171
	s_or_b64 s[6:7], vcc, s[6:7]
	s_waitcnt vmcnt(0) lgkmcnt(0)
	v_fmac_f64_e32 v[128:129], v[174:175], v[176:177]
	s_andn2_b64 exec, exec, s[6:7]
	s_cbranch_execnz .LBB126_223
; %bb.224:
	s_or_b64 exec, exec, s[6:7]
.LBB126_225:
	s_or_b64 exec, exec, s[12:13]
	v_mov_b32_e32 v171, 0
	ds_read_b64 v[172:173], v171 offset:312
	s_waitcnt lgkmcnt(0)
	v_mul_f64 v[128:129], v[128:129], v[172:173]
	buffer_store_dword v129, off, s[0:3], 0 offset:316
	buffer_store_dword v128, off, s[0:3], 0 offset:312
.LBB126_226:
	s_or_b64 exec, exec, s[10:11]
	buffer_load_dword v128, off, s[0:3], 0 offset:304
	buffer_load_dword v129, off, s[0:3], 0 offset:308
	v_cmp_lt_u32_e64 s[6:7], 38, v0
	s_waitcnt vmcnt(0)
	ds_write_b64 v130, v[128:129]
	s_waitcnt lgkmcnt(0)
	; wave barrier
	s_waitcnt lgkmcnt(0)
	s_and_saveexec_b64 s[10:11], s[6:7]
	s_cbranch_execz .LBB126_236
; %bb.227:
	s_andn2_b64 vcc, exec, s[8:9]
	s_cbranch_vccnz .LBB126_229
; %bb.228:
	buffer_load_dword v128, v131, s[0:3], 0 offen
	buffer_load_dword v129, v131, s[0:3], 0 offen offset:4
	ds_read_b64 v[172:173], v130
	s_waitcnt vmcnt(0) lgkmcnt(0)
	v_mul_f64 v[128:129], v[128:129], v[172:173]
	s_cbranch_execz .LBB126_230
	s_branch .LBB126_231
.LBB126_229:
                                        ; implicit-def: $vgpr128_vgpr129
.LBB126_230:
	ds_read_b64 v[128:129], v130
.LBB126_231:
	s_and_saveexec_b64 s[12:13], s[4:5]
	s_cbranch_execz .LBB126_235
; %bb.232:
	v_subrev_u32_e32 v171, 39, v0
	s_movk_i32 s14, 0x338
	s_mov_b64 s[4:5], 0
.LBB126_233:                            ; =>This Inner Loop Header: Depth=1
	buffer_load_dword v172, v170, s[0:3], 0 offen
	buffer_load_dword v173, v170, s[0:3], 0 offen offset:4
	v_mov_b32_e32 v174, s14
	ds_read_b64 v[174:175], v174
	v_add_u32_e32 v171, -1, v171
	s_add_i32 s14, s14, 8
	v_cmp_eq_u32_e32 vcc, 0, v171
	v_add_u32_e32 v170, 8, v170
	s_or_b64 s[4:5], vcc, s[4:5]
	s_waitcnt vmcnt(0) lgkmcnt(0)
	v_fmac_f64_e32 v[128:129], v[172:173], v[174:175]
	s_andn2_b64 exec, exec, s[4:5]
	s_cbranch_execnz .LBB126_233
; %bb.234:
	s_or_b64 exec, exec, s[4:5]
.LBB126_235:
	s_or_b64 exec, exec, s[12:13]
	v_mov_b32_e32 v170, 0
	ds_read_b64 v[170:171], v170 offset:304
	s_waitcnt lgkmcnt(0)
	v_mul_f64 v[128:129], v[128:129], v[170:171]
	buffer_store_dword v129, off, s[0:3], 0 offset:308
	buffer_store_dword v128, off, s[0:3], 0 offset:304
.LBB126_236:
	s_or_b64 exec, exec, s[10:11]
	buffer_load_dword v128, off, s[0:3], 0 offset:296
	buffer_load_dword v129, off, s[0:3], 0 offset:300
	v_cmp_lt_u32_e64 s[4:5], 37, v0
	s_waitcnt vmcnt(0)
	ds_write_b64 v130, v[128:129]
	s_waitcnt lgkmcnt(0)
	; wave barrier
	s_waitcnt lgkmcnt(0)
	s_and_saveexec_b64 s[10:11], s[4:5]
	s_cbranch_execz .LBB126_246
; %bb.237:
	s_andn2_b64 vcc, exec, s[8:9]
	s_cbranch_vccnz .LBB126_239
; %bb.238:
	buffer_load_dword v128, v131, s[0:3], 0 offen
	buffer_load_dword v129, v131, s[0:3], 0 offen offset:4
	ds_read_b64 v[170:171], v130
	s_waitcnt vmcnt(0) lgkmcnt(0)
	v_mul_f64 v[128:129], v[128:129], v[170:171]
	s_cbranch_execz .LBB126_240
	s_branch .LBB126_241
.LBB126_239:
                                        ; implicit-def: $vgpr128_vgpr129
.LBB126_240:
	ds_read_b64 v[128:129], v130
.LBB126_241:
	s_and_saveexec_b64 s[12:13], s[6:7]
	s_cbranch_execz .LBB126_245
; %bb.242:
	v_subrev_u32_e32 v170, 38, v0
	s_movk_i32 s14, 0x330
	s_mov_b64 s[6:7], 0
.LBB126_243:                            ; =>This Inner Loop Header: Depth=1
	buffer_load_dword v172, v169, s[0:3], 0 offen
	buffer_load_dword v173, v169, s[0:3], 0 offen offset:4
	v_mov_b32_e32 v171, s14
	ds_read_b64 v[174:175], v171
	v_add_u32_e32 v170, -1, v170
	s_add_i32 s14, s14, 8
	v_cmp_eq_u32_e32 vcc, 0, v170
	v_add_u32_e32 v169, 8, v169
	s_or_b64 s[6:7], vcc, s[6:7]
	s_waitcnt vmcnt(0) lgkmcnt(0)
	v_fmac_f64_e32 v[128:129], v[172:173], v[174:175]
	s_andn2_b64 exec, exec, s[6:7]
	s_cbranch_execnz .LBB126_243
; %bb.244:
	s_or_b64 exec, exec, s[6:7]
.LBB126_245:
	s_or_b64 exec, exec, s[12:13]
	v_mov_b32_e32 v169, 0
	ds_read_b64 v[170:171], v169 offset:296
	s_waitcnt lgkmcnt(0)
	v_mul_f64 v[128:129], v[128:129], v[170:171]
	buffer_store_dword v129, off, s[0:3], 0 offset:300
	buffer_store_dword v128, off, s[0:3], 0 offset:296
.LBB126_246:
	s_or_b64 exec, exec, s[10:11]
	buffer_load_dword v128, off, s[0:3], 0 offset:288
	buffer_load_dword v129, off, s[0:3], 0 offset:292
	v_cmp_lt_u32_e64 s[6:7], 36, v0
	s_waitcnt vmcnt(0)
	ds_write_b64 v130, v[128:129]
	s_waitcnt lgkmcnt(0)
	; wave barrier
	s_waitcnt lgkmcnt(0)
	s_and_saveexec_b64 s[10:11], s[6:7]
	s_cbranch_execz .LBB126_256
; %bb.247:
	s_andn2_b64 vcc, exec, s[8:9]
	s_cbranch_vccnz .LBB126_249
; %bb.248:
	buffer_load_dword v128, v131, s[0:3], 0 offen
	buffer_load_dword v129, v131, s[0:3], 0 offen offset:4
	ds_read_b64 v[170:171], v130
	s_waitcnt vmcnt(0) lgkmcnt(0)
	v_mul_f64 v[128:129], v[128:129], v[170:171]
	s_cbranch_execz .LBB126_250
	s_branch .LBB126_251
.LBB126_249:
                                        ; implicit-def: $vgpr128_vgpr129
.LBB126_250:
	ds_read_b64 v[128:129], v130
.LBB126_251:
	s_and_saveexec_b64 s[12:13], s[4:5]
	s_cbranch_execz .LBB126_255
; %bb.252:
	v_subrev_u32_e32 v169, 37, v0
	s_movk_i32 s14, 0x328
	s_mov_b64 s[4:5], 0
.LBB126_253:                            ; =>This Inner Loop Header: Depth=1
	buffer_load_dword v170, v168, s[0:3], 0 offen
	buffer_load_dword v171, v168, s[0:3], 0 offen offset:4
	v_mov_b32_e32 v172, s14
	ds_read_b64 v[172:173], v172
	v_add_u32_e32 v169, -1, v169
	s_add_i32 s14, s14, 8
	v_cmp_eq_u32_e32 vcc, 0, v169
	v_add_u32_e32 v168, 8, v168
	s_or_b64 s[4:5], vcc, s[4:5]
	s_waitcnt vmcnt(0) lgkmcnt(0)
	v_fmac_f64_e32 v[128:129], v[170:171], v[172:173]
	s_andn2_b64 exec, exec, s[4:5]
	s_cbranch_execnz .LBB126_253
; %bb.254:
	s_or_b64 exec, exec, s[4:5]
.LBB126_255:
	s_or_b64 exec, exec, s[12:13]
	v_mov_b32_e32 v168, 0
	ds_read_b64 v[168:169], v168 offset:288
	s_waitcnt lgkmcnt(0)
	v_mul_f64 v[128:129], v[128:129], v[168:169]
	buffer_store_dword v129, off, s[0:3], 0 offset:292
	buffer_store_dword v128, off, s[0:3], 0 offset:288
.LBB126_256:
	s_or_b64 exec, exec, s[10:11]
	buffer_load_dword v128, off, s[0:3], 0 offset:280
	buffer_load_dword v129, off, s[0:3], 0 offset:284
	v_cmp_lt_u32_e64 s[4:5], 35, v0
	s_waitcnt vmcnt(0)
	ds_write_b64 v130, v[128:129]
	s_waitcnt lgkmcnt(0)
	; wave barrier
	s_waitcnt lgkmcnt(0)
	s_and_saveexec_b64 s[10:11], s[4:5]
	s_cbranch_execz .LBB126_266
; %bb.257:
	s_andn2_b64 vcc, exec, s[8:9]
	s_cbranch_vccnz .LBB126_259
; %bb.258:
	buffer_load_dword v128, v131, s[0:3], 0 offen
	buffer_load_dword v129, v131, s[0:3], 0 offen offset:4
	ds_read_b64 v[168:169], v130
	s_waitcnt vmcnt(0) lgkmcnt(0)
	v_mul_f64 v[128:129], v[128:129], v[168:169]
	s_cbranch_execz .LBB126_260
	s_branch .LBB126_261
.LBB126_259:
                                        ; implicit-def: $vgpr128_vgpr129
.LBB126_260:
	ds_read_b64 v[128:129], v130
.LBB126_261:
	s_and_saveexec_b64 s[12:13], s[6:7]
	s_cbranch_execz .LBB126_265
; %bb.262:
	v_subrev_u32_e32 v168, 36, v0
	s_movk_i32 s14, 0x320
	s_mov_b64 s[6:7], 0
.LBB126_263:                            ; =>This Inner Loop Header: Depth=1
	buffer_load_dword v170, v167, s[0:3], 0 offen
	buffer_load_dword v171, v167, s[0:3], 0 offen offset:4
	v_mov_b32_e32 v169, s14
	ds_read_b64 v[172:173], v169
	v_add_u32_e32 v168, -1, v168
	s_add_i32 s14, s14, 8
	v_cmp_eq_u32_e32 vcc, 0, v168
	v_add_u32_e32 v167, 8, v167
	s_or_b64 s[6:7], vcc, s[6:7]
	s_waitcnt vmcnt(0) lgkmcnt(0)
	v_fmac_f64_e32 v[128:129], v[170:171], v[172:173]
	s_andn2_b64 exec, exec, s[6:7]
	s_cbranch_execnz .LBB126_263
; %bb.264:
	s_or_b64 exec, exec, s[6:7]
.LBB126_265:
	s_or_b64 exec, exec, s[12:13]
	v_mov_b32_e32 v167, 0
	ds_read_b64 v[168:169], v167 offset:280
	s_waitcnt lgkmcnt(0)
	v_mul_f64 v[128:129], v[128:129], v[168:169]
	buffer_store_dword v129, off, s[0:3], 0 offset:284
	buffer_store_dword v128, off, s[0:3], 0 offset:280
.LBB126_266:
	s_or_b64 exec, exec, s[10:11]
	buffer_load_dword v128, off, s[0:3], 0 offset:272
	buffer_load_dword v129, off, s[0:3], 0 offset:276
	v_cmp_lt_u32_e64 s[6:7], 34, v0
	s_waitcnt vmcnt(0)
	ds_write_b64 v130, v[128:129]
	s_waitcnt lgkmcnt(0)
	; wave barrier
	s_waitcnt lgkmcnt(0)
	s_and_saveexec_b64 s[10:11], s[6:7]
	s_cbranch_execz .LBB126_276
; %bb.267:
	s_andn2_b64 vcc, exec, s[8:9]
	s_cbranch_vccnz .LBB126_269
; %bb.268:
	buffer_load_dword v128, v131, s[0:3], 0 offen
	buffer_load_dword v129, v131, s[0:3], 0 offen offset:4
	ds_read_b64 v[168:169], v130
	s_waitcnt vmcnt(0) lgkmcnt(0)
	v_mul_f64 v[128:129], v[128:129], v[168:169]
	s_cbranch_execz .LBB126_270
	s_branch .LBB126_271
.LBB126_269:
                                        ; implicit-def: $vgpr128_vgpr129
.LBB126_270:
	ds_read_b64 v[128:129], v130
.LBB126_271:
	s_and_saveexec_b64 s[12:13], s[4:5]
	s_cbranch_execz .LBB126_275
; %bb.272:
	v_subrev_u32_e32 v167, 35, v0
	s_movk_i32 s14, 0x318
	s_mov_b64 s[4:5], 0
.LBB126_273:                            ; =>This Inner Loop Header: Depth=1
	buffer_load_dword v168, v166, s[0:3], 0 offen
	buffer_load_dword v169, v166, s[0:3], 0 offen offset:4
	v_mov_b32_e32 v170, s14
	ds_read_b64 v[170:171], v170
	v_add_u32_e32 v167, -1, v167
	s_add_i32 s14, s14, 8
	v_cmp_eq_u32_e32 vcc, 0, v167
	v_add_u32_e32 v166, 8, v166
	s_or_b64 s[4:5], vcc, s[4:5]
	s_waitcnt vmcnt(0) lgkmcnt(0)
	v_fmac_f64_e32 v[128:129], v[168:169], v[170:171]
	s_andn2_b64 exec, exec, s[4:5]
	s_cbranch_execnz .LBB126_273
; %bb.274:
	s_or_b64 exec, exec, s[4:5]
.LBB126_275:
	s_or_b64 exec, exec, s[12:13]
	v_mov_b32_e32 v166, 0
	ds_read_b64 v[166:167], v166 offset:272
	s_waitcnt lgkmcnt(0)
	v_mul_f64 v[128:129], v[128:129], v[166:167]
	buffer_store_dword v129, off, s[0:3], 0 offset:276
	buffer_store_dword v128, off, s[0:3], 0 offset:272
.LBB126_276:
	s_or_b64 exec, exec, s[10:11]
	buffer_load_dword v128, off, s[0:3], 0 offset:264
	buffer_load_dword v129, off, s[0:3], 0 offset:268
	v_cmp_lt_u32_e64 s[4:5], 33, v0
	s_waitcnt vmcnt(0)
	ds_write_b64 v130, v[128:129]
	s_waitcnt lgkmcnt(0)
	; wave barrier
	s_waitcnt lgkmcnt(0)
	s_and_saveexec_b64 s[10:11], s[4:5]
	s_cbranch_execz .LBB126_286
; %bb.277:
	s_andn2_b64 vcc, exec, s[8:9]
	s_cbranch_vccnz .LBB126_279
; %bb.278:
	buffer_load_dword v128, v131, s[0:3], 0 offen
	buffer_load_dword v129, v131, s[0:3], 0 offen offset:4
	ds_read_b64 v[166:167], v130
	s_waitcnt vmcnt(0) lgkmcnt(0)
	v_mul_f64 v[128:129], v[128:129], v[166:167]
	s_cbranch_execz .LBB126_280
	s_branch .LBB126_281
.LBB126_279:
                                        ; implicit-def: $vgpr128_vgpr129
.LBB126_280:
	ds_read_b64 v[128:129], v130
.LBB126_281:
	s_and_saveexec_b64 s[12:13], s[6:7]
	s_cbranch_execz .LBB126_285
; %bb.282:
	v_subrev_u32_e32 v166, 34, v0
	s_movk_i32 s14, 0x310
	s_mov_b64 s[6:7], 0
.LBB126_283:                            ; =>This Inner Loop Header: Depth=1
	buffer_load_dword v168, v165, s[0:3], 0 offen
	buffer_load_dword v169, v165, s[0:3], 0 offen offset:4
	v_mov_b32_e32 v167, s14
	ds_read_b64 v[170:171], v167
	v_add_u32_e32 v166, -1, v166
	s_add_i32 s14, s14, 8
	v_cmp_eq_u32_e32 vcc, 0, v166
	v_add_u32_e32 v165, 8, v165
	s_or_b64 s[6:7], vcc, s[6:7]
	s_waitcnt vmcnt(0) lgkmcnt(0)
	v_fmac_f64_e32 v[128:129], v[168:169], v[170:171]
	s_andn2_b64 exec, exec, s[6:7]
	s_cbranch_execnz .LBB126_283
; %bb.284:
	s_or_b64 exec, exec, s[6:7]
.LBB126_285:
	s_or_b64 exec, exec, s[12:13]
	v_mov_b32_e32 v165, 0
	ds_read_b64 v[166:167], v165 offset:264
	s_waitcnt lgkmcnt(0)
	v_mul_f64 v[128:129], v[128:129], v[166:167]
	buffer_store_dword v129, off, s[0:3], 0 offset:268
	buffer_store_dword v128, off, s[0:3], 0 offset:264
.LBB126_286:
	s_or_b64 exec, exec, s[10:11]
	buffer_load_dword v128, off, s[0:3], 0 offset:256
	buffer_load_dword v129, off, s[0:3], 0 offset:260
	v_cmp_lt_u32_e64 s[6:7], 32, v0
	s_waitcnt vmcnt(0)
	ds_write_b64 v130, v[128:129]
	s_waitcnt lgkmcnt(0)
	; wave barrier
	s_waitcnt lgkmcnt(0)
	s_and_saveexec_b64 s[10:11], s[6:7]
	s_cbranch_execz .LBB126_296
; %bb.287:
	s_andn2_b64 vcc, exec, s[8:9]
	s_cbranch_vccnz .LBB126_289
; %bb.288:
	buffer_load_dword v128, v131, s[0:3], 0 offen
	buffer_load_dword v129, v131, s[0:3], 0 offen offset:4
	ds_read_b64 v[166:167], v130
	s_waitcnt vmcnt(0) lgkmcnt(0)
	v_mul_f64 v[128:129], v[128:129], v[166:167]
	s_cbranch_execz .LBB126_290
	s_branch .LBB126_291
.LBB126_289:
                                        ; implicit-def: $vgpr128_vgpr129
.LBB126_290:
	ds_read_b64 v[128:129], v130
.LBB126_291:
	s_and_saveexec_b64 s[12:13], s[4:5]
	s_cbranch_execz .LBB126_295
; %bb.292:
	v_subrev_u32_e32 v165, 33, v0
	s_movk_i32 s14, 0x308
	s_mov_b64 s[4:5], 0
.LBB126_293:                            ; =>This Inner Loop Header: Depth=1
	buffer_load_dword v166, v164, s[0:3], 0 offen
	buffer_load_dword v167, v164, s[0:3], 0 offen offset:4
	v_mov_b32_e32 v168, s14
	ds_read_b64 v[168:169], v168
	v_add_u32_e32 v165, -1, v165
	s_add_i32 s14, s14, 8
	v_cmp_eq_u32_e32 vcc, 0, v165
	v_add_u32_e32 v164, 8, v164
	s_or_b64 s[4:5], vcc, s[4:5]
	s_waitcnt vmcnt(0) lgkmcnt(0)
	v_fmac_f64_e32 v[128:129], v[166:167], v[168:169]
	s_andn2_b64 exec, exec, s[4:5]
	s_cbranch_execnz .LBB126_293
; %bb.294:
	s_or_b64 exec, exec, s[4:5]
.LBB126_295:
	s_or_b64 exec, exec, s[12:13]
	v_mov_b32_e32 v164, 0
	ds_read_b64 v[164:165], v164 offset:256
	s_waitcnt lgkmcnt(0)
	v_mul_f64 v[128:129], v[128:129], v[164:165]
	buffer_store_dword v129, off, s[0:3], 0 offset:260
	buffer_store_dword v128, off, s[0:3], 0 offset:256
.LBB126_296:
	s_or_b64 exec, exec, s[10:11]
	buffer_load_dword v128, off, s[0:3], 0 offset:248
	buffer_load_dword v129, off, s[0:3], 0 offset:252
	v_cmp_lt_u32_e64 s[4:5], 31, v0
	s_waitcnt vmcnt(0)
	ds_write_b64 v130, v[128:129]
	s_waitcnt lgkmcnt(0)
	; wave barrier
	s_waitcnt lgkmcnt(0)
	s_and_saveexec_b64 s[10:11], s[4:5]
	s_cbranch_execz .LBB126_306
; %bb.297:
	s_andn2_b64 vcc, exec, s[8:9]
	s_cbranch_vccnz .LBB126_299
; %bb.298:
	buffer_load_dword v128, v131, s[0:3], 0 offen
	buffer_load_dword v129, v131, s[0:3], 0 offen offset:4
	ds_read_b64 v[164:165], v130
	s_waitcnt vmcnt(0) lgkmcnt(0)
	v_mul_f64 v[128:129], v[128:129], v[164:165]
	s_cbranch_execz .LBB126_300
	s_branch .LBB126_301
.LBB126_299:
                                        ; implicit-def: $vgpr128_vgpr129
.LBB126_300:
	ds_read_b64 v[128:129], v130
.LBB126_301:
	s_and_saveexec_b64 s[12:13], s[6:7]
	s_cbranch_execz .LBB126_305
; %bb.302:
	v_subrev_u32_e32 v164, 32, v0
	s_movk_i32 s14, 0x300
	s_mov_b64 s[6:7], 0
.LBB126_303:                            ; =>This Inner Loop Header: Depth=1
	buffer_load_dword v166, v163, s[0:3], 0 offen
	buffer_load_dword v167, v163, s[0:3], 0 offen offset:4
	v_mov_b32_e32 v165, s14
	ds_read_b64 v[168:169], v165
	v_add_u32_e32 v164, -1, v164
	s_add_i32 s14, s14, 8
	v_cmp_eq_u32_e32 vcc, 0, v164
	v_add_u32_e32 v163, 8, v163
	s_or_b64 s[6:7], vcc, s[6:7]
	s_waitcnt vmcnt(0) lgkmcnt(0)
	v_fmac_f64_e32 v[128:129], v[166:167], v[168:169]
	s_andn2_b64 exec, exec, s[6:7]
	s_cbranch_execnz .LBB126_303
; %bb.304:
	s_or_b64 exec, exec, s[6:7]
.LBB126_305:
	s_or_b64 exec, exec, s[12:13]
	v_mov_b32_e32 v163, 0
	ds_read_b64 v[164:165], v163 offset:248
	s_waitcnt lgkmcnt(0)
	v_mul_f64 v[128:129], v[128:129], v[164:165]
	buffer_store_dword v129, off, s[0:3], 0 offset:252
	buffer_store_dword v128, off, s[0:3], 0 offset:248
.LBB126_306:
	s_or_b64 exec, exec, s[10:11]
	buffer_load_dword v128, off, s[0:3], 0 offset:240
	buffer_load_dword v129, off, s[0:3], 0 offset:244
	v_cmp_lt_u32_e64 s[6:7], 30, v0
	s_waitcnt vmcnt(0)
	ds_write_b64 v130, v[128:129]
	s_waitcnt lgkmcnt(0)
	; wave barrier
	s_waitcnt lgkmcnt(0)
	s_and_saveexec_b64 s[10:11], s[6:7]
	s_cbranch_execz .LBB126_316
; %bb.307:
	s_andn2_b64 vcc, exec, s[8:9]
	s_cbranch_vccnz .LBB126_309
; %bb.308:
	buffer_load_dword v128, v131, s[0:3], 0 offen
	buffer_load_dword v129, v131, s[0:3], 0 offen offset:4
	ds_read_b64 v[164:165], v130
	s_waitcnt vmcnt(0) lgkmcnt(0)
	v_mul_f64 v[128:129], v[128:129], v[164:165]
	s_cbranch_execz .LBB126_310
	s_branch .LBB126_311
.LBB126_309:
                                        ; implicit-def: $vgpr128_vgpr129
.LBB126_310:
	ds_read_b64 v[128:129], v130
.LBB126_311:
	s_and_saveexec_b64 s[12:13], s[4:5]
	s_cbranch_execz .LBB126_315
; %bb.312:
	v_subrev_u32_e32 v163, 31, v0
	s_movk_i32 s14, 0x2f8
	s_mov_b64 s[4:5], 0
.LBB126_313:                            ; =>This Inner Loop Header: Depth=1
	buffer_load_dword v164, v162, s[0:3], 0 offen
	buffer_load_dword v165, v162, s[0:3], 0 offen offset:4
	v_mov_b32_e32 v166, s14
	ds_read_b64 v[166:167], v166
	v_add_u32_e32 v163, -1, v163
	s_add_i32 s14, s14, 8
	v_cmp_eq_u32_e32 vcc, 0, v163
	v_add_u32_e32 v162, 8, v162
	s_or_b64 s[4:5], vcc, s[4:5]
	s_waitcnt vmcnt(0) lgkmcnt(0)
	v_fmac_f64_e32 v[128:129], v[164:165], v[166:167]
	s_andn2_b64 exec, exec, s[4:5]
	s_cbranch_execnz .LBB126_313
; %bb.314:
	s_or_b64 exec, exec, s[4:5]
.LBB126_315:
	s_or_b64 exec, exec, s[12:13]
	v_mov_b32_e32 v162, 0
	ds_read_b64 v[162:163], v162 offset:240
	s_waitcnt lgkmcnt(0)
	v_mul_f64 v[128:129], v[128:129], v[162:163]
	buffer_store_dword v129, off, s[0:3], 0 offset:244
	buffer_store_dword v128, off, s[0:3], 0 offset:240
.LBB126_316:
	s_or_b64 exec, exec, s[10:11]
	buffer_load_dword v128, off, s[0:3], 0 offset:232
	buffer_load_dword v129, off, s[0:3], 0 offset:236
	v_cmp_lt_u32_e64 s[4:5], 29, v0
	s_waitcnt vmcnt(0)
	ds_write_b64 v130, v[128:129]
	s_waitcnt lgkmcnt(0)
	; wave barrier
	s_waitcnt lgkmcnt(0)
	s_and_saveexec_b64 s[10:11], s[4:5]
	s_cbranch_execz .LBB126_326
; %bb.317:
	s_andn2_b64 vcc, exec, s[8:9]
	s_cbranch_vccnz .LBB126_319
; %bb.318:
	buffer_load_dword v128, v131, s[0:3], 0 offen
	buffer_load_dword v129, v131, s[0:3], 0 offen offset:4
	ds_read_b64 v[162:163], v130
	s_waitcnt vmcnt(0) lgkmcnt(0)
	v_mul_f64 v[128:129], v[128:129], v[162:163]
	s_cbranch_execz .LBB126_320
	s_branch .LBB126_321
.LBB126_319:
                                        ; implicit-def: $vgpr128_vgpr129
.LBB126_320:
	ds_read_b64 v[128:129], v130
.LBB126_321:
	s_and_saveexec_b64 s[12:13], s[6:7]
	s_cbranch_execz .LBB126_325
; %bb.322:
	v_subrev_u32_e32 v162, 30, v0
	s_movk_i32 s14, 0x2f0
	s_mov_b64 s[6:7], 0
.LBB126_323:                            ; =>This Inner Loop Header: Depth=1
	buffer_load_dword v164, v161, s[0:3], 0 offen
	buffer_load_dword v165, v161, s[0:3], 0 offen offset:4
	v_mov_b32_e32 v163, s14
	ds_read_b64 v[166:167], v163
	v_add_u32_e32 v162, -1, v162
	s_add_i32 s14, s14, 8
	v_cmp_eq_u32_e32 vcc, 0, v162
	v_add_u32_e32 v161, 8, v161
	s_or_b64 s[6:7], vcc, s[6:7]
	s_waitcnt vmcnt(0) lgkmcnt(0)
	v_fmac_f64_e32 v[128:129], v[164:165], v[166:167]
	s_andn2_b64 exec, exec, s[6:7]
	s_cbranch_execnz .LBB126_323
; %bb.324:
	s_or_b64 exec, exec, s[6:7]
.LBB126_325:
	s_or_b64 exec, exec, s[12:13]
	v_mov_b32_e32 v161, 0
	ds_read_b64 v[162:163], v161 offset:232
	s_waitcnt lgkmcnt(0)
	v_mul_f64 v[128:129], v[128:129], v[162:163]
	buffer_store_dword v129, off, s[0:3], 0 offset:236
	buffer_store_dword v128, off, s[0:3], 0 offset:232
.LBB126_326:
	s_or_b64 exec, exec, s[10:11]
	buffer_load_dword v128, off, s[0:3], 0 offset:224
	buffer_load_dword v129, off, s[0:3], 0 offset:228
	v_cmp_lt_u32_e64 s[6:7], 28, v0
	s_waitcnt vmcnt(0)
	ds_write_b64 v130, v[128:129]
	s_waitcnt lgkmcnt(0)
	; wave barrier
	s_waitcnt lgkmcnt(0)
	s_and_saveexec_b64 s[10:11], s[6:7]
	s_cbranch_execz .LBB126_336
; %bb.327:
	s_andn2_b64 vcc, exec, s[8:9]
	s_cbranch_vccnz .LBB126_329
; %bb.328:
	buffer_load_dword v128, v131, s[0:3], 0 offen
	buffer_load_dword v129, v131, s[0:3], 0 offen offset:4
	ds_read_b64 v[162:163], v130
	s_waitcnt vmcnt(0) lgkmcnt(0)
	v_mul_f64 v[128:129], v[128:129], v[162:163]
	s_cbranch_execz .LBB126_330
	s_branch .LBB126_331
.LBB126_329:
                                        ; implicit-def: $vgpr128_vgpr129
.LBB126_330:
	ds_read_b64 v[128:129], v130
.LBB126_331:
	s_and_saveexec_b64 s[12:13], s[4:5]
	s_cbranch_execz .LBB126_335
; %bb.332:
	v_subrev_u32_e32 v161, 29, v0
	s_movk_i32 s14, 0x2e8
	s_mov_b64 s[4:5], 0
.LBB126_333:                            ; =>This Inner Loop Header: Depth=1
	buffer_load_dword v162, v160, s[0:3], 0 offen
	buffer_load_dword v163, v160, s[0:3], 0 offen offset:4
	v_mov_b32_e32 v164, s14
	ds_read_b64 v[164:165], v164
	v_add_u32_e32 v161, -1, v161
	s_add_i32 s14, s14, 8
	v_cmp_eq_u32_e32 vcc, 0, v161
	v_add_u32_e32 v160, 8, v160
	s_or_b64 s[4:5], vcc, s[4:5]
	s_waitcnt vmcnt(0) lgkmcnt(0)
	v_fmac_f64_e32 v[128:129], v[162:163], v[164:165]
	s_andn2_b64 exec, exec, s[4:5]
	s_cbranch_execnz .LBB126_333
; %bb.334:
	s_or_b64 exec, exec, s[4:5]
.LBB126_335:
	s_or_b64 exec, exec, s[12:13]
	v_mov_b32_e32 v160, 0
	ds_read_b64 v[160:161], v160 offset:224
	s_waitcnt lgkmcnt(0)
	v_mul_f64 v[128:129], v[128:129], v[160:161]
	buffer_store_dword v129, off, s[0:3], 0 offset:228
	buffer_store_dword v128, off, s[0:3], 0 offset:224
.LBB126_336:
	s_or_b64 exec, exec, s[10:11]
	buffer_load_dword v128, off, s[0:3], 0 offset:216
	buffer_load_dword v129, off, s[0:3], 0 offset:220
	v_cmp_lt_u32_e64 s[4:5], 27, v0
	s_waitcnt vmcnt(0)
	ds_write_b64 v130, v[128:129]
	s_waitcnt lgkmcnt(0)
	; wave barrier
	s_waitcnt lgkmcnt(0)
	s_and_saveexec_b64 s[10:11], s[4:5]
	s_cbranch_execz .LBB126_346
; %bb.337:
	s_andn2_b64 vcc, exec, s[8:9]
	s_cbranch_vccnz .LBB126_339
; %bb.338:
	buffer_load_dword v128, v131, s[0:3], 0 offen
	buffer_load_dword v129, v131, s[0:3], 0 offen offset:4
	ds_read_b64 v[160:161], v130
	s_waitcnt vmcnt(0) lgkmcnt(0)
	v_mul_f64 v[128:129], v[128:129], v[160:161]
	s_cbranch_execz .LBB126_340
	s_branch .LBB126_341
.LBB126_339:
                                        ; implicit-def: $vgpr128_vgpr129
.LBB126_340:
	ds_read_b64 v[128:129], v130
.LBB126_341:
	s_and_saveexec_b64 s[12:13], s[6:7]
	s_cbranch_execz .LBB126_345
; %bb.342:
	v_subrev_u32_e32 v160, 28, v0
	s_movk_i32 s14, 0x2e0
	s_mov_b64 s[6:7], 0
.LBB126_343:                            ; =>This Inner Loop Header: Depth=1
	buffer_load_dword v162, v159, s[0:3], 0 offen
	buffer_load_dword v163, v159, s[0:3], 0 offen offset:4
	v_mov_b32_e32 v161, s14
	ds_read_b64 v[164:165], v161
	v_add_u32_e32 v160, -1, v160
	s_add_i32 s14, s14, 8
	v_cmp_eq_u32_e32 vcc, 0, v160
	v_add_u32_e32 v159, 8, v159
	s_or_b64 s[6:7], vcc, s[6:7]
	s_waitcnt vmcnt(0) lgkmcnt(0)
	v_fmac_f64_e32 v[128:129], v[162:163], v[164:165]
	s_andn2_b64 exec, exec, s[6:7]
	s_cbranch_execnz .LBB126_343
; %bb.344:
	s_or_b64 exec, exec, s[6:7]
.LBB126_345:
	s_or_b64 exec, exec, s[12:13]
	v_mov_b32_e32 v159, 0
	ds_read_b64 v[160:161], v159 offset:216
	s_waitcnt lgkmcnt(0)
	v_mul_f64 v[128:129], v[128:129], v[160:161]
	buffer_store_dword v129, off, s[0:3], 0 offset:220
	buffer_store_dword v128, off, s[0:3], 0 offset:216
.LBB126_346:
	s_or_b64 exec, exec, s[10:11]
	buffer_load_dword v128, off, s[0:3], 0 offset:208
	buffer_load_dword v129, off, s[0:3], 0 offset:212
	v_cmp_lt_u32_e64 s[6:7], 26, v0
	s_waitcnt vmcnt(0)
	ds_write_b64 v130, v[128:129]
	s_waitcnt lgkmcnt(0)
	; wave barrier
	s_waitcnt lgkmcnt(0)
	s_and_saveexec_b64 s[10:11], s[6:7]
	s_cbranch_execz .LBB126_356
; %bb.347:
	s_andn2_b64 vcc, exec, s[8:9]
	s_cbranch_vccnz .LBB126_349
; %bb.348:
	buffer_load_dword v128, v131, s[0:3], 0 offen
	buffer_load_dword v129, v131, s[0:3], 0 offen offset:4
	ds_read_b64 v[160:161], v130
	s_waitcnt vmcnt(0) lgkmcnt(0)
	v_mul_f64 v[128:129], v[128:129], v[160:161]
	s_cbranch_execz .LBB126_350
	s_branch .LBB126_351
.LBB126_349:
                                        ; implicit-def: $vgpr128_vgpr129
.LBB126_350:
	ds_read_b64 v[128:129], v130
.LBB126_351:
	s_and_saveexec_b64 s[12:13], s[4:5]
	s_cbranch_execz .LBB126_355
; %bb.352:
	v_subrev_u32_e32 v159, 27, v0
	s_movk_i32 s14, 0x2d8
	s_mov_b64 s[4:5], 0
.LBB126_353:                            ; =>This Inner Loop Header: Depth=1
	buffer_load_dword v160, v158, s[0:3], 0 offen
	buffer_load_dword v161, v158, s[0:3], 0 offen offset:4
	v_mov_b32_e32 v162, s14
	ds_read_b64 v[162:163], v162
	v_add_u32_e32 v159, -1, v159
	s_add_i32 s14, s14, 8
	v_cmp_eq_u32_e32 vcc, 0, v159
	v_add_u32_e32 v158, 8, v158
	s_or_b64 s[4:5], vcc, s[4:5]
	s_waitcnt vmcnt(0) lgkmcnt(0)
	v_fmac_f64_e32 v[128:129], v[160:161], v[162:163]
	s_andn2_b64 exec, exec, s[4:5]
	s_cbranch_execnz .LBB126_353
; %bb.354:
	s_or_b64 exec, exec, s[4:5]
.LBB126_355:
	s_or_b64 exec, exec, s[12:13]
	v_mov_b32_e32 v158, 0
	ds_read_b64 v[158:159], v158 offset:208
	s_waitcnt lgkmcnt(0)
	v_mul_f64 v[128:129], v[128:129], v[158:159]
	buffer_store_dword v129, off, s[0:3], 0 offset:212
	buffer_store_dword v128, off, s[0:3], 0 offset:208
.LBB126_356:
	s_or_b64 exec, exec, s[10:11]
	buffer_load_dword v128, off, s[0:3], 0 offset:200
	buffer_load_dword v129, off, s[0:3], 0 offset:204
	v_cmp_lt_u32_e64 s[4:5], 25, v0
	s_waitcnt vmcnt(0)
	ds_write_b64 v130, v[128:129]
	s_waitcnt lgkmcnt(0)
	; wave barrier
	s_waitcnt lgkmcnt(0)
	s_and_saveexec_b64 s[10:11], s[4:5]
	s_cbranch_execz .LBB126_366
; %bb.357:
	s_andn2_b64 vcc, exec, s[8:9]
	s_cbranch_vccnz .LBB126_359
; %bb.358:
	buffer_load_dword v128, v131, s[0:3], 0 offen
	buffer_load_dword v129, v131, s[0:3], 0 offen offset:4
	ds_read_b64 v[158:159], v130
	s_waitcnt vmcnt(0) lgkmcnt(0)
	v_mul_f64 v[128:129], v[128:129], v[158:159]
	s_cbranch_execz .LBB126_360
	s_branch .LBB126_361
.LBB126_359:
                                        ; implicit-def: $vgpr128_vgpr129
.LBB126_360:
	ds_read_b64 v[128:129], v130
.LBB126_361:
	s_and_saveexec_b64 s[12:13], s[6:7]
	s_cbranch_execz .LBB126_365
; %bb.362:
	v_subrev_u32_e32 v158, 26, v0
	s_movk_i32 s14, 0x2d0
	s_mov_b64 s[6:7], 0
.LBB126_363:                            ; =>This Inner Loop Header: Depth=1
	buffer_load_dword v160, v157, s[0:3], 0 offen
	buffer_load_dword v161, v157, s[0:3], 0 offen offset:4
	v_mov_b32_e32 v159, s14
	ds_read_b64 v[162:163], v159
	v_add_u32_e32 v158, -1, v158
	s_add_i32 s14, s14, 8
	v_cmp_eq_u32_e32 vcc, 0, v158
	v_add_u32_e32 v157, 8, v157
	s_or_b64 s[6:7], vcc, s[6:7]
	s_waitcnt vmcnt(0) lgkmcnt(0)
	v_fmac_f64_e32 v[128:129], v[160:161], v[162:163]
	s_andn2_b64 exec, exec, s[6:7]
	s_cbranch_execnz .LBB126_363
; %bb.364:
	s_or_b64 exec, exec, s[6:7]
.LBB126_365:
	s_or_b64 exec, exec, s[12:13]
	v_mov_b32_e32 v157, 0
	ds_read_b64 v[158:159], v157 offset:200
	s_waitcnt lgkmcnt(0)
	v_mul_f64 v[128:129], v[128:129], v[158:159]
	buffer_store_dword v129, off, s[0:3], 0 offset:204
	buffer_store_dword v128, off, s[0:3], 0 offset:200
.LBB126_366:
	s_or_b64 exec, exec, s[10:11]
	buffer_load_dword v128, off, s[0:3], 0 offset:192
	buffer_load_dword v129, off, s[0:3], 0 offset:196
	v_cmp_lt_u32_e64 s[6:7], 24, v0
	s_waitcnt vmcnt(0)
	ds_write_b64 v130, v[128:129]
	s_waitcnt lgkmcnt(0)
	; wave barrier
	s_waitcnt lgkmcnt(0)
	s_and_saveexec_b64 s[10:11], s[6:7]
	s_cbranch_execz .LBB126_376
; %bb.367:
	s_andn2_b64 vcc, exec, s[8:9]
	s_cbranch_vccnz .LBB126_369
; %bb.368:
	buffer_load_dword v128, v131, s[0:3], 0 offen
	buffer_load_dword v129, v131, s[0:3], 0 offen offset:4
	ds_read_b64 v[158:159], v130
	s_waitcnt vmcnt(0) lgkmcnt(0)
	v_mul_f64 v[128:129], v[128:129], v[158:159]
	s_cbranch_execz .LBB126_370
	s_branch .LBB126_371
.LBB126_369:
                                        ; implicit-def: $vgpr128_vgpr129
.LBB126_370:
	ds_read_b64 v[128:129], v130
.LBB126_371:
	s_and_saveexec_b64 s[12:13], s[4:5]
	s_cbranch_execz .LBB126_375
; %bb.372:
	v_subrev_u32_e32 v157, 25, v0
	s_movk_i32 s14, 0x2c8
	s_mov_b64 s[4:5], 0
.LBB126_373:                            ; =>This Inner Loop Header: Depth=1
	buffer_load_dword v158, v156, s[0:3], 0 offen
	buffer_load_dword v159, v156, s[0:3], 0 offen offset:4
	v_mov_b32_e32 v160, s14
	ds_read_b64 v[160:161], v160
	v_add_u32_e32 v157, -1, v157
	s_add_i32 s14, s14, 8
	v_cmp_eq_u32_e32 vcc, 0, v157
	v_add_u32_e32 v156, 8, v156
	s_or_b64 s[4:5], vcc, s[4:5]
	s_waitcnt vmcnt(0) lgkmcnt(0)
	v_fmac_f64_e32 v[128:129], v[158:159], v[160:161]
	s_andn2_b64 exec, exec, s[4:5]
	s_cbranch_execnz .LBB126_373
; %bb.374:
	s_or_b64 exec, exec, s[4:5]
.LBB126_375:
	s_or_b64 exec, exec, s[12:13]
	v_mov_b32_e32 v156, 0
	ds_read_b64 v[156:157], v156 offset:192
	s_waitcnt lgkmcnt(0)
	v_mul_f64 v[128:129], v[128:129], v[156:157]
	buffer_store_dword v129, off, s[0:3], 0 offset:196
	buffer_store_dword v128, off, s[0:3], 0 offset:192
.LBB126_376:
	s_or_b64 exec, exec, s[10:11]
	buffer_load_dword v128, off, s[0:3], 0 offset:184
	buffer_load_dword v129, off, s[0:3], 0 offset:188
	v_cmp_lt_u32_e64 s[4:5], 23, v0
	s_waitcnt vmcnt(0)
	ds_write_b64 v130, v[128:129]
	s_waitcnt lgkmcnt(0)
	; wave barrier
	s_waitcnt lgkmcnt(0)
	s_and_saveexec_b64 s[10:11], s[4:5]
	s_cbranch_execz .LBB126_386
; %bb.377:
	s_andn2_b64 vcc, exec, s[8:9]
	s_cbranch_vccnz .LBB126_379
; %bb.378:
	buffer_load_dword v128, v131, s[0:3], 0 offen
	buffer_load_dword v129, v131, s[0:3], 0 offen offset:4
	ds_read_b64 v[156:157], v130
	s_waitcnt vmcnt(0) lgkmcnt(0)
	v_mul_f64 v[128:129], v[128:129], v[156:157]
	s_cbranch_execz .LBB126_380
	s_branch .LBB126_381
.LBB126_379:
                                        ; implicit-def: $vgpr128_vgpr129
.LBB126_380:
	ds_read_b64 v[128:129], v130
.LBB126_381:
	s_and_saveexec_b64 s[12:13], s[6:7]
	s_cbranch_execz .LBB126_385
; %bb.382:
	v_subrev_u32_e32 v156, 24, v0
	s_movk_i32 s14, 0x2c0
	s_mov_b64 s[6:7], 0
.LBB126_383:                            ; =>This Inner Loop Header: Depth=1
	buffer_load_dword v158, v155, s[0:3], 0 offen
	buffer_load_dword v159, v155, s[0:3], 0 offen offset:4
	v_mov_b32_e32 v157, s14
	ds_read_b64 v[160:161], v157
	v_add_u32_e32 v156, -1, v156
	s_add_i32 s14, s14, 8
	v_cmp_eq_u32_e32 vcc, 0, v156
	v_add_u32_e32 v155, 8, v155
	s_or_b64 s[6:7], vcc, s[6:7]
	s_waitcnt vmcnt(0) lgkmcnt(0)
	v_fmac_f64_e32 v[128:129], v[158:159], v[160:161]
	s_andn2_b64 exec, exec, s[6:7]
	s_cbranch_execnz .LBB126_383
; %bb.384:
	s_or_b64 exec, exec, s[6:7]
.LBB126_385:
	s_or_b64 exec, exec, s[12:13]
	v_mov_b32_e32 v155, 0
	ds_read_b64 v[156:157], v155 offset:184
	s_waitcnt lgkmcnt(0)
	v_mul_f64 v[128:129], v[128:129], v[156:157]
	buffer_store_dword v129, off, s[0:3], 0 offset:188
	buffer_store_dword v128, off, s[0:3], 0 offset:184
.LBB126_386:
	s_or_b64 exec, exec, s[10:11]
	buffer_load_dword v128, off, s[0:3], 0 offset:176
	buffer_load_dword v129, off, s[0:3], 0 offset:180
	v_cmp_lt_u32_e64 s[6:7], 22, v0
	s_waitcnt vmcnt(0)
	ds_write_b64 v130, v[128:129]
	s_waitcnt lgkmcnt(0)
	; wave barrier
	s_waitcnt lgkmcnt(0)
	s_and_saveexec_b64 s[10:11], s[6:7]
	s_cbranch_execz .LBB126_396
; %bb.387:
	s_andn2_b64 vcc, exec, s[8:9]
	s_cbranch_vccnz .LBB126_389
; %bb.388:
	buffer_load_dword v128, v131, s[0:3], 0 offen
	buffer_load_dword v129, v131, s[0:3], 0 offen offset:4
	ds_read_b64 v[156:157], v130
	s_waitcnt vmcnt(0) lgkmcnt(0)
	v_mul_f64 v[128:129], v[128:129], v[156:157]
	s_cbranch_execz .LBB126_390
	s_branch .LBB126_391
.LBB126_389:
                                        ; implicit-def: $vgpr128_vgpr129
.LBB126_390:
	ds_read_b64 v[128:129], v130
.LBB126_391:
	s_and_saveexec_b64 s[12:13], s[4:5]
	s_cbranch_execz .LBB126_395
; %bb.392:
	v_subrev_u32_e32 v155, 23, v0
	s_movk_i32 s14, 0x2b8
	s_mov_b64 s[4:5], 0
.LBB126_393:                            ; =>This Inner Loop Header: Depth=1
	buffer_load_dword v156, v154, s[0:3], 0 offen
	buffer_load_dword v157, v154, s[0:3], 0 offen offset:4
	v_mov_b32_e32 v158, s14
	ds_read_b64 v[158:159], v158
	v_add_u32_e32 v155, -1, v155
	s_add_i32 s14, s14, 8
	v_cmp_eq_u32_e32 vcc, 0, v155
	v_add_u32_e32 v154, 8, v154
	s_or_b64 s[4:5], vcc, s[4:5]
	s_waitcnt vmcnt(0) lgkmcnt(0)
	v_fmac_f64_e32 v[128:129], v[156:157], v[158:159]
	s_andn2_b64 exec, exec, s[4:5]
	s_cbranch_execnz .LBB126_393
; %bb.394:
	s_or_b64 exec, exec, s[4:5]
.LBB126_395:
	s_or_b64 exec, exec, s[12:13]
	v_mov_b32_e32 v154, 0
	ds_read_b64 v[154:155], v154 offset:176
	s_waitcnt lgkmcnt(0)
	v_mul_f64 v[128:129], v[128:129], v[154:155]
	buffer_store_dword v129, off, s[0:3], 0 offset:180
	buffer_store_dword v128, off, s[0:3], 0 offset:176
.LBB126_396:
	s_or_b64 exec, exec, s[10:11]
	buffer_load_dword v128, off, s[0:3], 0 offset:168
	buffer_load_dword v129, off, s[0:3], 0 offset:172
	v_cmp_lt_u32_e64 s[4:5], 21, v0
	s_waitcnt vmcnt(0)
	ds_write_b64 v130, v[128:129]
	s_waitcnt lgkmcnt(0)
	; wave barrier
	s_waitcnt lgkmcnt(0)
	s_and_saveexec_b64 s[10:11], s[4:5]
	s_cbranch_execz .LBB126_406
; %bb.397:
	s_andn2_b64 vcc, exec, s[8:9]
	s_cbranch_vccnz .LBB126_399
; %bb.398:
	buffer_load_dword v128, v131, s[0:3], 0 offen
	buffer_load_dword v129, v131, s[0:3], 0 offen offset:4
	ds_read_b64 v[154:155], v130
	s_waitcnt vmcnt(0) lgkmcnt(0)
	v_mul_f64 v[128:129], v[128:129], v[154:155]
	s_cbranch_execz .LBB126_400
	s_branch .LBB126_401
.LBB126_399:
                                        ; implicit-def: $vgpr128_vgpr129
.LBB126_400:
	ds_read_b64 v[128:129], v130
.LBB126_401:
	s_and_saveexec_b64 s[12:13], s[6:7]
	s_cbranch_execz .LBB126_405
; %bb.402:
	v_subrev_u32_e32 v154, 22, v0
	s_movk_i32 s14, 0x2b0
	s_mov_b64 s[6:7], 0
.LBB126_403:                            ; =>This Inner Loop Header: Depth=1
	buffer_load_dword v156, v153, s[0:3], 0 offen
	buffer_load_dword v157, v153, s[0:3], 0 offen offset:4
	v_mov_b32_e32 v155, s14
	ds_read_b64 v[158:159], v155
	v_add_u32_e32 v154, -1, v154
	s_add_i32 s14, s14, 8
	v_cmp_eq_u32_e32 vcc, 0, v154
	v_add_u32_e32 v153, 8, v153
	s_or_b64 s[6:7], vcc, s[6:7]
	s_waitcnt vmcnt(0) lgkmcnt(0)
	v_fmac_f64_e32 v[128:129], v[156:157], v[158:159]
	s_andn2_b64 exec, exec, s[6:7]
	s_cbranch_execnz .LBB126_403
; %bb.404:
	s_or_b64 exec, exec, s[6:7]
.LBB126_405:
	s_or_b64 exec, exec, s[12:13]
	v_mov_b32_e32 v153, 0
	ds_read_b64 v[154:155], v153 offset:168
	s_waitcnt lgkmcnt(0)
	v_mul_f64 v[128:129], v[128:129], v[154:155]
	buffer_store_dword v129, off, s[0:3], 0 offset:172
	buffer_store_dword v128, off, s[0:3], 0 offset:168
.LBB126_406:
	s_or_b64 exec, exec, s[10:11]
	buffer_load_dword v128, off, s[0:3], 0 offset:160
	buffer_load_dword v129, off, s[0:3], 0 offset:164
	v_cmp_lt_u32_e64 s[6:7], 20, v0
	s_waitcnt vmcnt(0)
	ds_write_b64 v130, v[128:129]
	s_waitcnt lgkmcnt(0)
	; wave barrier
	s_waitcnt lgkmcnt(0)
	s_and_saveexec_b64 s[10:11], s[6:7]
	s_cbranch_execz .LBB126_416
; %bb.407:
	s_andn2_b64 vcc, exec, s[8:9]
	s_cbranch_vccnz .LBB126_409
; %bb.408:
	buffer_load_dword v128, v131, s[0:3], 0 offen
	buffer_load_dword v129, v131, s[0:3], 0 offen offset:4
	ds_read_b64 v[154:155], v130
	s_waitcnt vmcnt(0) lgkmcnt(0)
	v_mul_f64 v[128:129], v[128:129], v[154:155]
	s_cbranch_execz .LBB126_410
	s_branch .LBB126_411
.LBB126_409:
                                        ; implicit-def: $vgpr128_vgpr129
.LBB126_410:
	ds_read_b64 v[128:129], v130
.LBB126_411:
	s_and_saveexec_b64 s[12:13], s[4:5]
	s_cbranch_execz .LBB126_415
; %bb.412:
	v_subrev_u32_e32 v153, 21, v0
	s_movk_i32 s14, 0x2a8
	s_mov_b64 s[4:5], 0
.LBB126_413:                            ; =>This Inner Loop Header: Depth=1
	buffer_load_dword v154, v152, s[0:3], 0 offen
	buffer_load_dword v155, v152, s[0:3], 0 offen offset:4
	v_mov_b32_e32 v156, s14
	ds_read_b64 v[156:157], v156
	v_add_u32_e32 v153, -1, v153
	s_add_i32 s14, s14, 8
	v_cmp_eq_u32_e32 vcc, 0, v153
	v_add_u32_e32 v152, 8, v152
	s_or_b64 s[4:5], vcc, s[4:5]
	s_waitcnt vmcnt(0) lgkmcnt(0)
	v_fmac_f64_e32 v[128:129], v[154:155], v[156:157]
	s_andn2_b64 exec, exec, s[4:5]
	s_cbranch_execnz .LBB126_413
; %bb.414:
	s_or_b64 exec, exec, s[4:5]
.LBB126_415:
	s_or_b64 exec, exec, s[12:13]
	v_mov_b32_e32 v152, 0
	ds_read_b64 v[152:153], v152 offset:160
	s_waitcnt lgkmcnt(0)
	v_mul_f64 v[128:129], v[128:129], v[152:153]
	buffer_store_dword v129, off, s[0:3], 0 offset:164
	buffer_store_dword v128, off, s[0:3], 0 offset:160
.LBB126_416:
	s_or_b64 exec, exec, s[10:11]
	buffer_load_dword v128, off, s[0:3], 0 offset:152
	buffer_load_dword v129, off, s[0:3], 0 offset:156
	v_cmp_lt_u32_e64 s[4:5], 19, v0
	s_waitcnt vmcnt(0)
	ds_write_b64 v130, v[128:129]
	s_waitcnt lgkmcnt(0)
	; wave barrier
	s_waitcnt lgkmcnt(0)
	s_and_saveexec_b64 s[10:11], s[4:5]
	s_cbranch_execz .LBB126_426
; %bb.417:
	s_andn2_b64 vcc, exec, s[8:9]
	s_cbranch_vccnz .LBB126_419
; %bb.418:
	buffer_load_dword v128, v131, s[0:3], 0 offen
	buffer_load_dword v129, v131, s[0:3], 0 offen offset:4
	ds_read_b64 v[152:153], v130
	s_waitcnt vmcnt(0) lgkmcnt(0)
	v_mul_f64 v[128:129], v[128:129], v[152:153]
	s_cbranch_execz .LBB126_420
	s_branch .LBB126_421
.LBB126_419:
                                        ; implicit-def: $vgpr128_vgpr129
.LBB126_420:
	ds_read_b64 v[128:129], v130
.LBB126_421:
	s_and_saveexec_b64 s[12:13], s[6:7]
	s_cbranch_execz .LBB126_425
; %bb.422:
	v_subrev_u32_e32 v152, 20, v0
	s_movk_i32 s14, 0x2a0
	s_mov_b64 s[6:7], 0
.LBB126_423:                            ; =>This Inner Loop Header: Depth=1
	buffer_load_dword v154, v151, s[0:3], 0 offen
	buffer_load_dword v155, v151, s[0:3], 0 offen offset:4
	v_mov_b32_e32 v153, s14
	ds_read_b64 v[156:157], v153
	v_add_u32_e32 v152, -1, v152
	s_add_i32 s14, s14, 8
	v_cmp_eq_u32_e32 vcc, 0, v152
	v_add_u32_e32 v151, 8, v151
	s_or_b64 s[6:7], vcc, s[6:7]
	s_waitcnt vmcnt(0) lgkmcnt(0)
	v_fmac_f64_e32 v[128:129], v[154:155], v[156:157]
	s_andn2_b64 exec, exec, s[6:7]
	s_cbranch_execnz .LBB126_423
; %bb.424:
	s_or_b64 exec, exec, s[6:7]
.LBB126_425:
	s_or_b64 exec, exec, s[12:13]
	v_mov_b32_e32 v151, 0
	ds_read_b64 v[152:153], v151 offset:152
	s_waitcnt lgkmcnt(0)
	v_mul_f64 v[128:129], v[128:129], v[152:153]
	buffer_store_dword v129, off, s[0:3], 0 offset:156
	buffer_store_dword v128, off, s[0:3], 0 offset:152
.LBB126_426:
	s_or_b64 exec, exec, s[10:11]
	buffer_load_dword v128, off, s[0:3], 0 offset:144
	buffer_load_dword v129, off, s[0:3], 0 offset:148
	v_cmp_lt_u32_e64 s[6:7], 18, v0
	s_waitcnt vmcnt(0)
	ds_write_b64 v130, v[128:129]
	s_waitcnt lgkmcnt(0)
	; wave barrier
	s_waitcnt lgkmcnt(0)
	s_and_saveexec_b64 s[10:11], s[6:7]
	s_cbranch_execz .LBB126_436
; %bb.427:
	s_andn2_b64 vcc, exec, s[8:9]
	s_cbranch_vccnz .LBB126_429
; %bb.428:
	buffer_load_dword v128, v131, s[0:3], 0 offen
	buffer_load_dword v129, v131, s[0:3], 0 offen offset:4
	ds_read_b64 v[152:153], v130
	s_waitcnt vmcnt(0) lgkmcnt(0)
	v_mul_f64 v[128:129], v[128:129], v[152:153]
	s_cbranch_execz .LBB126_430
	s_branch .LBB126_431
.LBB126_429:
                                        ; implicit-def: $vgpr128_vgpr129
.LBB126_430:
	ds_read_b64 v[128:129], v130
.LBB126_431:
	s_and_saveexec_b64 s[12:13], s[4:5]
	s_cbranch_execz .LBB126_435
; %bb.432:
	v_subrev_u32_e32 v151, 19, v0
	s_movk_i32 s14, 0x298
	s_mov_b64 s[4:5], 0
.LBB126_433:                            ; =>This Inner Loop Header: Depth=1
	buffer_load_dword v152, v150, s[0:3], 0 offen
	buffer_load_dword v153, v150, s[0:3], 0 offen offset:4
	v_mov_b32_e32 v154, s14
	ds_read_b64 v[154:155], v154
	v_add_u32_e32 v151, -1, v151
	s_add_i32 s14, s14, 8
	v_cmp_eq_u32_e32 vcc, 0, v151
	v_add_u32_e32 v150, 8, v150
	s_or_b64 s[4:5], vcc, s[4:5]
	s_waitcnt vmcnt(0) lgkmcnt(0)
	v_fmac_f64_e32 v[128:129], v[152:153], v[154:155]
	s_andn2_b64 exec, exec, s[4:5]
	s_cbranch_execnz .LBB126_433
; %bb.434:
	s_or_b64 exec, exec, s[4:5]
.LBB126_435:
	s_or_b64 exec, exec, s[12:13]
	v_mov_b32_e32 v150, 0
	ds_read_b64 v[150:151], v150 offset:144
	s_waitcnt lgkmcnt(0)
	v_mul_f64 v[128:129], v[128:129], v[150:151]
	buffer_store_dword v129, off, s[0:3], 0 offset:148
	buffer_store_dword v128, off, s[0:3], 0 offset:144
.LBB126_436:
	s_or_b64 exec, exec, s[10:11]
	buffer_load_dword v128, off, s[0:3], 0 offset:136
	buffer_load_dword v129, off, s[0:3], 0 offset:140
	v_cmp_lt_u32_e64 s[4:5], 17, v0
	s_waitcnt vmcnt(0)
	ds_write_b64 v130, v[128:129]
	s_waitcnt lgkmcnt(0)
	; wave barrier
	s_waitcnt lgkmcnt(0)
	s_and_saveexec_b64 s[10:11], s[4:5]
	s_cbranch_execz .LBB126_446
; %bb.437:
	s_andn2_b64 vcc, exec, s[8:9]
	s_cbranch_vccnz .LBB126_439
; %bb.438:
	buffer_load_dword v128, v131, s[0:3], 0 offen
	buffer_load_dword v129, v131, s[0:3], 0 offen offset:4
	ds_read_b64 v[150:151], v130
	s_waitcnt vmcnt(0) lgkmcnt(0)
	v_mul_f64 v[128:129], v[128:129], v[150:151]
	s_cbranch_execz .LBB126_440
	s_branch .LBB126_441
.LBB126_439:
                                        ; implicit-def: $vgpr128_vgpr129
.LBB126_440:
	ds_read_b64 v[128:129], v130
.LBB126_441:
	s_and_saveexec_b64 s[12:13], s[6:7]
	s_cbranch_execz .LBB126_445
; %bb.442:
	v_subrev_u32_e32 v150, 18, v0
	s_movk_i32 s14, 0x290
	s_mov_b64 s[6:7], 0
.LBB126_443:                            ; =>This Inner Loop Header: Depth=1
	buffer_load_dword v152, v149, s[0:3], 0 offen
	buffer_load_dword v153, v149, s[0:3], 0 offen offset:4
	v_mov_b32_e32 v151, s14
	ds_read_b64 v[154:155], v151
	v_add_u32_e32 v150, -1, v150
	s_add_i32 s14, s14, 8
	v_cmp_eq_u32_e32 vcc, 0, v150
	v_add_u32_e32 v149, 8, v149
	s_or_b64 s[6:7], vcc, s[6:7]
	s_waitcnt vmcnt(0) lgkmcnt(0)
	v_fmac_f64_e32 v[128:129], v[152:153], v[154:155]
	s_andn2_b64 exec, exec, s[6:7]
	s_cbranch_execnz .LBB126_443
; %bb.444:
	s_or_b64 exec, exec, s[6:7]
.LBB126_445:
	s_or_b64 exec, exec, s[12:13]
	v_mov_b32_e32 v149, 0
	ds_read_b64 v[150:151], v149 offset:136
	s_waitcnt lgkmcnt(0)
	v_mul_f64 v[128:129], v[128:129], v[150:151]
	buffer_store_dword v129, off, s[0:3], 0 offset:140
	buffer_store_dword v128, off, s[0:3], 0 offset:136
.LBB126_446:
	s_or_b64 exec, exec, s[10:11]
	buffer_load_dword v128, off, s[0:3], 0 offset:128
	buffer_load_dword v129, off, s[0:3], 0 offset:132
	v_cmp_lt_u32_e64 s[6:7], 16, v0
	s_waitcnt vmcnt(0)
	ds_write_b64 v130, v[128:129]
	s_waitcnt lgkmcnt(0)
	; wave barrier
	s_waitcnt lgkmcnt(0)
	s_and_saveexec_b64 s[10:11], s[6:7]
	s_cbranch_execz .LBB126_456
; %bb.447:
	s_andn2_b64 vcc, exec, s[8:9]
	s_cbranch_vccnz .LBB126_449
; %bb.448:
	buffer_load_dword v128, v131, s[0:3], 0 offen
	buffer_load_dword v129, v131, s[0:3], 0 offen offset:4
	ds_read_b64 v[150:151], v130
	s_waitcnt vmcnt(0) lgkmcnt(0)
	v_mul_f64 v[128:129], v[128:129], v[150:151]
	s_cbranch_execz .LBB126_450
	s_branch .LBB126_451
.LBB126_449:
                                        ; implicit-def: $vgpr128_vgpr129
.LBB126_450:
	ds_read_b64 v[128:129], v130
.LBB126_451:
	s_and_saveexec_b64 s[12:13], s[4:5]
	s_cbranch_execz .LBB126_455
; %bb.452:
	v_subrev_u32_e32 v149, 17, v0
	s_movk_i32 s14, 0x288
	s_mov_b64 s[4:5], 0
.LBB126_453:                            ; =>This Inner Loop Header: Depth=1
	buffer_load_dword v150, v148, s[0:3], 0 offen
	buffer_load_dword v151, v148, s[0:3], 0 offen offset:4
	v_mov_b32_e32 v152, s14
	ds_read_b64 v[152:153], v152
	v_add_u32_e32 v149, -1, v149
	s_add_i32 s14, s14, 8
	v_cmp_eq_u32_e32 vcc, 0, v149
	v_add_u32_e32 v148, 8, v148
	s_or_b64 s[4:5], vcc, s[4:5]
	s_waitcnt vmcnt(0) lgkmcnt(0)
	v_fmac_f64_e32 v[128:129], v[150:151], v[152:153]
	s_andn2_b64 exec, exec, s[4:5]
	s_cbranch_execnz .LBB126_453
; %bb.454:
	s_or_b64 exec, exec, s[4:5]
.LBB126_455:
	s_or_b64 exec, exec, s[12:13]
	v_mov_b32_e32 v148, 0
	ds_read_b64 v[148:149], v148 offset:128
	s_waitcnt lgkmcnt(0)
	v_mul_f64 v[128:129], v[128:129], v[148:149]
	buffer_store_dword v129, off, s[0:3], 0 offset:132
	buffer_store_dword v128, off, s[0:3], 0 offset:128
.LBB126_456:
	s_or_b64 exec, exec, s[10:11]
	buffer_load_dword v128, off, s[0:3], 0 offset:120
	buffer_load_dword v129, off, s[0:3], 0 offset:124
	v_cmp_lt_u32_e64 s[4:5], 15, v0
	s_waitcnt vmcnt(0)
	ds_write_b64 v130, v[128:129]
	s_waitcnt lgkmcnt(0)
	; wave barrier
	s_waitcnt lgkmcnt(0)
	s_and_saveexec_b64 s[10:11], s[4:5]
	s_cbranch_execz .LBB126_466
; %bb.457:
	s_andn2_b64 vcc, exec, s[8:9]
	s_cbranch_vccnz .LBB126_459
; %bb.458:
	buffer_load_dword v128, v131, s[0:3], 0 offen
	buffer_load_dword v129, v131, s[0:3], 0 offen offset:4
	ds_read_b64 v[148:149], v130
	s_waitcnt vmcnt(0) lgkmcnt(0)
	v_mul_f64 v[128:129], v[128:129], v[148:149]
	s_cbranch_execz .LBB126_460
	s_branch .LBB126_461
.LBB126_459:
                                        ; implicit-def: $vgpr128_vgpr129
.LBB126_460:
	ds_read_b64 v[128:129], v130
.LBB126_461:
	s_and_saveexec_b64 s[12:13], s[6:7]
	s_cbranch_execz .LBB126_465
; %bb.462:
	v_add_u32_e32 v148, -16, v0
	s_movk_i32 s14, 0x280
	s_mov_b64 s[6:7], 0
.LBB126_463:                            ; =>This Inner Loop Header: Depth=1
	buffer_load_dword v150, v147, s[0:3], 0 offen
	buffer_load_dword v151, v147, s[0:3], 0 offen offset:4
	v_mov_b32_e32 v149, s14
	ds_read_b64 v[152:153], v149
	v_add_u32_e32 v148, -1, v148
	s_add_i32 s14, s14, 8
	v_cmp_eq_u32_e32 vcc, 0, v148
	v_add_u32_e32 v147, 8, v147
	s_or_b64 s[6:7], vcc, s[6:7]
	s_waitcnt vmcnt(0) lgkmcnt(0)
	v_fmac_f64_e32 v[128:129], v[150:151], v[152:153]
	s_andn2_b64 exec, exec, s[6:7]
	s_cbranch_execnz .LBB126_463
; %bb.464:
	s_or_b64 exec, exec, s[6:7]
.LBB126_465:
	s_or_b64 exec, exec, s[12:13]
	v_mov_b32_e32 v147, 0
	ds_read_b64 v[148:149], v147 offset:120
	s_waitcnt lgkmcnt(0)
	v_mul_f64 v[128:129], v[128:129], v[148:149]
	buffer_store_dword v129, off, s[0:3], 0 offset:124
	buffer_store_dword v128, off, s[0:3], 0 offset:120
.LBB126_466:
	s_or_b64 exec, exec, s[10:11]
	buffer_load_dword v128, off, s[0:3], 0 offset:112
	buffer_load_dword v129, off, s[0:3], 0 offset:116
	v_cmp_lt_u32_e64 s[6:7], 14, v0
	s_waitcnt vmcnt(0)
	ds_write_b64 v130, v[128:129]
	s_waitcnt lgkmcnt(0)
	; wave barrier
	s_waitcnt lgkmcnt(0)
	s_and_saveexec_b64 s[10:11], s[6:7]
	s_cbranch_execz .LBB126_476
; %bb.467:
	s_andn2_b64 vcc, exec, s[8:9]
	s_cbranch_vccnz .LBB126_469
; %bb.468:
	buffer_load_dword v128, v131, s[0:3], 0 offen
	buffer_load_dword v129, v131, s[0:3], 0 offen offset:4
	ds_read_b64 v[148:149], v130
	s_waitcnt vmcnt(0) lgkmcnt(0)
	v_mul_f64 v[128:129], v[128:129], v[148:149]
	s_cbranch_execz .LBB126_470
	s_branch .LBB126_471
.LBB126_469:
                                        ; implicit-def: $vgpr128_vgpr129
.LBB126_470:
	ds_read_b64 v[128:129], v130
.LBB126_471:
	s_and_saveexec_b64 s[12:13], s[4:5]
	s_cbranch_execz .LBB126_475
; %bb.472:
	v_add_u32_e32 v147, -15, v0
	s_movk_i32 s14, 0x278
	s_mov_b64 s[4:5], 0
.LBB126_473:                            ; =>This Inner Loop Header: Depth=1
	buffer_load_dword v148, v146, s[0:3], 0 offen
	buffer_load_dword v149, v146, s[0:3], 0 offen offset:4
	v_mov_b32_e32 v150, s14
	ds_read_b64 v[150:151], v150
	v_add_u32_e32 v147, -1, v147
	s_add_i32 s14, s14, 8
	v_cmp_eq_u32_e32 vcc, 0, v147
	v_add_u32_e32 v146, 8, v146
	s_or_b64 s[4:5], vcc, s[4:5]
	s_waitcnt vmcnt(0) lgkmcnt(0)
	v_fmac_f64_e32 v[128:129], v[148:149], v[150:151]
	s_andn2_b64 exec, exec, s[4:5]
	s_cbranch_execnz .LBB126_473
; %bb.474:
	s_or_b64 exec, exec, s[4:5]
.LBB126_475:
	s_or_b64 exec, exec, s[12:13]
	v_mov_b32_e32 v146, 0
	ds_read_b64 v[146:147], v146 offset:112
	s_waitcnt lgkmcnt(0)
	v_mul_f64 v[128:129], v[128:129], v[146:147]
	buffer_store_dword v129, off, s[0:3], 0 offset:116
	buffer_store_dword v128, off, s[0:3], 0 offset:112
.LBB126_476:
	s_or_b64 exec, exec, s[10:11]
	buffer_load_dword v128, off, s[0:3], 0 offset:104
	buffer_load_dword v129, off, s[0:3], 0 offset:108
	v_cmp_lt_u32_e64 s[4:5], 13, v0
	s_waitcnt vmcnt(0)
	ds_write_b64 v130, v[128:129]
	s_waitcnt lgkmcnt(0)
	; wave barrier
	s_waitcnt lgkmcnt(0)
	s_and_saveexec_b64 s[10:11], s[4:5]
	s_cbranch_execz .LBB126_486
; %bb.477:
	s_andn2_b64 vcc, exec, s[8:9]
	s_cbranch_vccnz .LBB126_479
; %bb.478:
	buffer_load_dword v128, v131, s[0:3], 0 offen
	buffer_load_dword v129, v131, s[0:3], 0 offen offset:4
	ds_read_b64 v[146:147], v130
	s_waitcnt vmcnt(0) lgkmcnt(0)
	v_mul_f64 v[128:129], v[128:129], v[146:147]
	s_cbranch_execz .LBB126_480
	s_branch .LBB126_481
.LBB126_479:
                                        ; implicit-def: $vgpr128_vgpr129
.LBB126_480:
	ds_read_b64 v[128:129], v130
.LBB126_481:
	s_and_saveexec_b64 s[12:13], s[6:7]
	s_cbranch_execz .LBB126_485
; %bb.482:
	v_add_u32_e32 v146, -14, v0
	s_movk_i32 s14, 0x270
	s_mov_b64 s[6:7], 0
.LBB126_483:                            ; =>This Inner Loop Header: Depth=1
	buffer_load_dword v148, v145, s[0:3], 0 offen
	buffer_load_dword v149, v145, s[0:3], 0 offen offset:4
	v_mov_b32_e32 v147, s14
	ds_read_b64 v[150:151], v147
	v_add_u32_e32 v146, -1, v146
	s_add_i32 s14, s14, 8
	v_cmp_eq_u32_e32 vcc, 0, v146
	v_add_u32_e32 v145, 8, v145
	s_or_b64 s[6:7], vcc, s[6:7]
	s_waitcnt vmcnt(0) lgkmcnt(0)
	v_fmac_f64_e32 v[128:129], v[148:149], v[150:151]
	s_andn2_b64 exec, exec, s[6:7]
	s_cbranch_execnz .LBB126_483
; %bb.484:
	s_or_b64 exec, exec, s[6:7]
.LBB126_485:
	s_or_b64 exec, exec, s[12:13]
	v_mov_b32_e32 v145, 0
	ds_read_b64 v[146:147], v145 offset:104
	s_waitcnt lgkmcnt(0)
	v_mul_f64 v[128:129], v[128:129], v[146:147]
	buffer_store_dword v129, off, s[0:3], 0 offset:108
	buffer_store_dword v128, off, s[0:3], 0 offset:104
.LBB126_486:
	s_or_b64 exec, exec, s[10:11]
	buffer_load_dword v128, off, s[0:3], 0 offset:96
	buffer_load_dword v129, off, s[0:3], 0 offset:100
	v_cmp_lt_u32_e64 s[6:7], 12, v0
	s_waitcnt vmcnt(0)
	ds_write_b64 v130, v[128:129]
	s_waitcnt lgkmcnt(0)
	; wave barrier
	s_waitcnt lgkmcnt(0)
	s_and_saveexec_b64 s[10:11], s[6:7]
	s_cbranch_execz .LBB126_496
; %bb.487:
	s_andn2_b64 vcc, exec, s[8:9]
	s_cbranch_vccnz .LBB126_489
; %bb.488:
	buffer_load_dword v128, v131, s[0:3], 0 offen
	buffer_load_dword v129, v131, s[0:3], 0 offen offset:4
	ds_read_b64 v[146:147], v130
	s_waitcnt vmcnt(0) lgkmcnt(0)
	v_mul_f64 v[128:129], v[128:129], v[146:147]
	s_cbranch_execz .LBB126_490
	s_branch .LBB126_491
.LBB126_489:
                                        ; implicit-def: $vgpr128_vgpr129
.LBB126_490:
	ds_read_b64 v[128:129], v130
.LBB126_491:
	s_and_saveexec_b64 s[12:13], s[4:5]
	s_cbranch_execz .LBB126_495
; %bb.492:
	v_add_u32_e32 v145, -13, v0
	s_movk_i32 s14, 0x268
	s_mov_b64 s[4:5], 0
.LBB126_493:                            ; =>This Inner Loop Header: Depth=1
	buffer_load_dword v146, v144, s[0:3], 0 offen
	buffer_load_dword v147, v144, s[0:3], 0 offen offset:4
	v_mov_b32_e32 v148, s14
	ds_read_b64 v[148:149], v148
	v_add_u32_e32 v145, -1, v145
	s_add_i32 s14, s14, 8
	v_cmp_eq_u32_e32 vcc, 0, v145
	v_add_u32_e32 v144, 8, v144
	s_or_b64 s[4:5], vcc, s[4:5]
	s_waitcnt vmcnt(0) lgkmcnt(0)
	v_fmac_f64_e32 v[128:129], v[146:147], v[148:149]
	s_andn2_b64 exec, exec, s[4:5]
	s_cbranch_execnz .LBB126_493
; %bb.494:
	s_or_b64 exec, exec, s[4:5]
.LBB126_495:
	s_or_b64 exec, exec, s[12:13]
	v_mov_b32_e32 v144, 0
	ds_read_b64 v[144:145], v144 offset:96
	s_waitcnt lgkmcnt(0)
	v_mul_f64 v[128:129], v[128:129], v[144:145]
	buffer_store_dword v129, off, s[0:3], 0 offset:100
	buffer_store_dword v128, off, s[0:3], 0 offset:96
.LBB126_496:
	s_or_b64 exec, exec, s[10:11]
	buffer_load_dword v128, off, s[0:3], 0 offset:88
	buffer_load_dword v129, off, s[0:3], 0 offset:92
	v_cmp_lt_u32_e64 s[4:5], 11, v0
	s_waitcnt vmcnt(0)
	ds_write_b64 v130, v[128:129]
	s_waitcnt lgkmcnt(0)
	; wave barrier
	s_waitcnt lgkmcnt(0)
	s_and_saveexec_b64 s[10:11], s[4:5]
	s_cbranch_execz .LBB126_506
; %bb.497:
	s_andn2_b64 vcc, exec, s[8:9]
	s_cbranch_vccnz .LBB126_499
; %bb.498:
	buffer_load_dword v128, v131, s[0:3], 0 offen
	buffer_load_dword v129, v131, s[0:3], 0 offen offset:4
	ds_read_b64 v[144:145], v130
	s_waitcnt vmcnt(0) lgkmcnt(0)
	v_mul_f64 v[128:129], v[128:129], v[144:145]
	s_cbranch_execz .LBB126_500
	s_branch .LBB126_501
.LBB126_499:
                                        ; implicit-def: $vgpr128_vgpr129
.LBB126_500:
	ds_read_b64 v[128:129], v130
.LBB126_501:
	s_and_saveexec_b64 s[12:13], s[6:7]
	s_cbranch_execz .LBB126_505
; %bb.502:
	v_add_u32_e32 v144, -12, v0
	s_movk_i32 s14, 0x260
	s_mov_b64 s[6:7], 0
.LBB126_503:                            ; =>This Inner Loop Header: Depth=1
	buffer_load_dword v146, v143, s[0:3], 0 offen
	buffer_load_dword v147, v143, s[0:3], 0 offen offset:4
	v_mov_b32_e32 v145, s14
	ds_read_b64 v[148:149], v145
	v_add_u32_e32 v144, -1, v144
	s_add_i32 s14, s14, 8
	v_cmp_eq_u32_e32 vcc, 0, v144
	v_add_u32_e32 v143, 8, v143
	s_or_b64 s[6:7], vcc, s[6:7]
	s_waitcnt vmcnt(0) lgkmcnt(0)
	v_fmac_f64_e32 v[128:129], v[146:147], v[148:149]
	s_andn2_b64 exec, exec, s[6:7]
	s_cbranch_execnz .LBB126_503
; %bb.504:
	s_or_b64 exec, exec, s[6:7]
.LBB126_505:
	s_or_b64 exec, exec, s[12:13]
	v_mov_b32_e32 v143, 0
	ds_read_b64 v[144:145], v143 offset:88
	s_waitcnt lgkmcnt(0)
	v_mul_f64 v[128:129], v[128:129], v[144:145]
	buffer_store_dword v129, off, s[0:3], 0 offset:92
	buffer_store_dword v128, off, s[0:3], 0 offset:88
.LBB126_506:
	s_or_b64 exec, exec, s[10:11]
	buffer_load_dword v128, off, s[0:3], 0 offset:80
	buffer_load_dword v129, off, s[0:3], 0 offset:84
	v_cmp_lt_u32_e64 s[6:7], 10, v0
	s_waitcnt vmcnt(0)
	ds_write_b64 v130, v[128:129]
	s_waitcnt lgkmcnt(0)
	; wave barrier
	s_waitcnt lgkmcnt(0)
	s_and_saveexec_b64 s[10:11], s[6:7]
	s_cbranch_execz .LBB126_516
; %bb.507:
	s_andn2_b64 vcc, exec, s[8:9]
	s_cbranch_vccnz .LBB126_509
; %bb.508:
	buffer_load_dword v128, v131, s[0:3], 0 offen
	buffer_load_dword v129, v131, s[0:3], 0 offen offset:4
	ds_read_b64 v[144:145], v130
	s_waitcnt vmcnt(0) lgkmcnt(0)
	v_mul_f64 v[128:129], v[128:129], v[144:145]
	s_cbranch_execz .LBB126_510
	s_branch .LBB126_511
.LBB126_509:
                                        ; implicit-def: $vgpr128_vgpr129
.LBB126_510:
	ds_read_b64 v[128:129], v130
.LBB126_511:
	s_and_saveexec_b64 s[12:13], s[4:5]
	s_cbranch_execz .LBB126_515
; %bb.512:
	v_add_u32_e32 v143, -11, v0
	s_movk_i32 s14, 0x258
	s_mov_b64 s[4:5], 0
.LBB126_513:                            ; =>This Inner Loop Header: Depth=1
	buffer_load_dword v144, v142, s[0:3], 0 offen
	buffer_load_dword v145, v142, s[0:3], 0 offen offset:4
	v_mov_b32_e32 v146, s14
	ds_read_b64 v[146:147], v146
	v_add_u32_e32 v143, -1, v143
	s_add_i32 s14, s14, 8
	v_cmp_eq_u32_e32 vcc, 0, v143
	v_add_u32_e32 v142, 8, v142
	s_or_b64 s[4:5], vcc, s[4:5]
	s_waitcnt vmcnt(0) lgkmcnt(0)
	v_fmac_f64_e32 v[128:129], v[144:145], v[146:147]
	s_andn2_b64 exec, exec, s[4:5]
	s_cbranch_execnz .LBB126_513
; %bb.514:
	s_or_b64 exec, exec, s[4:5]
.LBB126_515:
	s_or_b64 exec, exec, s[12:13]
	v_mov_b32_e32 v142, 0
	ds_read_b64 v[142:143], v142 offset:80
	s_waitcnt lgkmcnt(0)
	v_mul_f64 v[128:129], v[128:129], v[142:143]
	buffer_store_dword v129, off, s[0:3], 0 offset:84
	buffer_store_dword v128, off, s[0:3], 0 offset:80
.LBB126_516:
	s_or_b64 exec, exec, s[10:11]
	buffer_load_dword v128, off, s[0:3], 0 offset:72
	buffer_load_dword v129, off, s[0:3], 0 offset:76
	v_cmp_lt_u32_e64 s[4:5], 9, v0
	s_waitcnt vmcnt(0)
	ds_write_b64 v130, v[128:129]
	s_waitcnt lgkmcnt(0)
	; wave barrier
	s_waitcnt lgkmcnt(0)
	s_and_saveexec_b64 s[10:11], s[4:5]
	s_cbranch_execz .LBB126_526
; %bb.517:
	s_andn2_b64 vcc, exec, s[8:9]
	s_cbranch_vccnz .LBB126_519
; %bb.518:
	buffer_load_dword v128, v131, s[0:3], 0 offen
	buffer_load_dword v129, v131, s[0:3], 0 offen offset:4
	ds_read_b64 v[142:143], v130
	s_waitcnt vmcnt(0) lgkmcnt(0)
	v_mul_f64 v[128:129], v[128:129], v[142:143]
	s_cbranch_execz .LBB126_520
	s_branch .LBB126_521
.LBB126_519:
                                        ; implicit-def: $vgpr128_vgpr129
.LBB126_520:
	ds_read_b64 v[128:129], v130
.LBB126_521:
	s_and_saveexec_b64 s[12:13], s[6:7]
	s_cbranch_execz .LBB126_525
; %bb.522:
	v_add_u32_e32 v142, -10, v0
	s_movk_i32 s14, 0x250
	s_mov_b64 s[6:7], 0
.LBB126_523:                            ; =>This Inner Loop Header: Depth=1
	buffer_load_dword v144, v141, s[0:3], 0 offen
	buffer_load_dword v145, v141, s[0:3], 0 offen offset:4
	v_mov_b32_e32 v143, s14
	ds_read_b64 v[146:147], v143
	v_add_u32_e32 v142, -1, v142
	s_add_i32 s14, s14, 8
	v_cmp_eq_u32_e32 vcc, 0, v142
	v_add_u32_e32 v141, 8, v141
	s_or_b64 s[6:7], vcc, s[6:7]
	s_waitcnt vmcnt(0) lgkmcnt(0)
	v_fmac_f64_e32 v[128:129], v[144:145], v[146:147]
	s_andn2_b64 exec, exec, s[6:7]
	s_cbranch_execnz .LBB126_523
; %bb.524:
	s_or_b64 exec, exec, s[6:7]
.LBB126_525:
	s_or_b64 exec, exec, s[12:13]
	v_mov_b32_e32 v141, 0
	ds_read_b64 v[142:143], v141 offset:72
	s_waitcnt lgkmcnt(0)
	v_mul_f64 v[128:129], v[128:129], v[142:143]
	buffer_store_dword v129, off, s[0:3], 0 offset:76
	buffer_store_dword v128, off, s[0:3], 0 offset:72
.LBB126_526:
	s_or_b64 exec, exec, s[10:11]
	buffer_load_dword v128, off, s[0:3], 0 offset:64
	buffer_load_dword v129, off, s[0:3], 0 offset:68
	v_cmp_lt_u32_e64 s[6:7], 8, v0
	s_waitcnt vmcnt(0)
	ds_write_b64 v130, v[128:129]
	s_waitcnt lgkmcnt(0)
	; wave barrier
	s_waitcnt lgkmcnt(0)
	s_and_saveexec_b64 s[10:11], s[6:7]
	s_cbranch_execz .LBB126_536
; %bb.527:
	s_andn2_b64 vcc, exec, s[8:9]
	s_cbranch_vccnz .LBB126_529
; %bb.528:
	buffer_load_dword v128, v131, s[0:3], 0 offen
	buffer_load_dword v129, v131, s[0:3], 0 offen offset:4
	ds_read_b64 v[142:143], v130
	s_waitcnt vmcnt(0) lgkmcnt(0)
	v_mul_f64 v[128:129], v[128:129], v[142:143]
	s_cbranch_execz .LBB126_530
	s_branch .LBB126_531
.LBB126_529:
                                        ; implicit-def: $vgpr128_vgpr129
.LBB126_530:
	ds_read_b64 v[128:129], v130
.LBB126_531:
	s_and_saveexec_b64 s[12:13], s[4:5]
	s_cbranch_execz .LBB126_535
; %bb.532:
	v_add_u32_e32 v141, -9, v0
	s_movk_i32 s14, 0x248
	s_mov_b64 s[4:5], 0
.LBB126_533:                            ; =>This Inner Loop Header: Depth=1
	buffer_load_dword v142, v140, s[0:3], 0 offen
	buffer_load_dword v143, v140, s[0:3], 0 offen offset:4
	v_mov_b32_e32 v144, s14
	ds_read_b64 v[144:145], v144
	v_add_u32_e32 v141, -1, v141
	s_add_i32 s14, s14, 8
	v_cmp_eq_u32_e32 vcc, 0, v141
	v_add_u32_e32 v140, 8, v140
	s_or_b64 s[4:5], vcc, s[4:5]
	s_waitcnt vmcnt(0) lgkmcnt(0)
	v_fmac_f64_e32 v[128:129], v[142:143], v[144:145]
	s_andn2_b64 exec, exec, s[4:5]
	s_cbranch_execnz .LBB126_533
; %bb.534:
	s_or_b64 exec, exec, s[4:5]
.LBB126_535:
	s_or_b64 exec, exec, s[12:13]
	v_mov_b32_e32 v140, 0
	ds_read_b64 v[140:141], v140 offset:64
	s_waitcnt lgkmcnt(0)
	v_mul_f64 v[128:129], v[128:129], v[140:141]
	buffer_store_dword v129, off, s[0:3], 0 offset:68
	buffer_store_dword v128, off, s[0:3], 0 offset:64
.LBB126_536:
	s_or_b64 exec, exec, s[10:11]
	buffer_load_dword v128, off, s[0:3], 0 offset:56
	buffer_load_dword v129, off, s[0:3], 0 offset:60
	v_cmp_lt_u32_e64 s[4:5], 7, v0
	s_waitcnt vmcnt(0)
	ds_write_b64 v130, v[128:129]
	s_waitcnt lgkmcnt(0)
	; wave barrier
	s_waitcnt lgkmcnt(0)
	s_and_saveexec_b64 s[10:11], s[4:5]
	s_cbranch_execz .LBB126_546
; %bb.537:
	s_andn2_b64 vcc, exec, s[8:9]
	s_cbranch_vccnz .LBB126_539
; %bb.538:
	buffer_load_dword v128, v131, s[0:3], 0 offen
	buffer_load_dword v129, v131, s[0:3], 0 offen offset:4
	ds_read_b64 v[140:141], v130
	s_waitcnt vmcnt(0) lgkmcnt(0)
	v_mul_f64 v[128:129], v[128:129], v[140:141]
	s_cbranch_execz .LBB126_540
	s_branch .LBB126_541
.LBB126_539:
                                        ; implicit-def: $vgpr128_vgpr129
.LBB126_540:
	ds_read_b64 v[128:129], v130
.LBB126_541:
	s_and_saveexec_b64 s[12:13], s[6:7]
	s_cbranch_execz .LBB126_545
; %bb.542:
	v_add_u32_e32 v140, -8, v0
	s_movk_i32 s14, 0x240
	s_mov_b64 s[6:7], 0
.LBB126_543:                            ; =>This Inner Loop Header: Depth=1
	buffer_load_dword v142, v139, s[0:3], 0 offen
	buffer_load_dword v143, v139, s[0:3], 0 offen offset:4
	v_mov_b32_e32 v141, s14
	ds_read_b64 v[144:145], v141
	v_add_u32_e32 v140, -1, v140
	s_add_i32 s14, s14, 8
	v_cmp_eq_u32_e32 vcc, 0, v140
	v_add_u32_e32 v139, 8, v139
	s_or_b64 s[6:7], vcc, s[6:7]
	s_waitcnt vmcnt(0) lgkmcnt(0)
	v_fmac_f64_e32 v[128:129], v[142:143], v[144:145]
	s_andn2_b64 exec, exec, s[6:7]
	s_cbranch_execnz .LBB126_543
; %bb.544:
	s_or_b64 exec, exec, s[6:7]
.LBB126_545:
	s_or_b64 exec, exec, s[12:13]
	v_mov_b32_e32 v139, 0
	ds_read_b64 v[140:141], v139 offset:56
	s_waitcnt lgkmcnt(0)
	v_mul_f64 v[128:129], v[128:129], v[140:141]
	buffer_store_dword v129, off, s[0:3], 0 offset:60
	buffer_store_dword v128, off, s[0:3], 0 offset:56
.LBB126_546:
	s_or_b64 exec, exec, s[10:11]
	buffer_load_dword v128, off, s[0:3], 0 offset:48
	buffer_load_dword v129, off, s[0:3], 0 offset:52
	v_cmp_lt_u32_e64 s[6:7], 6, v0
	s_waitcnt vmcnt(0)
	ds_write_b64 v130, v[128:129]
	s_waitcnt lgkmcnt(0)
	; wave barrier
	s_waitcnt lgkmcnt(0)
	s_and_saveexec_b64 s[10:11], s[6:7]
	s_cbranch_execz .LBB126_556
; %bb.547:
	s_andn2_b64 vcc, exec, s[8:9]
	s_cbranch_vccnz .LBB126_549
; %bb.548:
	buffer_load_dword v128, v131, s[0:3], 0 offen
	buffer_load_dword v129, v131, s[0:3], 0 offen offset:4
	ds_read_b64 v[140:141], v130
	s_waitcnt vmcnt(0) lgkmcnt(0)
	v_mul_f64 v[128:129], v[128:129], v[140:141]
	s_cbranch_execz .LBB126_550
	s_branch .LBB126_551
.LBB126_549:
                                        ; implicit-def: $vgpr128_vgpr129
.LBB126_550:
	ds_read_b64 v[128:129], v130
.LBB126_551:
	s_and_saveexec_b64 s[12:13], s[4:5]
	s_cbranch_execz .LBB126_555
; %bb.552:
	v_add_u32_e32 v139, -7, v0
	s_movk_i32 s14, 0x238
	s_mov_b64 s[4:5], 0
.LBB126_553:                            ; =>This Inner Loop Header: Depth=1
	buffer_load_dword v140, v138, s[0:3], 0 offen
	buffer_load_dword v141, v138, s[0:3], 0 offen offset:4
	v_mov_b32_e32 v142, s14
	ds_read_b64 v[142:143], v142
	v_add_u32_e32 v139, -1, v139
	s_add_i32 s14, s14, 8
	v_cmp_eq_u32_e32 vcc, 0, v139
	v_add_u32_e32 v138, 8, v138
	s_or_b64 s[4:5], vcc, s[4:5]
	s_waitcnt vmcnt(0) lgkmcnt(0)
	v_fmac_f64_e32 v[128:129], v[140:141], v[142:143]
	s_andn2_b64 exec, exec, s[4:5]
	s_cbranch_execnz .LBB126_553
; %bb.554:
	s_or_b64 exec, exec, s[4:5]
.LBB126_555:
	s_or_b64 exec, exec, s[12:13]
	v_mov_b32_e32 v138, 0
	ds_read_b64 v[138:139], v138 offset:48
	s_waitcnt lgkmcnt(0)
	v_mul_f64 v[128:129], v[128:129], v[138:139]
	buffer_store_dword v129, off, s[0:3], 0 offset:52
	buffer_store_dword v128, off, s[0:3], 0 offset:48
.LBB126_556:
	s_or_b64 exec, exec, s[10:11]
	buffer_load_dword v128, off, s[0:3], 0 offset:40
	buffer_load_dword v129, off, s[0:3], 0 offset:44
	v_cmp_lt_u32_e64 s[4:5], 5, v0
	s_waitcnt vmcnt(0)
	ds_write_b64 v130, v[128:129]
	s_waitcnt lgkmcnt(0)
	; wave barrier
	s_waitcnt lgkmcnt(0)
	s_and_saveexec_b64 s[10:11], s[4:5]
	s_cbranch_execz .LBB126_566
; %bb.557:
	s_andn2_b64 vcc, exec, s[8:9]
	s_cbranch_vccnz .LBB126_559
; %bb.558:
	buffer_load_dword v128, v131, s[0:3], 0 offen
	buffer_load_dword v129, v131, s[0:3], 0 offen offset:4
	ds_read_b64 v[138:139], v130
	s_waitcnt vmcnt(0) lgkmcnt(0)
	v_mul_f64 v[128:129], v[128:129], v[138:139]
	s_cbranch_execz .LBB126_560
	s_branch .LBB126_561
.LBB126_559:
                                        ; implicit-def: $vgpr128_vgpr129
.LBB126_560:
	ds_read_b64 v[128:129], v130
.LBB126_561:
	s_and_saveexec_b64 s[12:13], s[6:7]
	s_cbranch_execz .LBB126_565
; %bb.562:
	v_add_u32_e32 v138, -6, v0
	s_movk_i32 s14, 0x230
	s_mov_b64 s[6:7], 0
.LBB126_563:                            ; =>This Inner Loop Header: Depth=1
	buffer_load_dword v140, v137, s[0:3], 0 offen
	buffer_load_dword v141, v137, s[0:3], 0 offen offset:4
	v_mov_b32_e32 v139, s14
	ds_read_b64 v[142:143], v139
	v_add_u32_e32 v138, -1, v138
	s_add_i32 s14, s14, 8
	v_cmp_eq_u32_e32 vcc, 0, v138
	v_add_u32_e32 v137, 8, v137
	s_or_b64 s[6:7], vcc, s[6:7]
	s_waitcnt vmcnt(0) lgkmcnt(0)
	v_fmac_f64_e32 v[128:129], v[140:141], v[142:143]
	s_andn2_b64 exec, exec, s[6:7]
	s_cbranch_execnz .LBB126_563
; %bb.564:
	s_or_b64 exec, exec, s[6:7]
.LBB126_565:
	s_or_b64 exec, exec, s[12:13]
	v_mov_b32_e32 v137, 0
	ds_read_b64 v[138:139], v137 offset:40
	s_waitcnt lgkmcnt(0)
	v_mul_f64 v[128:129], v[128:129], v[138:139]
	buffer_store_dword v129, off, s[0:3], 0 offset:44
	buffer_store_dword v128, off, s[0:3], 0 offset:40
.LBB126_566:
	s_or_b64 exec, exec, s[10:11]
	buffer_load_dword v128, off, s[0:3], 0 offset:32
	buffer_load_dword v129, off, s[0:3], 0 offset:36
	v_cmp_lt_u32_e64 s[6:7], 4, v0
	s_waitcnt vmcnt(0)
	ds_write_b64 v130, v[128:129]
	s_waitcnt lgkmcnt(0)
	; wave barrier
	s_waitcnt lgkmcnt(0)
	s_and_saveexec_b64 s[10:11], s[6:7]
	s_cbranch_execz .LBB126_576
; %bb.567:
	s_andn2_b64 vcc, exec, s[8:9]
	s_cbranch_vccnz .LBB126_569
; %bb.568:
	buffer_load_dword v128, v131, s[0:3], 0 offen
	buffer_load_dword v129, v131, s[0:3], 0 offen offset:4
	ds_read_b64 v[138:139], v130
	s_waitcnt vmcnt(0) lgkmcnt(0)
	v_mul_f64 v[128:129], v[128:129], v[138:139]
	s_cbranch_execz .LBB126_570
	s_branch .LBB126_571
.LBB126_569:
                                        ; implicit-def: $vgpr128_vgpr129
.LBB126_570:
	ds_read_b64 v[128:129], v130
.LBB126_571:
	s_and_saveexec_b64 s[12:13], s[4:5]
	s_cbranch_execz .LBB126_575
; %bb.572:
	v_add_u32_e32 v137, -5, v0
	s_movk_i32 s14, 0x228
	s_mov_b64 s[4:5], 0
.LBB126_573:                            ; =>This Inner Loop Header: Depth=1
	buffer_load_dword v138, v136, s[0:3], 0 offen
	buffer_load_dword v139, v136, s[0:3], 0 offen offset:4
	v_mov_b32_e32 v140, s14
	ds_read_b64 v[140:141], v140
	v_add_u32_e32 v137, -1, v137
	s_add_i32 s14, s14, 8
	v_cmp_eq_u32_e32 vcc, 0, v137
	v_add_u32_e32 v136, 8, v136
	s_or_b64 s[4:5], vcc, s[4:5]
	s_waitcnt vmcnt(0) lgkmcnt(0)
	v_fmac_f64_e32 v[128:129], v[138:139], v[140:141]
	s_andn2_b64 exec, exec, s[4:5]
	s_cbranch_execnz .LBB126_573
; %bb.574:
	s_or_b64 exec, exec, s[4:5]
.LBB126_575:
	s_or_b64 exec, exec, s[12:13]
	v_mov_b32_e32 v136, 0
	ds_read_b64 v[136:137], v136 offset:32
	s_waitcnt lgkmcnt(0)
	v_mul_f64 v[128:129], v[128:129], v[136:137]
	buffer_store_dword v129, off, s[0:3], 0 offset:36
	buffer_store_dword v128, off, s[0:3], 0 offset:32
.LBB126_576:
	s_or_b64 exec, exec, s[10:11]
	buffer_load_dword v128, off, s[0:3], 0 offset:24
	buffer_load_dword v129, off, s[0:3], 0 offset:28
	v_cmp_lt_u32_e64 s[4:5], 3, v0
	s_waitcnt vmcnt(0)
	ds_write_b64 v130, v[128:129]
	s_waitcnt lgkmcnt(0)
	; wave barrier
	s_waitcnt lgkmcnt(0)
	s_and_saveexec_b64 s[10:11], s[4:5]
	s_cbranch_execz .LBB126_586
; %bb.577:
	s_andn2_b64 vcc, exec, s[8:9]
	s_cbranch_vccnz .LBB126_579
; %bb.578:
	buffer_load_dword v128, v131, s[0:3], 0 offen
	buffer_load_dword v129, v131, s[0:3], 0 offen offset:4
	ds_read_b64 v[136:137], v130
	s_waitcnt vmcnt(0) lgkmcnt(0)
	v_mul_f64 v[128:129], v[128:129], v[136:137]
	s_cbranch_execz .LBB126_580
	s_branch .LBB126_581
.LBB126_579:
                                        ; implicit-def: $vgpr128_vgpr129
.LBB126_580:
	ds_read_b64 v[128:129], v130
.LBB126_581:
	s_and_saveexec_b64 s[12:13], s[6:7]
	s_cbranch_execz .LBB126_585
; %bb.582:
	v_add_u32_e32 v136, -4, v0
	s_movk_i32 s14, 0x220
	s_mov_b64 s[6:7], 0
.LBB126_583:                            ; =>This Inner Loop Header: Depth=1
	buffer_load_dword v138, v135, s[0:3], 0 offen
	buffer_load_dword v139, v135, s[0:3], 0 offen offset:4
	v_mov_b32_e32 v137, s14
	ds_read_b64 v[140:141], v137
	v_add_u32_e32 v136, -1, v136
	s_add_i32 s14, s14, 8
	v_cmp_eq_u32_e32 vcc, 0, v136
	v_add_u32_e32 v135, 8, v135
	s_or_b64 s[6:7], vcc, s[6:7]
	s_waitcnt vmcnt(0) lgkmcnt(0)
	v_fmac_f64_e32 v[128:129], v[138:139], v[140:141]
	s_andn2_b64 exec, exec, s[6:7]
	s_cbranch_execnz .LBB126_583
; %bb.584:
	s_or_b64 exec, exec, s[6:7]
.LBB126_585:
	s_or_b64 exec, exec, s[12:13]
	v_mov_b32_e32 v135, 0
	ds_read_b64 v[136:137], v135 offset:24
	s_waitcnt lgkmcnt(0)
	v_mul_f64 v[128:129], v[128:129], v[136:137]
	buffer_store_dword v129, off, s[0:3], 0 offset:28
	buffer_store_dword v128, off, s[0:3], 0 offset:24
.LBB126_586:
	s_or_b64 exec, exec, s[10:11]
	buffer_load_dword v128, off, s[0:3], 0 offset:16
	buffer_load_dword v129, off, s[0:3], 0 offset:20
	v_cmp_lt_u32_e64 s[6:7], 2, v0
	s_waitcnt vmcnt(0)
	ds_write_b64 v130, v[128:129]
	s_waitcnt lgkmcnt(0)
	; wave barrier
	s_waitcnt lgkmcnt(0)
	s_and_saveexec_b64 s[10:11], s[6:7]
	s_cbranch_execz .LBB126_596
; %bb.587:
	s_andn2_b64 vcc, exec, s[8:9]
	s_cbranch_vccnz .LBB126_589
; %bb.588:
	buffer_load_dword v128, v131, s[0:3], 0 offen
	buffer_load_dword v129, v131, s[0:3], 0 offen offset:4
	ds_read_b64 v[136:137], v130
	s_waitcnt vmcnt(0) lgkmcnt(0)
	v_mul_f64 v[128:129], v[128:129], v[136:137]
	s_cbranch_execz .LBB126_590
	s_branch .LBB126_591
.LBB126_589:
                                        ; implicit-def: $vgpr128_vgpr129
.LBB126_590:
	ds_read_b64 v[128:129], v130
.LBB126_591:
	s_and_saveexec_b64 s[12:13], s[4:5]
	s_cbranch_execz .LBB126_595
; %bb.592:
	v_add_u32_e32 v135, -3, v0
	s_movk_i32 s14, 0x218
	s_mov_b64 s[4:5], 0
.LBB126_593:                            ; =>This Inner Loop Header: Depth=1
	buffer_load_dword v136, v134, s[0:3], 0 offen
	buffer_load_dword v137, v134, s[0:3], 0 offen offset:4
	v_mov_b32_e32 v138, s14
	ds_read_b64 v[138:139], v138
	v_add_u32_e32 v135, -1, v135
	s_add_i32 s14, s14, 8
	v_cmp_eq_u32_e32 vcc, 0, v135
	v_add_u32_e32 v134, 8, v134
	s_or_b64 s[4:5], vcc, s[4:5]
	s_waitcnt vmcnt(0) lgkmcnt(0)
	v_fmac_f64_e32 v[128:129], v[136:137], v[138:139]
	s_andn2_b64 exec, exec, s[4:5]
	s_cbranch_execnz .LBB126_593
; %bb.594:
	s_or_b64 exec, exec, s[4:5]
.LBB126_595:
	s_or_b64 exec, exec, s[12:13]
	v_mov_b32_e32 v134, 0
	ds_read_b64 v[134:135], v134 offset:16
	s_waitcnt lgkmcnt(0)
	v_mul_f64 v[128:129], v[128:129], v[134:135]
	buffer_store_dword v129, off, s[0:3], 0 offset:20
	buffer_store_dword v128, off, s[0:3], 0 offset:16
.LBB126_596:
	s_or_b64 exec, exec, s[10:11]
	buffer_load_dword v128, off, s[0:3], 0 offset:8
	buffer_load_dword v129, off, s[0:3], 0 offset:12
	v_cmp_lt_u32_e64 s[4:5], 1, v0
	s_waitcnt vmcnt(0)
	ds_write_b64 v130, v[128:129]
	s_waitcnt lgkmcnt(0)
	; wave barrier
	s_waitcnt lgkmcnt(0)
	s_and_saveexec_b64 s[10:11], s[4:5]
	s_cbranch_execz .LBB126_606
; %bb.597:
	s_andn2_b64 vcc, exec, s[8:9]
	s_cbranch_vccnz .LBB126_599
; %bb.598:
	buffer_load_dword v128, v131, s[0:3], 0 offen
	buffer_load_dword v129, v131, s[0:3], 0 offen offset:4
	ds_read_b64 v[134:135], v130
	s_waitcnt vmcnt(0) lgkmcnt(0)
	v_mul_f64 v[128:129], v[128:129], v[134:135]
	s_cbranch_execz .LBB126_600
	s_branch .LBB126_601
.LBB126_599:
                                        ; implicit-def: $vgpr128_vgpr129
.LBB126_600:
	ds_read_b64 v[128:129], v130
.LBB126_601:
	s_and_saveexec_b64 s[12:13], s[6:7]
	s_cbranch_execz .LBB126_605
; %bb.602:
	v_add_u32_e32 v134, -2, v0
	s_movk_i32 s14, 0x210
	s_mov_b64 s[6:7], 0
.LBB126_603:                            ; =>This Inner Loop Header: Depth=1
	buffer_load_dword v136, v133, s[0:3], 0 offen
	buffer_load_dword v137, v133, s[0:3], 0 offen offset:4
	v_mov_b32_e32 v135, s14
	ds_read_b64 v[138:139], v135
	v_add_u32_e32 v134, -1, v134
	s_add_i32 s14, s14, 8
	v_cmp_eq_u32_e32 vcc, 0, v134
	v_add_u32_e32 v133, 8, v133
	s_or_b64 s[6:7], vcc, s[6:7]
	s_waitcnt vmcnt(0) lgkmcnt(0)
	v_fmac_f64_e32 v[128:129], v[136:137], v[138:139]
	s_andn2_b64 exec, exec, s[6:7]
	s_cbranch_execnz .LBB126_603
; %bb.604:
	s_or_b64 exec, exec, s[6:7]
.LBB126_605:
	s_or_b64 exec, exec, s[12:13]
	v_mov_b32_e32 v133, 0
	ds_read_b64 v[134:135], v133 offset:8
	s_waitcnt lgkmcnt(0)
	v_mul_f64 v[128:129], v[128:129], v[134:135]
	buffer_store_dword v129, off, s[0:3], 0 offset:12
	buffer_store_dword v128, off, s[0:3], 0 offset:8
.LBB126_606:
	s_or_b64 exec, exec, s[10:11]
	buffer_load_dword v128, off, s[0:3], 0
	buffer_load_dword v129, off, s[0:3], 0 offset:4
	v_cmp_ne_u32_e32 vcc, 0, v0
	s_waitcnt vmcnt(0)
	ds_write_b64 v130, v[128:129]
	s_waitcnt lgkmcnt(0)
	; wave barrier
	s_waitcnt lgkmcnt(0)
	s_and_saveexec_b64 s[6:7], vcc
	s_cbranch_execz .LBB126_616
; %bb.607:
	s_andn2_b64 vcc, exec, s[8:9]
	s_cbranch_vccnz .LBB126_609
; %bb.608:
	buffer_load_dword v128, v131, s[0:3], 0 offen
	buffer_load_dword v129, v131, s[0:3], 0 offen offset:4
	ds_read_b64 v[134:135], v130
	s_waitcnt vmcnt(0) lgkmcnt(0)
	v_mul_f64 v[128:129], v[128:129], v[134:135]
	s_cbranch_execz .LBB126_610
	s_branch .LBB126_611
.LBB126_609:
                                        ; implicit-def: $vgpr128_vgpr129
.LBB126_610:
	ds_read_b64 v[128:129], v130
.LBB126_611:
	s_and_saveexec_b64 s[10:11], s[4:5]
	s_cbranch_execz .LBB126_615
; %bb.612:
	v_add_u32_e32 v133, -1, v0
	s_movk_i32 s12, 0x208
	s_mov_b64 s[4:5], 0
.LBB126_613:                            ; =>This Inner Loop Header: Depth=1
	buffer_load_dword v134, v132, s[0:3], 0 offen
	buffer_load_dword v135, v132, s[0:3], 0 offen offset:4
	v_mov_b32_e32 v136, s12
	ds_read_b64 v[136:137], v136
	v_add_u32_e32 v133, -1, v133
	s_add_i32 s12, s12, 8
	v_cmp_eq_u32_e32 vcc, 0, v133
	v_add_u32_e32 v132, 8, v132
	s_or_b64 s[4:5], vcc, s[4:5]
	s_waitcnt vmcnt(0) lgkmcnt(0)
	v_fmac_f64_e32 v[128:129], v[134:135], v[136:137]
	s_andn2_b64 exec, exec, s[4:5]
	s_cbranch_execnz .LBB126_613
; %bb.614:
	s_or_b64 exec, exec, s[4:5]
.LBB126_615:
	s_or_b64 exec, exec, s[10:11]
	v_mov_b32_e32 v132, 0
	ds_read_b64 v[132:133], v132
	s_waitcnt lgkmcnt(0)
	v_mul_f64 v[128:129], v[128:129], v[132:133]
	buffer_store_dword v129, off, s[0:3], 0 offset:4
	buffer_store_dword v128, off, s[0:3], 0
.LBB126_616:
	s_or_b64 exec, exec, s[6:7]
	s_mov_b64 s[4:5], 0
.LBB126_617:
	s_and_b64 vcc, exec, s[4:5]
	s_cbranch_vccz .LBB126_1231
; %bb.618:
	buffer_load_dword v128, off, s[0:3], 0 offset:8
	buffer_load_dword v129, off, s[0:3], 0 offset:12
	v_cmp_eq_u32_e64 s[6:7], 0, v0
	s_waitcnt vmcnt(0)
	ds_write_b64 v130, v[128:129]
	s_waitcnt lgkmcnt(0)
	; wave barrier
	s_waitcnt lgkmcnt(0)
	s_and_saveexec_b64 s[4:5], s[6:7]
	s_cbranch_execz .LBB126_624
; %bb.619:
	s_and_b64 vcc, exec, s[8:9]
	s_cbranch_vccz .LBB126_621
; %bb.620:
	buffer_load_dword v128, v131, s[0:3], 0 offen
	buffer_load_dword v129, v131, s[0:3], 0 offen offset:4
	ds_read_b64 v[132:133], v130
	s_waitcnt vmcnt(0) lgkmcnt(0)
	v_mul_f64 v[128:129], v[128:129], v[132:133]
	s_cbranch_execz .LBB126_622
	s_branch .LBB126_623
.LBB126_621:
                                        ; implicit-def: $vgpr128_vgpr129
.LBB126_622:
	ds_read_b64 v[128:129], v130
.LBB126_623:
	v_mov_b32_e32 v132, 0
	ds_read_b64 v[132:133], v132 offset:8
	s_waitcnt lgkmcnt(0)
	v_mul_f64 v[128:129], v[128:129], v[132:133]
	buffer_store_dword v129, off, s[0:3], 0 offset:12
	buffer_store_dword v128, off, s[0:3], 0 offset:8
.LBB126_624:
	s_or_b64 exec, exec, s[4:5]
	buffer_load_dword v128, off, s[0:3], 0 offset:16
	buffer_load_dword v129, off, s[0:3], 0 offset:20
	v_cndmask_b32_e64 v132, 0, 1, s[8:9]
	v_cmp_gt_u32_e32 vcc, 2, v0
	v_cmp_ne_u32_e64 s[4:5], 1, v132
	s_waitcnt vmcnt(0)
	ds_write_b64 v130, v[128:129]
	s_waitcnt lgkmcnt(0)
	; wave barrier
	s_waitcnt lgkmcnt(0)
	s_and_saveexec_b64 s[8:9], vcc
	s_cbranch_execz .LBB126_632
; %bb.625:
	s_and_b64 vcc, exec, s[4:5]
	s_cbranch_vccnz .LBB126_627
; %bb.626:
	buffer_load_dword v128, v131, s[0:3], 0 offen
	buffer_load_dword v129, v131, s[0:3], 0 offen offset:4
	ds_read_b64 v[132:133], v130
	s_waitcnt vmcnt(0) lgkmcnt(0)
	v_mul_f64 v[128:129], v[128:129], v[132:133]
	s_cbranch_execz .LBB126_628
	s_branch .LBB126_629
.LBB126_627:
                                        ; implicit-def: $vgpr128_vgpr129
.LBB126_628:
	ds_read_b64 v[128:129], v130
.LBB126_629:
	s_and_saveexec_b64 s[10:11], s[6:7]
	s_cbranch_execz .LBB126_631
; %bb.630:
	buffer_load_dword v132, v131, s[0:3], 0 offen offset:8
	buffer_load_dword v133, v131, s[0:3], 0 offen offset:12
	ds_read_b64 v[134:135], v130 offset:8
	s_waitcnt vmcnt(0) lgkmcnt(0)
	v_fmac_f64_e32 v[128:129], v[132:133], v[134:135]
.LBB126_631:
	s_or_b64 exec, exec, s[10:11]
	v_mov_b32_e32 v132, 0
	ds_read_b64 v[132:133], v132 offset:16
	s_waitcnt lgkmcnt(0)
	v_mul_f64 v[128:129], v[128:129], v[132:133]
	buffer_store_dword v129, off, s[0:3], 0 offset:20
	buffer_store_dword v128, off, s[0:3], 0 offset:16
.LBB126_632:
	s_or_b64 exec, exec, s[8:9]
	buffer_load_dword v128, off, s[0:3], 0 offset:24
	buffer_load_dword v129, off, s[0:3], 0 offset:28
	v_cmp_gt_u32_e32 vcc, 3, v0
	s_waitcnt vmcnt(0)
	ds_write_b64 v130, v[128:129]
	s_waitcnt lgkmcnt(0)
	; wave barrier
	s_waitcnt lgkmcnt(0)
	s_and_saveexec_b64 s[8:9], vcc
	s_cbranch_execz .LBB126_640
; %bb.633:
	s_and_b64 vcc, exec, s[4:5]
	s_cbranch_vccnz .LBB126_635
; %bb.634:
	buffer_load_dword v128, v131, s[0:3], 0 offen
	buffer_load_dword v129, v131, s[0:3], 0 offen offset:4
	ds_read_b64 v[132:133], v130
	s_waitcnt vmcnt(0) lgkmcnt(0)
	v_mul_f64 v[128:129], v[128:129], v[132:133]
	s_cbranch_execz .LBB126_636
	s_branch .LBB126_637
.LBB126_635:
                                        ; implicit-def: $vgpr128_vgpr129
.LBB126_636:
	ds_read_b64 v[128:129], v130
.LBB126_637:
	v_cmp_ne_u32_e32 vcc, 2, v0
	s_and_saveexec_b64 s[10:11], vcc
	s_cbranch_execz .LBB126_639
; %bb.638:
	buffer_load_dword v133, v131, s[0:3], 0 offen offset:12
	buffer_load_dword v134, off, s[0:3], 0 offset:16
	buffer_load_dword v132, v131, s[0:3], 0 offen offset:8
	buffer_load_dword v135, off, s[0:3], 0 offset:20
	v_mov_b32_e32 v138, 0
	ds_read_b64 v[136:137], v130 offset:8
	ds_read_b64 v[138:139], v138 offset:528
	s_waitcnt vmcnt(1) lgkmcnt(1)
	v_fmac_f64_e32 v[128:129], v[132:133], v[136:137]
	s_waitcnt vmcnt(0) lgkmcnt(0)
	v_fma_f64 v[132:133], v[134:135], v[138:139], v[128:129]
	v_cndmask_b32_e64 v129, v129, v133, s[6:7]
	v_cndmask_b32_e64 v128, v128, v132, s[6:7]
.LBB126_639:
	s_or_b64 exec, exec, s[10:11]
	v_mov_b32_e32 v132, 0
	ds_read_b64 v[132:133], v132 offset:24
	s_waitcnt lgkmcnt(0)
	v_mul_f64 v[128:129], v[128:129], v[132:133]
	buffer_store_dword v129, off, s[0:3], 0 offset:28
	buffer_store_dword v128, off, s[0:3], 0 offset:24
.LBB126_640:
	s_or_b64 exec, exec, s[8:9]
	buffer_load_dword v128, off, s[0:3], 0 offset:32
	buffer_load_dword v129, off, s[0:3], 0 offset:36
	v_cmp_gt_u32_e32 vcc, 4, v0
	s_waitcnt vmcnt(0)
	ds_write_b64 v130, v[128:129]
	s_waitcnt lgkmcnt(0)
	; wave barrier
	s_waitcnt lgkmcnt(0)
	s_and_saveexec_b64 s[6:7], vcc
	s_cbranch_execz .LBB126_650
; %bb.641:
	s_and_b64 vcc, exec, s[4:5]
	s_cbranch_vccnz .LBB126_643
; %bb.642:
	buffer_load_dword v128, v131, s[0:3], 0 offen
	buffer_load_dword v129, v131, s[0:3], 0 offen offset:4
	ds_read_b64 v[132:133], v130
	s_waitcnt vmcnt(0) lgkmcnt(0)
	v_mul_f64 v[128:129], v[128:129], v[132:133]
	s_cbranch_execz .LBB126_644
	s_branch .LBB126_645
.LBB126_643:
                                        ; implicit-def: $vgpr128_vgpr129
.LBB126_644:
	ds_read_b64 v[128:129], v130
.LBB126_645:
	v_cmp_ne_u32_e32 vcc, 3, v0
	s_and_saveexec_b64 s[8:9], vcc
	s_cbranch_execz .LBB126_649
; %bb.646:
	v_mov_b32_e32 v133, 0
	v_add_u32_e32 v132, 0x208, v1
	v_add3_u32 v133, v1, v133, 8
	s_mov_b64 s[10:11], 0
	v_mov_b32_e32 v134, v0
.LBB126_647:                            ; =>This Inner Loop Header: Depth=1
	buffer_load_dword v136, v133, s[0:3], 0 offen
	buffer_load_dword v137, v133, s[0:3], 0 offen offset:4
	ds_read_b64 v[138:139], v132
	v_add_u32_e32 v134, 1, v134
	v_cmp_lt_u32_e32 vcc, 2, v134
	v_add_u32_e32 v132, 8, v132
	v_add_u32_e32 v133, 8, v133
	s_or_b64 s[10:11], vcc, s[10:11]
	s_waitcnt vmcnt(0) lgkmcnt(0)
	v_fmac_f64_e32 v[128:129], v[136:137], v[138:139]
	s_andn2_b64 exec, exec, s[10:11]
	s_cbranch_execnz .LBB126_647
; %bb.648:
	s_or_b64 exec, exec, s[10:11]
.LBB126_649:
	s_or_b64 exec, exec, s[8:9]
	v_mov_b32_e32 v132, 0
	ds_read_b64 v[132:133], v132 offset:32
	s_waitcnt lgkmcnt(0)
	v_mul_f64 v[128:129], v[128:129], v[132:133]
	buffer_store_dword v129, off, s[0:3], 0 offset:36
	buffer_store_dword v128, off, s[0:3], 0 offset:32
.LBB126_650:
	s_or_b64 exec, exec, s[6:7]
	buffer_load_dword v128, off, s[0:3], 0 offset:40
	buffer_load_dword v129, off, s[0:3], 0 offset:44
	v_cmp_gt_u32_e32 vcc, 5, v0
	s_waitcnt vmcnt(0)
	ds_write_b64 v130, v[128:129]
	s_waitcnt lgkmcnt(0)
	; wave barrier
	s_waitcnt lgkmcnt(0)
	s_and_saveexec_b64 s[6:7], vcc
	s_cbranch_execz .LBB126_660
; %bb.651:
	s_and_b64 vcc, exec, s[4:5]
	s_cbranch_vccnz .LBB126_653
; %bb.652:
	buffer_load_dword v128, v131, s[0:3], 0 offen
	buffer_load_dword v129, v131, s[0:3], 0 offen offset:4
	ds_read_b64 v[132:133], v130
	s_waitcnt vmcnt(0) lgkmcnt(0)
	v_mul_f64 v[128:129], v[128:129], v[132:133]
	s_cbranch_execz .LBB126_654
	s_branch .LBB126_655
.LBB126_653:
                                        ; implicit-def: $vgpr128_vgpr129
.LBB126_654:
	ds_read_b64 v[128:129], v130
.LBB126_655:
	v_cmp_ne_u32_e32 vcc, 4, v0
	s_and_saveexec_b64 s[8:9], vcc
	s_cbranch_execz .LBB126_659
; %bb.656:
	v_mov_b32_e32 v133, 0
	v_add_u32_e32 v132, 0x208, v1
	v_add3_u32 v133, v1, v133, 8
	s_mov_b64 s[10:11], 0
	v_mov_b32_e32 v134, v0
.LBB126_657:                            ; =>This Inner Loop Header: Depth=1
	buffer_load_dword v136, v133, s[0:3], 0 offen
	buffer_load_dword v137, v133, s[0:3], 0 offen offset:4
	ds_read_b64 v[138:139], v132
	v_add_u32_e32 v134, 1, v134
	v_cmp_lt_u32_e32 vcc, 3, v134
	v_add_u32_e32 v132, 8, v132
	v_add_u32_e32 v133, 8, v133
	s_or_b64 s[10:11], vcc, s[10:11]
	s_waitcnt vmcnt(0) lgkmcnt(0)
	v_fmac_f64_e32 v[128:129], v[136:137], v[138:139]
	s_andn2_b64 exec, exec, s[10:11]
	s_cbranch_execnz .LBB126_657
; %bb.658:
	s_or_b64 exec, exec, s[10:11]
.LBB126_659:
	s_or_b64 exec, exec, s[8:9]
	v_mov_b32_e32 v132, 0
	ds_read_b64 v[132:133], v132 offset:40
	s_waitcnt lgkmcnt(0)
	v_mul_f64 v[128:129], v[128:129], v[132:133]
	buffer_store_dword v129, off, s[0:3], 0 offset:44
	buffer_store_dword v128, off, s[0:3], 0 offset:40
.LBB126_660:
	;; [unrolled: 60-line block ×36, first 2 shown]
	s_or_b64 exec, exec, s[6:7]
	buffer_load_dword v128, off, s[0:3], 0 offset:320
	buffer_load_dword v129, off, s[0:3], 0 offset:324
	v_cmp_gt_u32_e32 vcc, 40, v0
	s_waitcnt vmcnt(0)
	ds_write_b64 v130, v[128:129]
	s_waitcnt lgkmcnt(0)
	; wave barrier
	s_waitcnt lgkmcnt(0)
	s_and_saveexec_b64 s[6:7], vcc
	s_cbranch_execz .LBB126_1010
; %bb.1001:
	s_and_b64 vcc, exec, s[4:5]
	s_cbranch_vccnz .LBB126_1003
; %bb.1002:
	buffer_load_dword v128, v131, s[0:3], 0 offen
	buffer_load_dword v129, v131, s[0:3], 0 offen offset:4
	ds_read_b64 v[132:133], v130
	s_waitcnt vmcnt(0) lgkmcnt(0)
	v_mul_f64 v[128:129], v[128:129], v[132:133]
	s_cbranch_execz .LBB126_1004
	s_branch .LBB126_1005
.LBB126_1003:
                                        ; implicit-def: $vgpr128_vgpr129
.LBB126_1004:
	ds_read_b64 v[128:129], v130
.LBB126_1005:
	v_cmp_ne_u32_e32 vcc, 39, v0
	s_and_saveexec_b64 s[8:9], vcc
	s_cbranch_execz .LBB126_1009
; %bb.1006:
	v_mov_b32_e32 v133, 0
	v_add_u32_e32 v132, 0x208, v1
	v_add3_u32 v133, v1, v133, 8
	s_mov_b64 s[10:11], 0
	v_mov_b32_e32 v134, v0
.LBB126_1007:                           ; =>This Inner Loop Header: Depth=1
	buffer_load_dword v136, v133, s[0:3], 0 offen
	buffer_load_dword v137, v133, s[0:3], 0 offen offset:4
	ds_read_b64 v[138:139], v132
	v_add_u32_e32 v134, 1, v134
	v_cmp_lt_u32_e32 vcc, 38, v134
	v_add_u32_e32 v132, 8, v132
	v_add_u32_e32 v133, 8, v133
	s_or_b64 s[10:11], vcc, s[10:11]
	s_waitcnt vmcnt(0) lgkmcnt(0)
	v_fmac_f64_e32 v[128:129], v[136:137], v[138:139]
	s_andn2_b64 exec, exec, s[10:11]
	s_cbranch_execnz .LBB126_1007
; %bb.1008:
	s_or_b64 exec, exec, s[10:11]
.LBB126_1009:
	s_or_b64 exec, exec, s[8:9]
	v_mov_b32_e32 v132, 0
	ds_read_b64 v[132:133], v132 offset:320
	s_waitcnt lgkmcnt(0)
	v_mul_f64 v[128:129], v[128:129], v[132:133]
	buffer_store_dword v129, off, s[0:3], 0 offset:324
	buffer_store_dword v128, off, s[0:3], 0 offset:320
.LBB126_1010:
	s_or_b64 exec, exec, s[6:7]
	buffer_load_dword v128, off, s[0:3], 0 offset:328
	buffer_load_dword v129, off, s[0:3], 0 offset:332
	v_cmp_gt_u32_e32 vcc, 41, v0
	s_waitcnt vmcnt(0)
	ds_write_b64 v130, v[128:129]
	s_waitcnt lgkmcnt(0)
	; wave barrier
	s_waitcnt lgkmcnt(0)
	s_and_saveexec_b64 s[6:7], vcc
	s_cbranch_execz .LBB126_1020
; %bb.1011:
	s_and_b64 vcc, exec, s[4:5]
	s_cbranch_vccnz .LBB126_1013
; %bb.1012:
	buffer_load_dword v128, v131, s[0:3], 0 offen
	buffer_load_dword v129, v131, s[0:3], 0 offen offset:4
	ds_read_b64 v[132:133], v130
	s_waitcnt vmcnt(0) lgkmcnt(0)
	v_mul_f64 v[128:129], v[128:129], v[132:133]
	s_cbranch_execz .LBB126_1014
	s_branch .LBB126_1015
.LBB126_1013:
                                        ; implicit-def: $vgpr128_vgpr129
.LBB126_1014:
	ds_read_b64 v[128:129], v130
.LBB126_1015:
	v_cmp_ne_u32_e32 vcc, 40, v0
	s_and_saveexec_b64 s[8:9], vcc
	s_cbranch_execz .LBB126_1019
; %bb.1016:
	v_mov_b32_e32 v133, 0
	v_add_u32_e32 v132, 0x208, v1
	v_add3_u32 v133, v1, v133, 8
	s_mov_b64 s[10:11], 0
	v_mov_b32_e32 v134, v0
.LBB126_1017:                           ; =>This Inner Loop Header: Depth=1
	buffer_load_dword v136, v133, s[0:3], 0 offen
	buffer_load_dword v137, v133, s[0:3], 0 offen offset:4
	ds_read_b64 v[138:139], v132
	v_add_u32_e32 v134, 1, v134
	v_cmp_lt_u32_e32 vcc, 39, v134
	v_add_u32_e32 v132, 8, v132
	v_add_u32_e32 v133, 8, v133
	s_or_b64 s[10:11], vcc, s[10:11]
	s_waitcnt vmcnt(0) lgkmcnt(0)
	v_fmac_f64_e32 v[128:129], v[136:137], v[138:139]
	s_andn2_b64 exec, exec, s[10:11]
	s_cbranch_execnz .LBB126_1017
; %bb.1018:
	s_or_b64 exec, exec, s[10:11]
.LBB126_1019:
	s_or_b64 exec, exec, s[8:9]
	v_mov_b32_e32 v132, 0
	ds_read_b64 v[132:133], v132 offset:328
	s_waitcnt lgkmcnt(0)
	v_mul_f64 v[128:129], v[128:129], v[132:133]
	buffer_store_dword v129, off, s[0:3], 0 offset:332
	buffer_store_dword v128, off, s[0:3], 0 offset:328
.LBB126_1020:
	;; [unrolled: 60-line block ×21, first 2 shown]
	s_or_b64 exec, exec, s[6:7]
	buffer_load_dword v128, off, s[0:3], 0 offset:488
	buffer_load_dword v129, off, s[0:3], 0 offset:492
	v_cmp_gt_u32_e64 s[6:7], 61, v0
	s_waitcnt vmcnt(0)
	ds_write_b64 v130, v[128:129]
	s_waitcnt lgkmcnt(0)
	; wave barrier
	s_waitcnt lgkmcnt(0)
	s_and_saveexec_b64 s[8:9], s[6:7]
	s_cbranch_execz .LBB126_1220
; %bb.1211:
	s_and_b64 vcc, exec, s[4:5]
	s_cbranch_vccnz .LBB126_1213
; %bb.1212:
	buffer_load_dword v128, v131, s[0:3], 0 offen
	buffer_load_dword v129, v131, s[0:3], 0 offen offset:4
	ds_read_b64 v[132:133], v130
	s_waitcnt vmcnt(0) lgkmcnt(0)
	v_mul_f64 v[128:129], v[128:129], v[132:133]
	s_cbranch_execz .LBB126_1214
	s_branch .LBB126_1215
.LBB126_1213:
                                        ; implicit-def: $vgpr128_vgpr129
.LBB126_1214:
	ds_read_b64 v[128:129], v130
.LBB126_1215:
	v_cmp_ne_u32_e32 vcc, 60, v0
	s_and_saveexec_b64 s[10:11], vcc
	s_cbranch_execz .LBB126_1219
; %bb.1216:
	v_mov_b32_e32 v133, 0
	v_add_u32_e32 v132, 0x208, v1
	v_add3_u32 v133, v1, v133, 8
	s_mov_b64 s[12:13], 0
	v_mov_b32_e32 v134, v0
.LBB126_1217:                           ; =>This Inner Loop Header: Depth=1
	buffer_load_dword v136, v133, s[0:3], 0 offen
	buffer_load_dword v137, v133, s[0:3], 0 offen offset:4
	ds_read_b64 v[138:139], v132
	v_add_u32_e32 v134, 1, v134
	v_cmp_lt_u32_e32 vcc, 59, v134
	v_add_u32_e32 v132, 8, v132
	v_add_u32_e32 v133, 8, v133
	s_or_b64 s[12:13], vcc, s[12:13]
	s_waitcnt vmcnt(0) lgkmcnt(0)
	v_fmac_f64_e32 v[128:129], v[136:137], v[138:139]
	s_andn2_b64 exec, exec, s[12:13]
	s_cbranch_execnz .LBB126_1217
; %bb.1218:
	s_or_b64 exec, exec, s[12:13]
.LBB126_1219:
	s_or_b64 exec, exec, s[10:11]
	v_mov_b32_e32 v132, 0
	ds_read_b64 v[132:133], v132 offset:488
	s_waitcnt lgkmcnt(0)
	v_mul_f64 v[128:129], v[128:129], v[132:133]
	buffer_store_dword v129, off, s[0:3], 0 offset:492
	buffer_store_dword v128, off, s[0:3], 0 offset:488
.LBB126_1220:
	s_or_b64 exec, exec, s[8:9]
	buffer_load_dword v128, off, s[0:3], 0 offset:496
	buffer_load_dword v129, off, s[0:3], 0 offset:500
	v_cmp_ne_u32_e32 vcc, 62, v0
	s_waitcnt vmcnt(0)
	ds_write_b64 v130, v[128:129]
	s_waitcnt lgkmcnt(0)
	; wave barrier
	s_waitcnt lgkmcnt(0)
	s_and_saveexec_b64 s[8:9], vcc
	s_cbranch_execz .LBB126_1230
; %bb.1221:
	s_and_b64 vcc, exec, s[4:5]
	s_cbranch_vccnz .LBB126_1223
; %bb.1222:
	buffer_load_dword v128, v131, s[0:3], 0 offen
	buffer_load_dword v129, v131, s[0:3], 0 offen offset:4
	ds_read_b64 v[132:133], v130
	s_waitcnt vmcnt(0) lgkmcnt(0)
	v_mul_f64 v[128:129], v[128:129], v[132:133]
	s_cbranch_execz .LBB126_1224
	s_branch .LBB126_1225
.LBB126_1223:
                                        ; implicit-def: $vgpr128_vgpr129
.LBB126_1224:
	ds_read_b64 v[128:129], v130
.LBB126_1225:
	s_and_saveexec_b64 s[4:5], s[6:7]
	s_cbranch_execz .LBB126_1229
; %bb.1226:
	v_mov_b32_e32 v131, 0
	v_add_u32_e32 v130, 0x208, v1
	v_add3_u32 v1, v1, v131, 8
	s_mov_b64 s[6:7], 0
.LBB126_1227:                           ; =>This Inner Loop Header: Depth=1
	buffer_load_dword v132, v1, s[0:3], 0 offen
	buffer_load_dword v133, v1, s[0:3], 0 offen offset:4
	ds_read_b64 v[134:135], v130
	v_add_u32_e32 v0, 1, v0
	v_cmp_lt_u32_e32 vcc, 60, v0
	v_add_u32_e32 v130, 8, v130
	v_add_u32_e32 v1, 8, v1
	s_or_b64 s[6:7], vcc, s[6:7]
	s_waitcnt vmcnt(0) lgkmcnt(0)
	v_fmac_f64_e32 v[128:129], v[132:133], v[134:135]
	s_andn2_b64 exec, exec, s[6:7]
	s_cbranch_execnz .LBB126_1227
; %bb.1228:
	s_or_b64 exec, exec, s[6:7]
.LBB126_1229:
	s_or_b64 exec, exec, s[4:5]
	v_mov_b32_e32 v0, 0
	ds_read_b64 v[0:1], v0 offset:496
	s_waitcnt lgkmcnt(0)
	v_mul_f64 v[0:1], v[128:129], v[0:1]
	buffer_store_dword v1, off, s[0:3], 0 offset:500
	buffer_store_dword v0, off, s[0:3], 0 offset:496
.LBB126_1230:
	s_or_b64 exec, exec, s[8:9]
.LBB126_1231:
	buffer_load_dword v0, off, s[0:3], 0
	buffer_load_dword v1, off, s[0:3], 0 offset:4
	buffer_load_dword v128, off, s[0:3], 0 offset:8
	;; [unrolled: 1-line block ×125, first 2 shown]
	s_waitcnt vmcnt(62)
	global_store_dwordx2 v[118:119], v[0:1], off
	global_store_dwordx2 v[120:121], v[128:129], off
	;; [unrolled: 1-line block ×32, first 2 shown]
	s_waitcnt vmcnt(62)
	global_store_dwordx2 v[62:63], v[190:191], off
	global_store_dwordx2 v[64:65], v[192:193], off
	global_store_dwordx2 v[66:67], v[194:195], off
	global_store_dwordx2 v[68:69], v[196:197], off
	global_store_dwordx2 v[70:71], v[198:199], off
	global_store_dwordx2 v[72:73], v[200:201], off
	global_store_dwordx2 v[74:75], v[202:203], off
	global_store_dwordx2 v[76:77], v[204:205], off
	global_store_dwordx2 v[78:79], v[206:207], off
	global_store_dwordx2 v[80:81], v[208:209], off
	global_store_dwordx2 v[82:83], v[210:211], off
	global_store_dwordx2 v[84:85], v[212:213], off
	global_store_dwordx2 v[86:87], v[214:215], off
	global_store_dwordx2 v[88:89], v[216:217], off
	global_store_dwordx2 v[90:91], v[218:219], off
	global_store_dwordx2 v[92:93], v[220:221], off
	s_waitcnt vmcnt(62)
	global_store_dwordx2 v[94:95], v[222:223], off
	global_store_dwordx2 v[96:97], v[224:225], off
	;; [unrolled: 1-line block ×8, first 2 shown]
	s_waitcnt vmcnt(62)
	global_store_dwordx2 v[110:111], v[238:239], off
	global_store_dwordx2 v[112:113], v[240:241], off
	;; [unrolled: 1-line block ×4, first 2 shown]
	s_waitcnt vmcnt(62)
	global_store_dwordx2 v[122:123], v[246:247], off
	global_store_dwordx2 v[124:125], v[248:249], off
	s_waitcnt vmcnt(62)
	global_store_dwordx2 v[126:127], v[250:251], off
.LBB126_1232:
	s_endpgm
	.section	.rodata,"a",@progbits
	.p2align	6, 0x0
	.amdhsa_kernel _ZN9rocsolver6v33100L18trti2_kernel_smallILi63EdPKPdEEv13rocblas_fill_17rocblas_diagonal_T1_iil
		.amdhsa_group_segment_fixed_size 1016
		.amdhsa_private_segment_fixed_size 512
		.amdhsa_kernarg_size 32
		.amdhsa_user_sgpr_count 8
		.amdhsa_user_sgpr_private_segment_buffer 1
		.amdhsa_user_sgpr_dispatch_ptr 0
		.amdhsa_user_sgpr_queue_ptr 0
		.amdhsa_user_sgpr_kernarg_segment_ptr 1
		.amdhsa_user_sgpr_dispatch_id 0
		.amdhsa_user_sgpr_flat_scratch_init 1
		.amdhsa_user_sgpr_kernarg_preload_length 0
		.amdhsa_user_sgpr_kernarg_preload_offset 0
		.amdhsa_user_sgpr_private_segment_size 0
		.amdhsa_uses_dynamic_stack 0
		.amdhsa_system_sgpr_private_segment_wavefront_offset 1
		.amdhsa_system_sgpr_workgroup_id_x 1
		.amdhsa_system_sgpr_workgroup_id_y 0
		.amdhsa_system_sgpr_workgroup_id_z 0
		.amdhsa_system_sgpr_workgroup_info 0
		.amdhsa_system_vgpr_workitem_id 0
		.amdhsa_next_free_vgpr 252
		.amdhsa_next_free_sgpr 16
		.amdhsa_accum_offset 252
		.amdhsa_reserve_vcc 1
		.amdhsa_reserve_flat_scratch 0
		.amdhsa_float_round_mode_32 0
		.amdhsa_float_round_mode_16_64 0
		.amdhsa_float_denorm_mode_32 3
		.amdhsa_float_denorm_mode_16_64 3
		.amdhsa_dx10_clamp 1
		.amdhsa_ieee_mode 1
		.amdhsa_fp16_overflow 0
		.amdhsa_tg_split 0
		.amdhsa_exception_fp_ieee_invalid_op 0
		.amdhsa_exception_fp_denorm_src 0
		.amdhsa_exception_fp_ieee_div_zero 0
		.amdhsa_exception_fp_ieee_overflow 0
		.amdhsa_exception_fp_ieee_underflow 0
		.amdhsa_exception_fp_ieee_inexact 0
		.amdhsa_exception_int_div_zero 0
	.end_amdhsa_kernel
	.section	.text._ZN9rocsolver6v33100L18trti2_kernel_smallILi63EdPKPdEEv13rocblas_fill_17rocblas_diagonal_T1_iil,"axG",@progbits,_ZN9rocsolver6v33100L18trti2_kernel_smallILi63EdPKPdEEv13rocblas_fill_17rocblas_diagonal_T1_iil,comdat
.Lfunc_end126:
	.size	_ZN9rocsolver6v33100L18trti2_kernel_smallILi63EdPKPdEEv13rocblas_fill_17rocblas_diagonal_T1_iil, .Lfunc_end126-_ZN9rocsolver6v33100L18trti2_kernel_smallILi63EdPKPdEEv13rocblas_fill_17rocblas_diagonal_T1_iil
                                        ; -- End function
	.section	.AMDGPU.csdata,"",@progbits
; Kernel info:
; codeLenInByte = 36640
; NumSgprs: 20
; NumVgprs: 252
; NumAgprs: 0
; TotalNumVgprs: 252
; ScratchSize: 512
; MemoryBound: 0
; FloatMode: 240
; IeeeMode: 1
; LDSByteSize: 1016 bytes/workgroup (compile time only)
; SGPRBlocks: 2
; VGPRBlocks: 31
; NumSGPRsForWavesPerEU: 20
; NumVGPRsForWavesPerEU: 252
; AccumOffset: 252
; Occupancy: 2
; WaveLimiterHint : 1
; COMPUTE_PGM_RSRC2:SCRATCH_EN: 1
; COMPUTE_PGM_RSRC2:USER_SGPR: 8
; COMPUTE_PGM_RSRC2:TRAP_HANDLER: 0
; COMPUTE_PGM_RSRC2:TGID_X_EN: 1
; COMPUTE_PGM_RSRC2:TGID_Y_EN: 0
; COMPUTE_PGM_RSRC2:TGID_Z_EN: 0
; COMPUTE_PGM_RSRC2:TIDIG_COMP_CNT: 0
; COMPUTE_PGM_RSRC3_GFX90A:ACCUM_OFFSET: 62
; COMPUTE_PGM_RSRC3_GFX90A:TG_SPLIT: 0
	.section	.text._ZN9rocsolver6v33100L18trti2_kernel_smallILi64EdPKPdEEv13rocblas_fill_17rocblas_diagonal_T1_iil,"axG",@progbits,_ZN9rocsolver6v33100L18trti2_kernel_smallILi64EdPKPdEEv13rocblas_fill_17rocblas_diagonal_T1_iil,comdat
	.globl	_ZN9rocsolver6v33100L18trti2_kernel_smallILi64EdPKPdEEv13rocblas_fill_17rocblas_diagonal_T1_iil ; -- Begin function _ZN9rocsolver6v33100L18trti2_kernel_smallILi64EdPKPdEEv13rocblas_fill_17rocblas_diagonal_T1_iil
	.p2align	8
	.type	_ZN9rocsolver6v33100L18trti2_kernel_smallILi64EdPKPdEEv13rocblas_fill_17rocblas_diagonal_T1_iil,@function
_ZN9rocsolver6v33100L18trti2_kernel_smallILi64EdPKPdEEv13rocblas_fill_17rocblas_diagonal_T1_iil: ; @_ZN9rocsolver6v33100L18trti2_kernel_smallILi64EdPKPdEEv13rocblas_fill_17rocblas_diagonal_T1_iil
; %bb.0:
	s_add_u32 s0, s0, s9
	s_addc_u32 s1, s1, 0
	v_cmp_gt_u32_e32 vcc, 64, v0
	s_and_saveexec_b64 s[6:7], vcc
	s_cbranch_execz .LBB127_1252
; %bb.1:
	s_load_dwordx2 s[6:7], s[4:5], 0x10
	s_load_dwordx4 s[12:15], s[4:5], 0x0
	s_ashr_i32 s9, s8, 31
	s_lshl_b64 s[4:5], s[8:9], 3
	s_waitcnt lgkmcnt(0)
	s_ashr_i32 s9, s6, 31
	s_add_u32 s4, s14, s4
	s_addc_u32 s5, s15, s5
	s_load_dwordx2 s[4:5], s[4:5], 0x0
	s_mov_b32 s8, s6
	s_lshl_b64 s[8:9], s[8:9], 3
	s_waitcnt lgkmcnt(0)
	s_add_u32 s4, s4, s8
	s_addc_u32 s5, s5, s9
	s_add_i32 s6, s7, s7
	v_add_u32_e32 v4, s6, v0
	v_ashrrev_i32_e32 v5, 31, v4
	v_lshlrev_b64 v[2:3], 3, v[4:5]
	v_add_u32_e32 v6, s7, v4
	v_mov_b32_e32 v1, s5
	v_add_co_u32_e32 v2, vcc, s4, v2
	v_ashrrev_i32_e32 v7, 31, v6
	v_addc_co_u32_e32 v3, vcc, v1, v3, vcc
	v_lshlrev_b64 v[4:5], 3, v[6:7]
	v_add_u32_e32 v8, s7, v6
	v_add_co_u32_e32 v4, vcc, s4, v4
	v_ashrrev_i32_e32 v9, 31, v8
	v_addc_co_u32_e32 v5, vcc, v1, v5, vcc
	v_lshlrev_b64 v[6:7], 3, v[8:9]
	v_add_u32_e32 v10, s7, v8
	;; [unrolled: 5-line block ×53, first 2 shown]
	v_add_co_u32_e32 v108, vcc, s4, v108
	v_ashrrev_i32_e32 v113, 31, v112
	v_addc_co_u32_e32 v109, vcc, v1, v109, vcc
	v_lshlrev_b64 v[110:111], 3, v[112:113]
	v_add_co_u32_e32 v110, vcc, s4, v110
	v_addc_co_u32_e32 v111, vcc, v1, v111, vcc
	v_lshlrev_b32_e32 v1, 3, v0
	v_mov_b32_e32 v113, s5
	v_add_co_u32_e32 v120, vcc, s4, v1
	s_ashr_i32 s9, s7, 31
	s_mov_b32 s8, s7
	v_addc_co_u32_e32 v121, vcc, 0, v113, vcc
	s_lshl_b64 s[8:9], s[8:9], 3
	v_mov_b32_e32 v113, s9
	v_add_co_u32_e32 v122, vcc, s8, v120
	global_load_dwordx2 v[132:133], v1, s[4:5]
	global_load_dwordx2 v[136:137], v[2:3], off
	v_addc_co_u32_e32 v123, vcc, v121, v113, vcc
	global_load_dwordx2 v[134:135], v[122:123], off
	global_load_dwordx2 v[138:139], v[4:5], off
	;; [unrolled: 1-line block ×15, first 2 shown]
	v_add_u32_e32 v114, s7, v112
	v_ashrrev_i32_e32 v115, 31, v114
	v_lshlrev_b64 v[112:113], 3, v[114:115]
	v_mov_b32_e32 v116, s5
	v_add_co_u32_e32 v112, vcc, s4, v112
	v_addc_co_u32_e32 v113, vcc, v116, v113, vcc
	v_add_u32_e32 v116, s7, v114
	v_ashrrev_i32_e32 v117, 31, v116
	v_lshlrev_b64 v[114:115], 3, v[116:117]
	v_mov_b32_e32 v118, s5
	v_add_co_u32_e32 v114, vcc, s4, v114
	v_addc_co_u32_e32 v115, vcc, v118, v115, vcc
	v_add_u32_e32 v118, s7, v116
	v_ashrrev_i32_e32 v119, 31, v118
	v_lshlrev_b64 v[116:117], 3, v[118:119]
	v_mov_b32_e32 v124, s5
	v_add_co_u32_e32 v116, vcc, s4, v116
	global_load_dwordx2 v[166:167], v[32:33], off
	global_load_dwordx2 v[168:169], v[34:35], off
	v_addc_co_u32_e32 v117, vcc, v124, v117, vcc
	v_add_u32_e32 v124, s7, v118
	v_ashrrev_i32_e32 v125, 31, v124
	v_lshlrev_b64 v[118:119], 3, v[124:125]
	v_mov_b32_e32 v126, s5
	v_add_co_u32_e32 v118, vcc, s4, v118
	v_addc_co_u32_e32 v119, vcc, v126, v119, vcc
	v_add_u32_e32 v126, s7, v124
	v_ashrrev_i32_e32 v127, 31, v126
	v_lshlrev_b64 v[124:125], 3, v[126:127]
	v_mov_b32_e32 v128, s5
	v_add_co_u32_e32 v124, vcc, s4, v124
	v_addc_co_u32_e32 v125, vcc, v128, v125, vcc
	v_add_u32_e32 v128, s7, v126
	global_load_dwordx2 v[170:171], v[36:37], off
	global_load_dwordx2 v[172:173], v[38:39], off
	v_ashrrev_i32_e32 v129, 31, v128
	v_lshlrev_b64 v[126:127], 3, v[128:129]
	v_add_u32_e32 v128, s7, v128
	v_mov_b32_e32 v130, s5
	v_add_co_u32_e32 v126, vcc, s4, v126
	v_ashrrev_i32_e32 v129, 31, v128
	v_addc_co_u32_e32 v127, vcc, v130, v127, vcc
	v_lshlrev_b64 v[128:129], 3, v[128:129]
	v_add_co_u32_e32 v128, vcc, s4, v128
	v_addc_co_u32_e32 v129, vcc, v130, v129, vcc
	global_load_dwordx2 v[130:131], v[128:129], off
	global_load_dwordx2 v[174:175], v[40:41], off
	s_cmpk_lg_i32 s13, 0x84
	s_cselect_b64 s[8:9], -1, 0
	s_cmpk_eq_i32 s13, 0x84
	s_waitcnt vmcnt(22)
	buffer_store_dword v133, off, s[0:3], 0 offset:4
	buffer_store_dword v132, off, s[0:3], 0
	s_waitcnt vmcnt(22)
	buffer_store_dword v135, off, s[0:3], 0 offset:12
	buffer_store_dword v134, off, s[0:3], 0 offset:8
	global_load_dwordx2 v[132:133], v[42:43], off
	s_nop 0
	buffer_store_dword v137, off, s[0:3], 0 offset:20
	buffer_store_dword v136, off, s[0:3], 0 offset:16
	global_load_dwordx2 v[134:135], v[44:45], off
	global_load_dwordx2 v[176:177], v[50:51], off
	;; [unrolled: 1-line block ×21, first 2 shown]
	s_waitcnt vmcnt(47)
	buffer_store_dword v139, off, s[0:3], 0 offset:28
	buffer_store_dword v138, off, s[0:3], 0 offset:24
	global_load_dwordx2 v[138:139], v[48:49], off
	s_waitcnt vmcnt(49)
	buffer_store_dword v141, off, s[0:3], 0 offset:36
	buffer_store_dword v140, off, s[0:3], 0 offset:32
	global_load_dwordx2 v[140:141], v[52:53], off
	s_waitcnt vmcnt(51)
	buffer_store_dword v143, off, s[0:3], 0 offset:44
	buffer_store_dword v142, off, s[0:3], 0 offset:40
	global_load_dwordx2 v[142:143], v[56:57], off
	s_waitcnt vmcnt(53)
	buffer_store_dword v145, off, s[0:3], 0 offset:52
	buffer_store_dword v144, off, s[0:3], 0 offset:48
	global_load_dwordx2 v[144:145], v[60:61], off
	s_waitcnt vmcnt(55)
	buffer_store_dword v147, off, s[0:3], 0 offset:60
	buffer_store_dword v146, off, s[0:3], 0 offset:56
	global_load_dwordx2 v[146:147], v[64:65], off
	s_waitcnt vmcnt(57)
	buffer_store_dword v149, off, s[0:3], 0 offset:68
	buffer_store_dword v148, off, s[0:3], 0 offset:64
	global_load_dwordx2 v[148:149], v[68:69], off
	s_waitcnt vmcnt(59)
	buffer_store_dword v150, off, s[0:3], 0 offset:72
	buffer_store_dword v151, off, s[0:3], 0 offset:76
	global_load_dwordx2 v[150:151], v[72:73], off
	s_waitcnt vmcnt(61)
	buffer_store_dword v152, off, s[0:3], 0 offset:80
	buffer_store_dword v153, off, s[0:3], 0 offset:84
	global_load_dwordx2 v[152:153], v[76:77], off
	s_waitcnt vmcnt(62)
	buffer_store_dword v154, off, s[0:3], 0 offset:88
	buffer_store_dword v155, off, s[0:3], 0 offset:92
	global_load_dwordx2 v[154:155], v[80:81], off
	s_nop 0
	buffer_store_dword v156, off, s[0:3], 0 offset:96
	buffer_store_dword v157, off, s[0:3], 0 offset:100
	global_load_dwordx2 v[156:157], v[84:85], off
	s_waitcnt vmcnt(62)
	buffer_store_dword v158, off, s[0:3], 0 offset:104
	buffer_store_dword v159, off, s[0:3], 0 offset:108
	global_load_dwordx2 v[158:159], v[88:89], off
	s_nop 0
	buffer_store_dword v161, off, s[0:3], 0 offset:116
	buffer_store_dword v160, off, s[0:3], 0 offset:112
	global_load_dwordx2 v[160:161], v[92:93], off
	s_nop 0
	;; [unrolled: 4-line block ×5, first 2 shown]
	buffer_store_dword v168, off, s[0:3], 0 offset:144
	buffer_store_dword v169, off, s[0:3], 0 offset:148
	global_load_dwordx2 v[168:169], v[108:109], off
	s_waitcnt vmcnt(62)
	buffer_store_dword v171, off, s[0:3], 0 offset:156
	buffer_store_dword v170, off, s[0:3], 0 offset:152
	global_load_dwordx2 v[170:171], v[112:113], off
	s_nop 0
	buffer_store_dword v173, off, s[0:3], 0 offset:164
	buffer_store_dword v172, off, s[0:3], 0 offset:160
	global_load_dwordx2 v[172:173], v[116:117], off
	s_nop 0
	;; [unrolled: 4-line block ×3, first 2 shown]
	buffer_store_dword v132, off, s[0:3], 0 offset:176
	buffer_store_dword v133, off, s[0:3], 0 offset:180
	;; [unrolled: 1-line block ×6, first 2 shown]
	s_waitcnt vmcnt(60)
	buffer_store_dword v139, off, s[0:3], 0 offset:204
	buffer_store_dword v138, off, s[0:3], 0 offset:200
	buffer_store_dword v177, off, s[0:3], 0 offset:212
	buffer_store_dword v176, off, s[0:3], 0 offset:208
	s_waitcnt vmcnt(61)
	buffer_store_dword v140, off, s[0:3], 0 offset:216
	buffer_store_dword v141, off, s[0:3], 0 offset:220
	buffer_store_dword v178, off, s[0:3], 0 offset:224
	buffer_store_dword v179, off, s[0:3], 0 offset:228
	;; [unrolled: 5-line block ×6, first 2 shown]
	buffer_store_dword v151, off, s[0:3], 0 offset:300
	buffer_store_dword v150, off, s[0:3], 0 offset:296
	;; [unrolled: 1-line block ×4, first 2 shown]
	s_waitcnt vmcnt(62)
	buffer_store_dword v152, off, s[0:3], 0 offset:312
	buffer_store_dword v153, off, s[0:3], 0 offset:316
	;; [unrolled: 1-line block ×8, first 2 shown]
	s_waitcnt vmcnt(62)
	buffer_store_dword v157, off, s[0:3], 0 offset:348
	buffer_store_dword v156, off, s[0:3], 0 offset:344
	;; [unrolled: 1-line block ×12, first 2 shown]
	s_waitcnt vmcnt(62)
	buffer_store_dword v163, off, s[0:3], 0 offset:396
	buffer_store_dword v162, off, s[0:3], 0 offset:392
	;; [unrolled: 1-line block ×16, first 2 shown]
	s_waitcnt vmcnt(62)
	buffer_store_dword v170, off, s[0:3], 0 offset:456
	buffer_store_dword v171, off, s[0:3], 0 offset:460
	;; [unrolled: 1-line block ×14, first 2 shown]
	v_mov_b32_e32 v130, 0
	v_mov_b32_e32 v194, 0
	;; [unrolled: 1-line block ×3, first 2 shown]
	s_cbranch_scc1 .LBB127_3
; %bb.2:
	v_lshl_add_u32 v140, v0, 3, v194
	buffer_load_dword v130, v140, s[0:3], 0 offen
	buffer_load_dword v131, v140, s[0:3], 0 offen offset:4
	s_waitcnt vmcnt(0)
	v_div_scale_f64 v[132:133], s[4:5], v[130:131], v[130:131], 1.0
	v_rcp_f64_e32 v[134:135], v[132:133]
	v_div_scale_f64 v[136:137], vcc, 1.0, v[130:131], 1.0
	v_fma_f64 v[138:139], -v[132:133], v[134:135], 1.0
	v_fmac_f64_e32 v[134:135], v[134:135], v[138:139]
	v_fma_f64 v[138:139], -v[132:133], v[134:135], 1.0
	v_fmac_f64_e32 v[134:135], v[134:135], v[138:139]
	v_mul_f64 v[138:139], v[136:137], v[134:135]
	v_fma_f64 v[132:133], -v[132:133], v[138:139], v[136:137]
	v_div_fmas_f64 v[132:133], v[132:133], v[134:135], v[138:139]
	v_div_fixup_f64 v[130:131], v[132:133], v[130:131], 1.0
	buffer_store_dword v130, v140, s[0:3], 0 offen
	buffer_store_dword v131, v140, s[0:3], 0 offen offset:4
	v_xor_b32_e32 v131, 0x80000000, v131
.LBB127_3:
	s_cmpk_eq_i32 s12, 0x79
	v_or_b32_e32 v132, 0x200, v1
	v_add_u32_e32 v133, 0, v1
	s_mov_b64 s[4:5], -1
	ds_write_b64 v1, v[130:131]
	s_cbranch_scc1 .LBB127_627
; %bb.4:
	buffer_load_dword v130, off, s[0:3], 0 offset:496
	buffer_load_dword v131, off, s[0:3], 0 offset:500
	v_cmp_eq_u32_e64 s[4:5], 63, v0
	s_waitcnt vmcnt(0)
	ds_write_b64 v132, v[130:131]
	s_waitcnt lgkmcnt(0)
	; wave barrier
	s_waitcnt lgkmcnt(0)
	s_and_saveexec_b64 s[6:7], s[4:5]
	s_cbranch_execz .LBB127_10
; %bb.5:
	s_and_b64 vcc, exec, s[8:9]
	s_cbranch_vccz .LBB127_7
; %bb.6:
	buffer_load_dword v130, v133, s[0:3], 0 offen
	buffer_load_dword v131, v133, s[0:3], 0 offen offset:4
	ds_read_b64 v[134:135], v132
	s_waitcnt vmcnt(0) lgkmcnt(0)
	v_mul_f64 v[130:131], v[130:131], v[134:135]
	s_cbranch_execz .LBB127_8
	s_branch .LBB127_9
.LBB127_7:
                                        ; implicit-def: $vgpr130_vgpr131
.LBB127_8:
	ds_read_b64 v[130:131], v132
.LBB127_9:
	v_mov_b32_e32 v134, 0
	ds_read_b64 v[134:135], v134 offset:496
	s_waitcnt lgkmcnt(0)
	v_mul_f64 v[130:131], v[130:131], v[134:135]
	buffer_store_dword v131, off, s[0:3], 0 offset:500
	buffer_store_dword v130, off, s[0:3], 0 offset:496
.LBB127_10:
	s_or_b64 exec, exec, s[6:7]
	buffer_load_dword v130, off, s[0:3], 0 offset:488
	buffer_load_dword v131, off, s[0:3], 0 offset:492
	v_or_b32_e32 v134, 8, v194
	v_add_u32_e32 v135, 16, v194
	v_add_u32_e32 v136, 24, v194
	;; [unrolled: 1-line block ×60, first 2 shown]
	v_cmp_lt_u32_e64 s[6:7], 61, v0
	s_waitcnt vmcnt(0)
	ds_write_b64 v132, v[130:131]
	s_waitcnt lgkmcnt(0)
	; wave barrier
	s_waitcnt lgkmcnt(0)
	s_and_saveexec_b64 s[10:11], s[6:7]
	s_cbranch_execz .LBB127_16
; %bb.11:
	s_andn2_b64 vcc, exec, s[8:9]
	s_cbranch_vccnz .LBB127_13
; %bb.12:
	buffer_load_dword v130, v133, s[0:3], 0 offen
	buffer_load_dword v131, v133, s[0:3], 0 offen offset:4
	ds_read_b64 v[196:197], v132
	s_waitcnt vmcnt(0) lgkmcnt(0)
	v_mul_f64 v[130:131], v[130:131], v[196:197]
	s_cbranch_execz .LBB127_14
	s_branch .LBB127_15
.LBB127_13:
                                        ; implicit-def: $vgpr130_vgpr131
.LBB127_14:
	ds_read_b64 v[130:131], v132
.LBB127_15:
	buffer_load_dword v200, off, s[0:3], 0 offset:496
	buffer_load_dword v201, off, s[0:3], 0 offset:500
	v_mov_b32_e32 v195, 0
	ds_read2_b64 v[196:199], v195 offset0:61 offset1:126
	s_waitcnt vmcnt(0) lgkmcnt(0)
	v_fma_f64 v[198:199], v[200:201], v[198:199], v[130:131]
	v_cndmask_b32_e64 v131, v131, v199, s[4:5]
	v_cndmask_b32_e64 v130, v130, v198, s[4:5]
	v_mul_f64 v[130:131], v[130:131], v[196:197]
	buffer_store_dword v131, off, s[0:3], 0 offset:492
	buffer_store_dword v130, off, s[0:3], 0 offset:488
.LBB127_16:
	s_or_b64 exec, exec, s[10:11]
	buffer_load_dword v130, off, s[0:3], 0 offset:480
	buffer_load_dword v131, off, s[0:3], 0 offset:484
	v_cmp_lt_u32_e64 s[4:5], 60, v0
	s_waitcnt vmcnt(0)
	ds_write_b64 v132, v[130:131]
	s_waitcnt lgkmcnt(0)
	; wave barrier
	s_waitcnt lgkmcnt(0)
	s_and_saveexec_b64 s[10:11], s[4:5]
	s_cbranch_execz .LBB127_26
; %bb.17:
	s_andn2_b64 vcc, exec, s[8:9]
	s_cbranch_vccnz .LBB127_19
; %bb.18:
	buffer_load_dword v130, v133, s[0:3], 0 offen
	buffer_load_dword v131, v133, s[0:3], 0 offen offset:4
	ds_read_b64 v[196:197], v132
	s_waitcnt vmcnt(0) lgkmcnt(0)
	v_mul_f64 v[130:131], v[130:131], v[196:197]
	s_cbranch_execz .LBB127_20
	s_branch .LBB127_21
.LBB127_19:
                                        ; implicit-def: $vgpr130_vgpr131
.LBB127_20:
	ds_read_b64 v[130:131], v132
.LBB127_21:
	s_and_saveexec_b64 s[12:13], s[6:7]
	s_cbranch_execz .LBB127_25
; %bb.22:
	v_subrev_u32_e32 v195, 61, v0
	s_movk_i32 s14, 0x3e8
	s_mov_b64 s[6:7], 0
.LBB127_23:                             ; =>This Inner Loop Header: Depth=1
	buffer_load_dword v196, v194, s[0:3], 0 offen
	buffer_load_dword v197, v194, s[0:3], 0 offen offset:4
	v_mov_b32_e32 v198, s14
	ds_read_b64 v[198:199], v198
	v_add_u32_e32 v195, -1, v195
	s_add_i32 s14, s14, 8
	v_cmp_eq_u32_e32 vcc, 0, v195
	v_add_u32_e32 v194, 8, v194
	s_or_b64 s[6:7], vcc, s[6:7]
	s_waitcnt vmcnt(0) lgkmcnt(0)
	v_fmac_f64_e32 v[130:131], v[196:197], v[198:199]
	s_andn2_b64 exec, exec, s[6:7]
	s_cbranch_execnz .LBB127_23
; %bb.24:
	s_or_b64 exec, exec, s[6:7]
.LBB127_25:
	s_or_b64 exec, exec, s[12:13]
	v_mov_b32_e32 v194, 0
	ds_read_b64 v[194:195], v194 offset:480
	s_waitcnt lgkmcnt(0)
	v_mul_f64 v[130:131], v[130:131], v[194:195]
	buffer_store_dword v131, off, s[0:3], 0 offset:484
	buffer_store_dword v130, off, s[0:3], 0 offset:480
.LBB127_26:
	s_or_b64 exec, exec, s[10:11]
	buffer_load_dword v130, off, s[0:3], 0 offset:472
	buffer_load_dword v131, off, s[0:3], 0 offset:476
	v_cmp_lt_u32_e64 s[6:7], 59, v0
	s_waitcnt vmcnt(0)
	ds_write_b64 v132, v[130:131]
	s_waitcnt lgkmcnt(0)
	; wave barrier
	s_waitcnt lgkmcnt(0)
	s_and_saveexec_b64 s[10:11], s[6:7]
	s_cbranch_execz .LBB127_36
; %bb.27:
	s_andn2_b64 vcc, exec, s[8:9]
	s_cbranch_vccnz .LBB127_29
; %bb.28:
	buffer_load_dword v130, v133, s[0:3], 0 offen
	buffer_load_dword v131, v133, s[0:3], 0 offen offset:4
	ds_read_b64 v[194:195], v132
	s_waitcnt vmcnt(0) lgkmcnt(0)
	v_mul_f64 v[130:131], v[130:131], v[194:195]
	s_cbranch_execz .LBB127_30
	s_branch .LBB127_31
.LBB127_29:
                                        ; implicit-def: $vgpr130_vgpr131
.LBB127_30:
	ds_read_b64 v[130:131], v132
.LBB127_31:
	s_and_saveexec_b64 s[12:13], s[4:5]
	s_cbranch_execz .LBB127_35
; %bb.32:
	v_subrev_u32_e32 v194, 60, v0
	s_movk_i32 s14, 0x3e0
	s_mov_b64 s[4:5], 0
.LBB127_33:                             ; =>This Inner Loop Header: Depth=1
	buffer_load_dword v196, v193, s[0:3], 0 offen
	buffer_load_dword v197, v193, s[0:3], 0 offen offset:4
	v_mov_b32_e32 v195, s14
	ds_read_b64 v[198:199], v195
	v_add_u32_e32 v194, -1, v194
	s_add_i32 s14, s14, 8
	v_cmp_eq_u32_e32 vcc, 0, v194
	v_add_u32_e32 v193, 8, v193
	s_or_b64 s[4:5], vcc, s[4:5]
	s_waitcnt vmcnt(0) lgkmcnt(0)
	v_fmac_f64_e32 v[130:131], v[196:197], v[198:199]
	s_andn2_b64 exec, exec, s[4:5]
	s_cbranch_execnz .LBB127_33
; %bb.34:
	s_or_b64 exec, exec, s[4:5]
.LBB127_35:
	s_or_b64 exec, exec, s[12:13]
	v_mov_b32_e32 v193, 0
	ds_read_b64 v[194:195], v193 offset:472
	s_waitcnt lgkmcnt(0)
	v_mul_f64 v[130:131], v[130:131], v[194:195]
	buffer_store_dword v131, off, s[0:3], 0 offset:476
	buffer_store_dword v130, off, s[0:3], 0 offset:472
.LBB127_36:
	;; [unrolled: 58-line block ×8, first 2 shown]
	s_or_b64 exec, exec, s[10:11]
	buffer_load_dword v130, off, s[0:3], 0 offset:416
	buffer_load_dword v131, off, s[0:3], 0 offset:420
	v_cmp_lt_u32_e64 s[4:5], 52, v0
	s_waitcnt vmcnt(0)
	ds_write_b64 v132, v[130:131]
	s_waitcnt lgkmcnt(0)
	; wave barrier
	s_waitcnt lgkmcnt(0)
	s_and_saveexec_b64 s[10:11], s[4:5]
	s_cbranch_execz .LBB127_106
; %bb.97:
	s_andn2_b64 vcc, exec, s[8:9]
	s_cbranch_vccnz .LBB127_99
; %bb.98:
	buffer_load_dword v130, v133, s[0:3], 0 offen
	buffer_load_dword v131, v133, s[0:3], 0 offen offset:4
	ds_read_b64 v[188:189], v132
	s_waitcnt vmcnt(0) lgkmcnt(0)
	v_mul_f64 v[130:131], v[130:131], v[188:189]
	s_cbranch_execz .LBB127_100
	s_branch .LBB127_101
.LBB127_99:
                                        ; implicit-def: $vgpr130_vgpr131
.LBB127_100:
	ds_read_b64 v[130:131], v132
.LBB127_101:
	s_and_saveexec_b64 s[12:13], s[6:7]
	s_cbranch_execz .LBB127_105
; %bb.102:
	v_subrev_u32_e32 v187, 53, v0
	s_movk_i32 s14, 0x3a8
	s_mov_b64 s[6:7], 0
.LBB127_103:                            ; =>This Inner Loop Header: Depth=1
	buffer_load_dword v188, v186, s[0:3], 0 offen
	buffer_load_dword v189, v186, s[0:3], 0 offen offset:4
	v_mov_b32_e32 v190, s14
	ds_read_b64 v[190:191], v190
	v_add_u32_e32 v187, -1, v187
	s_add_i32 s14, s14, 8
	v_cmp_eq_u32_e32 vcc, 0, v187
	v_add_u32_e32 v186, 8, v186
	s_or_b64 s[6:7], vcc, s[6:7]
	s_waitcnt vmcnt(0) lgkmcnt(0)
	v_fmac_f64_e32 v[130:131], v[188:189], v[190:191]
	s_andn2_b64 exec, exec, s[6:7]
	s_cbranch_execnz .LBB127_103
; %bb.104:
	s_or_b64 exec, exec, s[6:7]
.LBB127_105:
	s_or_b64 exec, exec, s[12:13]
	v_mov_b32_e32 v186, 0
	ds_read_b64 v[186:187], v186 offset:416
	s_waitcnt lgkmcnt(0)
	v_mul_f64 v[130:131], v[130:131], v[186:187]
	buffer_store_dword v131, off, s[0:3], 0 offset:420
	buffer_store_dword v130, off, s[0:3], 0 offset:416
.LBB127_106:
	s_or_b64 exec, exec, s[10:11]
	buffer_load_dword v130, off, s[0:3], 0 offset:408
	buffer_load_dword v131, off, s[0:3], 0 offset:412
	v_cmp_lt_u32_e64 s[6:7], 51, v0
	s_waitcnt vmcnt(0)
	ds_write_b64 v132, v[130:131]
	s_waitcnt lgkmcnt(0)
	; wave barrier
	s_waitcnt lgkmcnt(0)
	s_and_saveexec_b64 s[10:11], s[6:7]
	s_cbranch_execz .LBB127_116
; %bb.107:
	s_andn2_b64 vcc, exec, s[8:9]
	s_cbranch_vccnz .LBB127_109
; %bb.108:
	buffer_load_dword v130, v133, s[0:3], 0 offen
	buffer_load_dword v131, v133, s[0:3], 0 offen offset:4
	ds_read_b64 v[186:187], v132
	s_waitcnt vmcnt(0) lgkmcnt(0)
	v_mul_f64 v[130:131], v[130:131], v[186:187]
	s_cbranch_execz .LBB127_110
	s_branch .LBB127_111
.LBB127_109:
                                        ; implicit-def: $vgpr130_vgpr131
.LBB127_110:
	ds_read_b64 v[130:131], v132
.LBB127_111:
	s_and_saveexec_b64 s[12:13], s[4:5]
	s_cbranch_execz .LBB127_115
; %bb.112:
	v_subrev_u32_e32 v186, 52, v0
	s_movk_i32 s14, 0x3a0
	s_mov_b64 s[4:5], 0
.LBB127_113:                            ; =>This Inner Loop Header: Depth=1
	buffer_load_dword v188, v185, s[0:3], 0 offen
	buffer_load_dword v189, v185, s[0:3], 0 offen offset:4
	v_mov_b32_e32 v187, s14
	ds_read_b64 v[190:191], v187
	v_add_u32_e32 v186, -1, v186
	s_add_i32 s14, s14, 8
	v_cmp_eq_u32_e32 vcc, 0, v186
	v_add_u32_e32 v185, 8, v185
	s_or_b64 s[4:5], vcc, s[4:5]
	s_waitcnt vmcnt(0) lgkmcnt(0)
	v_fmac_f64_e32 v[130:131], v[188:189], v[190:191]
	s_andn2_b64 exec, exec, s[4:5]
	s_cbranch_execnz .LBB127_113
; %bb.114:
	s_or_b64 exec, exec, s[4:5]
.LBB127_115:
	s_or_b64 exec, exec, s[12:13]
	v_mov_b32_e32 v185, 0
	ds_read_b64 v[186:187], v185 offset:408
	s_waitcnt lgkmcnt(0)
	v_mul_f64 v[130:131], v[130:131], v[186:187]
	buffer_store_dword v131, off, s[0:3], 0 offset:412
	buffer_store_dword v130, off, s[0:3], 0 offset:408
.LBB127_116:
	;; [unrolled: 58-line block ×37, first 2 shown]
	s_or_b64 exec, exec, s[10:11]
	buffer_load_dword v130, off, s[0:3], 0 offset:120
	buffer_load_dword v131, off, s[0:3], 0 offset:124
	v_cmp_lt_u32_e64 s[6:7], 15, v0
	s_waitcnt vmcnt(0)
	ds_write_b64 v132, v[130:131]
	s_waitcnt lgkmcnt(0)
	; wave barrier
	s_waitcnt lgkmcnt(0)
	s_and_saveexec_b64 s[10:11], s[6:7]
	s_cbranch_execz .LBB127_476
; %bb.467:
	s_andn2_b64 vcc, exec, s[8:9]
	s_cbranch_vccnz .LBB127_469
; %bb.468:
	buffer_load_dword v130, v133, s[0:3], 0 offen
	buffer_load_dword v131, v133, s[0:3], 0 offen offset:4
	ds_read_b64 v[150:151], v132
	s_waitcnt vmcnt(0) lgkmcnt(0)
	v_mul_f64 v[130:131], v[130:131], v[150:151]
	s_cbranch_execz .LBB127_470
	s_branch .LBB127_471
.LBB127_469:
                                        ; implicit-def: $vgpr130_vgpr131
.LBB127_470:
	ds_read_b64 v[130:131], v132
.LBB127_471:
	s_and_saveexec_b64 s[12:13], s[4:5]
	s_cbranch_execz .LBB127_475
; %bb.472:
	v_add_u32_e32 v150, -16, v0
	s_movk_i32 s14, 0x280
	s_mov_b64 s[4:5], 0
.LBB127_473:                            ; =>This Inner Loop Header: Depth=1
	buffer_load_dword v152, v149, s[0:3], 0 offen
	buffer_load_dword v153, v149, s[0:3], 0 offen offset:4
	v_mov_b32_e32 v151, s14
	ds_read_b64 v[154:155], v151
	v_add_u32_e32 v150, -1, v150
	s_add_i32 s14, s14, 8
	v_cmp_eq_u32_e32 vcc, 0, v150
	v_add_u32_e32 v149, 8, v149
	s_or_b64 s[4:5], vcc, s[4:5]
	s_waitcnt vmcnt(0) lgkmcnt(0)
	v_fmac_f64_e32 v[130:131], v[152:153], v[154:155]
	s_andn2_b64 exec, exec, s[4:5]
	s_cbranch_execnz .LBB127_473
; %bb.474:
	s_or_b64 exec, exec, s[4:5]
.LBB127_475:
	s_or_b64 exec, exec, s[12:13]
	v_mov_b32_e32 v149, 0
	ds_read_b64 v[150:151], v149 offset:120
	s_waitcnt lgkmcnt(0)
	v_mul_f64 v[130:131], v[130:131], v[150:151]
	buffer_store_dword v131, off, s[0:3], 0 offset:124
	buffer_store_dword v130, off, s[0:3], 0 offset:120
.LBB127_476:
	s_or_b64 exec, exec, s[10:11]
	buffer_load_dword v130, off, s[0:3], 0 offset:112
	buffer_load_dword v131, off, s[0:3], 0 offset:116
	v_cmp_lt_u32_e64 s[4:5], 14, v0
	s_waitcnt vmcnt(0)
	ds_write_b64 v132, v[130:131]
	s_waitcnt lgkmcnt(0)
	; wave barrier
	s_waitcnt lgkmcnt(0)
	s_and_saveexec_b64 s[10:11], s[4:5]
	s_cbranch_execz .LBB127_486
; %bb.477:
	s_andn2_b64 vcc, exec, s[8:9]
	s_cbranch_vccnz .LBB127_479
; %bb.478:
	buffer_load_dword v130, v133, s[0:3], 0 offen
	buffer_load_dword v131, v133, s[0:3], 0 offen offset:4
	ds_read_b64 v[150:151], v132
	s_waitcnt vmcnt(0) lgkmcnt(0)
	v_mul_f64 v[130:131], v[130:131], v[150:151]
	s_cbranch_execz .LBB127_480
	s_branch .LBB127_481
.LBB127_479:
                                        ; implicit-def: $vgpr130_vgpr131
.LBB127_480:
	ds_read_b64 v[130:131], v132
.LBB127_481:
	s_and_saveexec_b64 s[12:13], s[6:7]
	s_cbranch_execz .LBB127_485
; %bb.482:
	v_add_u32_e32 v149, -15, v0
	s_movk_i32 s14, 0x278
	s_mov_b64 s[6:7], 0
.LBB127_483:                            ; =>This Inner Loop Header: Depth=1
	buffer_load_dword v150, v148, s[0:3], 0 offen
	buffer_load_dword v151, v148, s[0:3], 0 offen offset:4
	v_mov_b32_e32 v152, s14
	ds_read_b64 v[152:153], v152
	v_add_u32_e32 v149, -1, v149
	s_add_i32 s14, s14, 8
	v_cmp_eq_u32_e32 vcc, 0, v149
	v_add_u32_e32 v148, 8, v148
	s_or_b64 s[6:7], vcc, s[6:7]
	s_waitcnt vmcnt(0) lgkmcnt(0)
	v_fmac_f64_e32 v[130:131], v[150:151], v[152:153]
	s_andn2_b64 exec, exec, s[6:7]
	s_cbranch_execnz .LBB127_483
; %bb.484:
	s_or_b64 exec, exec, s[6:7]
.LBB127_485:
	s_or_b64 exec, exec, s[12:13]
	v_mov_b32_e32 v148, 0
	ds_read_b64 v[148:149], v148 offset:112
	s_waitcnt lgkmcnt(0)
	v_mul_f64 v[130:131], v[130:131], v[148:149]
	buffer_store_dword v131, off, s[0:3], 0 offset:116
	buffer_store_dword v130, off, s[0:3], 0 offset:112
.LBB127_486:
	;; [unrolled: 58-line block ×15, first 2 shown]
	s_or_b64 exec, exec, s[10:11]
	buffer_load_dword v130, off, s[0:3], 0
	buffer_load_dword v131, off, s[0:3], 0 offset:4
	v_cmp_ne_u32_e32 vcc, 0, v0
	s_waitcnt vmcnt(0)
	ds_write_b64 v132, v[130:131]
	s_waitcnt lgkmcnt(0)
	; wave barrier
	s_waitcnt lgkmcnt(0)
	s_and_saveexec_b64 s[4:5], vcc
	s_cbranch_execz .LBB127_626
; %bb.617:
	s_andn2_b64 vcc, exec, s[8:9]
	s_cbranch_vccnz .LBB127_619
; %bb.618:
	buffer_load_dword v130, v133, s[0:3], 0 offen
	buffer_load_dword v131, v133, s[0:3], 0 offen offset:4
	ds_read_b64 v[136:137], v132
	s_waitcnt vmcnt(0) lgkmcnt(0)
	v_mul_f64 v[130:131], v[130:131], v[136:137]
	s_cbranch_execz .LBB127_620
	s_branch .LBB127_621
.LBB127_619:
                                        ; implicit-def: $vgpr130_vgpr131
.LBB127_620:
	ds_read_b64 v[130:131], v132
.LBB127_621:
	s_and_saveexec_b64 s[10:11], s[6:7]
	s_cbranch_execz .LBB127_625
; %bb.622:
	v_add_u32_e32 v135, -1, v0
	s_movk_i32 s12, 0x208
	s_mov_b64 s[6:7], 0
.LBB127_623:                            ; =>This Inner Loop Header: Depth=1
	buffer_load_dword v136, v134, s[0:3], 0 offen
	buffer_load_dword v137, v134, s[0:3], 0 offen offset:4
	v_mov_b32_e32 v138, s12
	ds_read_b64 v[138:139], v138
	v_add_u32_e32 v135, -1, v135
	s_add_i32 s12, s12, 8
	v_cmp_eq_u32_e32 vcc, 0, v135
	v_add_u32_e32 v134, 8, v134
	s_or_b64 s[6:7], vcc, s[6:7]
	s_waitcnt vmcnt(0) lgkmcnt(0)
	v_fmac_f64_e32 v[130:131], v[136:137], v[138:139]
	s_andn2_b64 exec, exec, s[6:7]
	s_cbranch_execnz .LBB127_623
; %bb.624:
	s_or_b64 exec, exec, s[6:7]
.LBB127_625:
	s_or_b64 exec, exec, s[10:11]
	v_mov_b32_e32 v134, 0
	ds_read_b64 v[134:135], v134
	s_waitcnt lgkmcnt(0)
	v_mul_f64 v[130:131], v[130:131], v[134:135]
	buffer_store_dword v131, off, s[0:3], 0 offset:4
	buffer_store_dword v130, off, s[0:3], 0
.LBB127_626:
	s_or_b64 exec, exec, s[4:5]
	s_mov_b64 s[4:5], 0
.LBB127_627:
	s_and_b64 vcc, exec, s[4:5]
	s_cbranch_vccz .LBB127_1251
; %bb.628:
	buffer_load_dword v130, off, s[0:3], 0 offset:8
	buffer_load_dword v131, off, s[0:3], 0 offset:12
	v_cmp_eq_u32_e64 s[6:7], 0, v0
	s_waitcnt vmcnt(0)
	ds_write_b64 v132, v[130:131]
	s_waitcnt lgkmcnt(0)
	; wave barrier
	s_waitcnt lgkmcnt(0)
	s_and_saveexec_b64 s[4:5], s[6:7]
	s_cbranch_execz .LBB127_634
; %bb.629:
	s_and_b64 vcc, exec, s[8:9]
	s_cbranch_vccz .LBB127_631
; %bb.630:
	buffer_load_dword v130, v133, s[0:3], 0 offen
	buffer_load_dword v131, v133, s[0:3], 0 offen offset:4
	ds_read_b64 v[134:135], v132
	s_waitcnt vmcnt(0) lgkmcnt(0)
	v_mul_f64 v[130:131], v[130:131], v[134:135]
	s_cbranch_execz .LBB127_632
	s_branch .LBB127_633
.LBB127_631:
                                        ; implicit-def: $vgpr130_vgpr131
.LBB127_632:
	ds_read_b64 v[130:131], v132
.LBB127_633:
	v_mov_b32_e32 v134, 0
	ds_read_b64 v[134:135], v134 offset:8
	s_waitcnt lgkmcnt(0)
	v_mul_f64 v[130:131], v[130:131], v[134:135]
	buffer_store_dword v131, off, s[0:3], 0 offset:12
	buffer_store_dword v130, off, s[0:3], 0 offset:8
.LBB127_634:
	s_or_b64 exec, exec, s[4:5]
	buffer_load_dword v130, off, s[0:3], 0 offset:16
	buffer_load_dword v131, off, s[0:3], 0 offset:20
	v_cndmask_b32_e64 v134, 0, 1, s[8:9]
	v_cmp_gt_u32_e32 vcc, 2, v0
	v_cmp_ne_u32_e64 s[4:5], 1, v134
	s_waitcnt vmcnt(0)
	ds_write_b64 v132, v[130:131]
	s_waitcnt lgkmcnt(0)
	; wave barrier
	s_waitcnt lgkmcnt(0)
	s_and_saveexec_b64 s[8:9], vcc
	s_cbranch_execz .LBB127_642
; %bb.635:
	s_and_b64 vcc, exec, s[4:5]
	s_cbranch_vccnz .LBB127_637
; %bb.636:
	buffer_load_dword v130, v133, s[0:3], 0 offen
	buffer_load_dword v131, v133, s[0:3], 0 offen offset:4
	ds_read_b64 v[134:135], v132
	s_waitcnt vmcnt(0) lgkmcnt(0)
	v_mul_f64 v[130:131], v[130:131], v[134:135]
	s_cbranch_execz .LBB127_638
	s_branch .LBB127_639
.LBB127_637:
                                        ; implicit-def: $vgpr130_vgpr131
.LBB127_638:
	ds_read_b64 v[130:131], v132
.LBB127_639:
	s_and_saveexec_b64 s[10:11], s[6:7]
	s_cbranch_execz .LBB127_641
; %bb.640:
	buffer_load_dword v134, v133, s[0:3], 0 offen offset:8
	buffer_load_dword v135, v133, s[0:3], 0 offen offset:12
	ds_read_b64 v[136:137], v132 offset:8
	s_waitcnt vmcnt(0) lgkmcnt(0)
	v_fmac_f64_e32 v[130:131], v[134:135], v[136:137]
.LBB127_641:
	s_or_b64 exec, exec, s[10:11]
	v_mov_b32_e32 v134, 0
	ds_read_b64 v[134:135], v134 offset:16
	s_waitcnt lgkmcnt(0)
	v_mul_f64 v[130:131], v[130:131], v[134:135]
	buffer_store_dword v131, off, s[0:3], 0 offset:20
	buffer_store_dword v130, off, s[0:3], 0 offset:16
.LBB127_642:
	s_or_b64 exec, exec, s[8:9]
	buffer_load_dword v130, off, s[0:3], 0 offset:24
	buffer_load_dword v131, off, s[0:3], 0 offset:28
	v_cmp_gt_u32_e32 vcc, 3, v0
	s_waitcnt vmcnt(0)
	ds_write_b64 v132, v[130:131]
	s_waitcnt lgkmcnt(0)
	; wave barrier
	s_waitcnt lgkmcnt(0)
	s_and_saveexec_b64 s[8:9], vcc
	s_cbranch_execz .LBB127_650
; %bb.643:
	s_and_b64 vcc, exec, s[4:5]
	s_cbranch_vccnz .LBB127_645
; %bb.644:
	buffer_load_dword v130, v133, s[0:3], 0 offen
	buffer_load_dword v131, v133, s[0:3], 0 offen offset:4
	ds_read_b64 v[134:135], v132
	s_waitcnt vmcnt(0) lgkmcnt(0)
	v_mul_f64 v[130:131], v[130:131], v[134:135]
	s_cbranch_execz .LBB127_646
	s_branch .LBB127_647
.LBB127_645:
                                        ; implicit-def: $vgpr130_vgpr131
.LBB127_646:
	ds_read_b64 v[130:131], v132
.LBB127_647:
	v_cmp_ne_u32_e32 vcc, 2, v0
	s_and_saveexec_b64 s[10:11], vcc
	s_cbranch_execz .LBB127_649
; %bb.648:
	buffer_load_dword v135, v133, s[0:3], 0 offen offset:12
	buffer_load_dword v136, off, s[0:3], 0 offset:16
	buffer_load_dword v134, v133, s[0:3], 0 offen offset:8
	buffer_load_dword v137, off, s[0:3], 0 offset:20
	v_mov_b32_e32 v140, 0
	ds_read_b64 v[138:139], v132 offset:8
	ds_read_b64 v[140:141], v140 offset:528
	s_waitcnt vmcnt(1) lgkmcnt(1)
	v_fmac_f64_e32 v[130:131], v[134:135], v[138:139]
	s_waitcnt vmcnt(0) lgkmcnt(0)
	v_fma_f64 v[134:135], v[136:137], v[140:141], v[130:131]
	v_cndmask_b32_e64 v131, v131, v135, s[6:7]
	v_cndmask_b32_e64 v130, v130, v134, s[6:7]
.LBB127_649:
	s_or_b64 exec, exec, s[10:11]
	v_mov_b32_e32 v134, 0
	ds_read_b64 v[134:135], v134 offset:24
	s_waitcnt lgkmcnt(0)
	v_mul_f64 v[130:131], v[130:131], v[134:135]
	buffer_store_dword v131, off, s[0:3], 0 offset:28
	buffer_store_dword v130, off, s[0:3], 0 offset:24
.LBB127_650:
	s_or_b64 exec, exec, s[8:9]
	buffer_load_dword v130, off, s[0:3], 0 offset:32
	buffer_load_dword v131, off, s[0:3], 0 offset:36
	v_cmp_gt_u32_e32 vcc, 4, v0
	s_waitcnt vmcnt(0)
	ds_write_b64 v132, v[130:131]
	s_waitcnt lgkmcnt(0)
	; wave barrier
	s_waitcnt lgkmcnt(0)
	s_and_saveexec_b64 s[6:7], vcc
	s_cbranch_execz .LBB127_660
; %bb.651:
	s_and_b64 vcc, exec, s[4:5]
	s_cbranch_vccnz .LBB127_653
; %bb.652:
	buffer_load_dword v130, v133, s[0:3], 0 offen
	buffer_load_dword v131, v133, s[0:3], 0 offen offset:4
	ds_read_b64 v[134:135], v132
	s_waitcnt vmcnt(0) lgkmcnt(0)
	v_mul_f64 v[130:131], v[130:131], v[134:135]
	s_cbranch_execz .LBB127_654
	s_branch .LBB127_655
.LBB127_653:
                                        ; implicit-def: $vgpr130_vgpr131
.LBB127_654:
	ds_read_b64 v[130:131], v132
.LBB127_655:
	v_cmp_ne_u32_e32 vcc, 3, v0
	s_and_saveexec_b64 s[8:9], vcc
	s_cbranch_execz .LBB127_659
; %bb.656:
	v_mov_b32_e32 v135, 0
	v_add_u32_e32 v134, 0x208, v1
	v_add3_u32 v135, v1, v135, 8
	s_mov_b64 s[10:11], 0
	v_mov_b32_e32 v136, v0
.LBB127_657:                            ; =>This Inner Loop Header: Depth=1
	buffer_load_dword v138, v135, s[0:3], 0 offen
	buffer_load_dword v139, v135, s[0:3], 0 offen offset:4
	ds_read_b64 v[140:141], v134
	v_add_u32_e32 v136, 1, v136
	v_cmp_lt_u32_e32 vcc, 2, v136
	v_add_u32_e32 v134, 8, v134
	v_add_u32_e32 v135, 8, v135
	s_or_b64 s[10:11], vcc, s[10:11]
	s_waitcnt vmcnt(0) lgkmcnt(0)
	v_fmac_f64_e32 v[130:131], v[138:139], v[140:141]
	s_andn2_b64 exec, exec, s[10:11]
	s_cbranch_execnz .LBB127_657
; %bb.658:
	s_or_b64 exec, exec, s[10:11]
.LBB127_659:
	s_or_b64 exec, exec, s[8:9]
	v_mov_b32_e32 v134, 0
	ds_read_b64 v[134:135], v134 offset:32
	s_waitcnt lgkmcnt(0)
	v_mul_f64 v[130:131], v[130:131], v[134:135]
	buffer_store_dword v131, off, s[0:3], 0 offset:36
	buffer_store_dword v130, off, s[0:3], 0 offset:32
.LBB127_660:
	s_or_b64 exec, exec, s[6:7]
	buffer_load_dword v130, off, s[0:3], 0 offset:40
	buffer_load_dword v131, off, s[0:3], 0 offset:44
	v_cmp_gt_u32_e32 vcc, 5, v0
	s_waitcnt vmcnt(0)
	ds_write_b64 v132, v[130:131]
	s_waitcnt lgkmcnt(0)
	; wave barrier
	s_waitcnt lgkmcnt(0)
	s_and_saveexec_b64 s[6:7], vcc
	s_cbranch_execz .LBB127_670
; %bb.661:
	s_and_b64 vcc, exec, s[4:5]
	s_cbranch_vccnz .LBB127_663
; %bb.662:
	buffer_load_dword v130, v133, s[0:3], 0 offen
	buffer_load_dword v131, v133, s[0:3], 0 offen offset:4
	ds_read_b64 v[134:135], v132
	s_waitcnt vmcnt(0) lgkmcnt(0)
	v_mul_f64 v[130:131], v[130:131], v[134:135]
	s_cbranch_execz .LBB127_664
	s_branch .LBB127_665
.LBB127_663:
                                        ; implicit-def: $vgpr130_vgpr131
.LBB127_664:
	ds_read_b64 v[130:131], v132
.LBB127_665:
	v_cmp_ne_u32_e32 vcc, 4, v0
	s_and_saveexec_b64 s[8:9], vcc
	s_cbranch_execz .LBB127_669
; %bb.666:
	v_mov_b32_e32 v135, 0
	v_add_u32_e32 v134, 0x208, v1
	v_add3_u32 v135, v1, v135, 8
	s_mov_b64 s[10:11], 0
	v_mov_b32_e32 v136, v0
.LBB127_667:                            ; =>This Inner Loop Header: Depth=1
	buffer_load_dword v138, v135, s[0:3], 0 offen
	buffer_load_dword v139, v135, s[0:3], 0 offen offset:4
	ds_read_b64 v[140:141], v134
	v_add_u32_e32 v136, 1, v136
	v_cmp_lt_u32_e32 vcc, 3, v136
	v_add_u32_e32 v134, 8, v134
	v_add_u32_e32 v135, 8, v135
	s_or_b64 s[10:11], vcc, s[10:11]
	s_waitcnt vmcnt(0) lgkmcnt(0)
	v_fmac_f64_e32 v[130:131], v[138:139], v[140:141]
	s_andn2_b64 exec, exec, s[10:11]
	s_cbranch_execnz .LBB127_667
; %bb.668:
	s_or_b64 exec, exec, s[10:11]
.LBB127_669:
	s_or_b64 exec, exec, s[8:9]
	v_mov_b32_e32 v134, 0
	ds_read_b64 v[134:135], v134 offset:40
	s_waitcnt lgkmcnt(0)
	v_mul_f64 v[130:131], v[130:131], v[134:135]
	buffer_store_dword v131, off, s[0:3], 0 offset:44
	buffer_store_dword v130, off, s[0:3], 0 offset:40
.LBB127_670:
	;; [unrolled: 60-line block ×35, first 2 shown]
	s_or_b64 exec, exec, s[6:7]
	buffer_load_dword v130, off, s[0:3], 0 offset:312
	buffer_load_dword v131, off, s[0:3], 0 offset:316
	v_cmp_gt_u32_e32 vcc, 39, v0
	s_waitcnt vmcnt(0)
	ds_write_b64 v132, v[130:131]
	s_waitcnt lgkmcnt(0)
	; wave barrier
	s_waitcnt lgkmcnt(0)
	s_and_saveexec_b64 s[6:7], vcc
	s_cbranch_execz .LBB127_1010
; %bb.1001:
	s_and_b64 vcc, exec, s[4:5]
	s_cbranch_vccnz .LBB127_1003
; %bb.1002:
	buffer_load_dword v130, v133, s[0:3], 0 offen
	buffer_load_dword v131, v133, s[0:3], 0 offen offset:4
	ds_read_b64 v[134:135], v132
	s_waitcnt vmcnt(0) lgkmcnt(0)
	v_mul_f64 v[130:131], v[130:131], v[134:135]
	s_cbranch_execz .LBB127_1004
	s_branch .LBB127_1005
.LBB127_1003:
                                        ; implicit-def: $vgpr130_vgpr131
.LBB127_1004:
	ds_read_b64 v[130:131], v132
.LBB127_1005:
	v_cmp_ne_u32_e32 vcc, 38, v0
	s_and_saveexec_b64 s[8:9], vcc
	s_cbranch_execz .LBB127_1009
; %bb.1006:
	v_mov_b32_e32 v135, 0
	v_add_u32_e32 v134, 0x208, v1
	v_add3_u32 v135, v1, v135, 8
	s_mov_b64 s[10:11], 0
	v_mov_b32_e32 v136, v0
.LBB127_1007:                           ; =>This Inner Loop Header: Depth=1
	buffer_load_dword v138, v135, s[0:3], 0 offen
	buffer_load_dword v139, v135, s[0:3], 0 offen offset:4
	ds_read_b64 v[140:141], v134
	v_add_u32_e32 v136, 1, v136
	v_cmp_lt_u32_e32 vcc, 37, v136
	v_add_u32_e32 v134, 8, v134
	v_add_u32_e32 v135, 8, v135
	s_or_b64 s[10:11], vcc, s[10:11]
	s_waitcnt vmcnt(0) lgkmcnt(0)
	v_fmac_f64_e32 v[130:131], v[138:139], v[140:141]
	s_andn2_b64 exec, exec, s[10:11]
	s_cbranch_execnz .LBB127_1007
; %bb.1008:
	s_or_b64 exec, exec, s[10:11]
.LBB127_1009:
	s_or_b64 exec, exec, s[8:9]
	v_mov_b32_e32 v134, 0
	ds_read_b64 v[134:135], v134 offset:312
	s_waitcnt lgkmcnt(0)
	v_mul_f64 v[130:131], v[130:131], v[134:135]
	buffer_store_dword v131, off, s[0:3], 0 offset:316
	buffer_store_dword v130, off, s[0:3], 0 offset:312
.LBB127_1010:
	s_or_b64 exec, exec, s[6:7]
	buffer_load_dword v130, off, s[0:3], 0 offset:320
	buffer_load_dword v131, off, s[0:3], 0 offset:324
	v_cmp_gt_u32_e32 vcc, 40, v0
	s_waitcnt vmcnt(0)
	ds_write_b64 v132, v[130:131]
	s_waitcnt lgkmcnt(0)
	; wave barrier
	s_waitcnt lgkmcnt(0)
	s_and_saveexec_b64 s[6:7], vcc
	s_cbranch_execz .LBB127_1020
; %bb.1011:
	s_and_b64 vcc, exec, s[4:5]
	s_cbranch_vccnz .LBB127_1013
; %bb.1012:
	buffer_load_dword v130, v133, s[0:3], 0 offen
	buffer_load_dword v131, v133, s[0:3], 0 offen offset:4
	ds_read_b64 v[134:135], v132
	s_waitcnt vmcnt(0) lgkmcnt(0)
	v_mul_f64 v[130:131], v[130:131], v[134:135]
	s_cbranch_execz .LBB127_1014
	s_branch .LBB127_1015
.LBB127_1013:
                                        ; implicit-def: $vgpr130_vgpr131
.LBB127_1014:
	ds_read_b64 v[130:131], v132
.LBB127_1015:
	v_cmp_ne_u32_e32 vcc, 39, v0
	s_and_saveexec_b64 s[8:9], vcc
	s_cbranch_execz .LBB127_1019
; %bb.1016:
	v_mov_b32_e32 v135, 0
	v_add_u32_e32 v134, 0x208, v1
	v_add3_u32 v135, v1, v135, 8
	s_mov_b64 s[10:11], 0
	v_mov_b32_e32 v136, v0
.LBB127_1017:                           ; =>This Inner Loop Header: Depth=1
	buffer_load_dword v138, v135, s[0:3], 0 offen
	buffer_load_dword v139, v135, s[0:3], 0 offen offset:4
	ds_read_b64 v[140:141], v134
	v_add_u32_e32 v136, 1, v136
	v_cmp_lt_u32_e32 vcc, 38, v136
	v_add_u32_e32 v134, 8, v134
	v_add_u32_e32 v135, 8, v135
	s_or_b64 s[10:11], vcc, s[10:11]
	s_waitcnt vmcnt(0) lgkmcnt(0)
	v_fmac_f64_e32 v[130:131], v[138:139], v[140:141]
	s_andn2_b64 exec, exec, s[10:11]
	s_cbranch_execnz .LBB127_1017
; %bb.1018:
	s_or_b64 exec, exec, s[10:11]
.LBB127_1019:
	s_or_b64 exec, exec, s[8:9]
	v_mov_b32_e32 v134, 0
	ds_read_b64 v[134:135], v134 offset:320
	s_waitcnt lgkmcnt(0)
	v_mul_f64 v[130:131], v[130:131], v[134:135]
	buffer_store_dword v131, off, s[0:3], 0 offset:324
	buffer_store_dword v130, off, s[0:3], 0 offset:320
.LBB127_1020:
	;; [unrolled: 60-line block ×23, first 2 shown]
	s_or_b64 exec, exec, s[6:7]
	buffer_load_dword v130, off, s[0:3], 0 offset:496
	buffer_load_dword v131, off, s[0:3], 0 offset:500
	v_cmp_gt_u32_e64 s[6:7], 62, v0
	s_waitcnt vmcnt(0)
	ds_write_b64 v132, v[130:131]
	s_waitcnt lgkmcnt(0)
	; wave barrier
	s_waitcnt lgkmcnt(0)
	s_and_saveexec_b64 s[8:9], s[6:7]
	s_cbranch_execz .LBB127_1240
; %bb.1231:
	s_and_b64 vcc, exec, s[4:5]
	s_cbranch_vccnz .LBB127_1233
; %bb.1232:
	buffer_load_dword v130, v133, s[0:3], 0 offen
	buffer_load_dword v131, v133, s[0:3], 0 offen offset:4
	ds_read_b64 v[134:135], v132
	s_waitcnt vmcnt(0) lgkmcnt(0)
	v_mul_f64 v[130:131], v[130:131], v[134:135]
	s_cbranch_execz .LBB127_1234
	s_branch .LBB127_1235
.LBB127_1233:
                                        ; implicit-def: $vgpr130_vgpr131
.LBB127_1234:
	ds_read_b64 v[130:131], v132
.LBB127_1235:
	v_cmp_ne_u32_e32 vcc, 61, v0
	s_and_saveexec_b64 s[10:11], vcc
	s_cbranch_execz .LBB127_1239
; %bb.1236:
	v_mov_b32_e32 v135, 0
	v_add_u32_e32 v134, 0x208, v1
	v_add3_u32 v135, v1, v135, 8
	s_mov_b64 s[12:13], 0
	v_mov_b32_e32 v136, v0
.LBB127_1237:                           ; =>This Inner Loop Header: Depth=1
	buffer_load_dword v138, v135, s[0:3], 0 offen
	buffer_load_dword v139, v135, s[0:3], 0 offen offset:4
	ds_read_b64 v[140:141], v134
	v_add_u32_e32 v136, 1, v136
	v_cmp_lt_u32_e32 vcc, 60, v136
	v_add_u32_e32 v134, 8, v134
	v_add_u32_e32 v135, 8, v135
	s_or_b64 s[12:13], vcc, s[12:13]
	s_waitcnt vmcnt(0) lgkmcnt(0)
	v_fmac_f64_e32 v[130:131], v[138:139], v[140:141]
	s_andn2_b64 exec, exec, s[12:13]
	s_cbranch_execnz .LBB127_1237
; %bb.1238:
	s_or_b64 exec, exec, s[12:13]
.LBB127_1239:
	s_or_b64 exec, exec, s[10:11]
	v_mov_b32_e32 v134, 0
	ds_read_b64 v[134:135], v134 offset:496
	s_waitcnt lgkmcnt(0)
	v_mul_f64 v[130:131], v[130:131], v[134:135]
	buffer_store_dword v131, off, s[0:3], 0 offset:500
	buffer_store_dword v130, off, s[0:3], 0 offset:496
.LBB127_1240:
	s_or_b64 exec, exec, s[8:9]
	buffer_load_dword v130, off, s[0:3], 0 offset:504
	buffer_load_dword v131, off, s[0:3], 0 offset:508
	v_cmp_ne_u32_e32 vcc, 63, v0
	s_waitcnt vmcnt(0)
	ds_write_b64 v132, v[130:131]
	s_waitcnt lgkmcnt(0)
	; wave barrier
	s_waitcnt lgkmcnt(0)
	s_and_saveexec_b64 s[8:9], vcc
	s_cbranch_execz .LBB127_1250
; %bb.1241:
	s_and_b64 vcc, exec, s[4:5]
	s_cbranch_vccnz .LBB127_1243
; %bb.1242:
	buffer_load_dword v130, v133, s[0:3], 0 offen
	buffer_load_dword v131, v133, s[0:3], 0 offen offset:4
	ds_read_b64 v[134:135], v132
	s_waitcnt vmcnt(0) lgkmcnt(0)
	v_mul_f64 v[130:131], v[130:131], v[134:135]
	s_cbranch_execz .LBB127_1244
	s_branch .LBB127_1245
.LBB127_1243:
                                        ; implicit-def: $vgpr130_vgpr131
.LBB127_1244:
	ds_read_b64 v[130:131], v132
.LBB127_1245:
	s_and_saveexec_b64 s[4:5], s[6:7]
	s_cbranch_execz .LBB127_1249
; %bb.1246:
	v_mov_b32_e32 v133, 0
	v_add_u32_e32 v132, 0x208, v1
	v_add3_u32 v1, v1, v133, 8
	s_mov_b64 s[6:7], 0
.LBB127_1247:                           ; =>This Inner Loop Header: Depth=1
	buffer_load_dword v134, v1, s[0:3], 0 offen
	buffer_load_dword v135, v1, s[0:3], 0 offen offset:4
	ds_read_b64 v[136:137], v132
	v_add_u32_e32 v0, 1, v0
	v_cmp_lt_u32_e32 vcc, 61, v0
	v_add_u32_e32 v132, 8, v132
	v_add_u32_e32 v1, 8, v1
	s_or_b64 s[6:7], vcc, s[6:7]
	s_waitcnt vmcnt(0) lgkmcnt(0)
	v_fmac_f64_e32 v[130:131], v[134:135], v[136:137]
	s_andn2_b64 exec, exec, s[6:7]
	s_cbranch_execnz .LBB127_1247
; %bb.1248:
	s_or_b64 exec, exec, s[6:7]
.LBB127_1249:
	s_or_b64 exec, exec, s[4:5]
	v_mov_b32_e32 v0, 0
	ds_read_b64 v[0:1], v0 offset:504
	s_waitcnt lgkmcnt(0)
	v_mul_f64 v[0:1], v[130:131], v[0:1]
	buffer_store_dword v1, off, s[0:3], 0 offset:508
	buffer_store_dword v0, off, s[0:3], 0 offset:504
.LBB127_1250:
	s_or_b64 exec, exec, s[8:9]
.LBB127_1251:
	buffer_load_dword v0, off, s[0:3], 0
	buffer_load_dword v1, off, s[0:3], 0 offset:4
	buffer_load_dword v130, off, s[0:3], 0 offset:8
	;; [unrolled: 1-line block ×127, first 2 shown]
	s_waitcnt vmcnt(62)
	global_store_dwordx2 v[120:121], v[0:1], off
	global_store_dwordx2 v[122:123], v[130:131], off
	;; [unrolled: 1-line block ×33, first 2 shown]
	s_waitcnt vmcnt(62)
	global_store_dwordx2 v[64:65], v[194:195], off
	global_store_dwordx2 v[66:67], v[196:197], off
	;; [unrolled: 1-line block ×16, first 2 shown]
	s_waitcnt vmcnt(62)
	global_store_dwordx2 v[96:97], v[226:227], off
	global_store_dwordx2 v[98:99], v[228:229], off
	;; [unrolled: 1-line block ×8, first 2 shown]
	s_waitcnt vmcnt(62)
	global_store_dwordx2 v[112:113], v[242:243], off
	global_store_dwordx2 v[114:115], v[244:245], off
	;; [unrolled: 1-line block ×4, first 2 shown]
	s_waitcnt vmcnt(62)
	global_store_dwordx2 v[124:125], v[250:251], off
	global_store_dwordx2 v[126:127], v[252:253], off
	s_waitcnt vmcnt(62)
	global_store_dwordx2 v[128:129], v[254:255], off
.LBB127_1252:
	s_endpgm
	.section	.rodata,"a",@progbits
	.p2align	6, 0x0
	.amdhsa_kernel _ZN9rocsolver6v33100L18trti2_kernel_smallILi64EdPKPdEEv13rocblas_fill_17rocblas_diagonal_T1_iil
		.amdhsa_group_segment_fixed_size 1024
		.amdhsa_private_segment_fixed_size 528
		.amdhsa_kernarg_size 32
		.amdhsa_user_sgpr_count 8
		.amdhsa_user_sgpr_private_segment_buffer 1
		.amdhsa_user_sgpr_dispatch_ptr 0
		.amdhsa_user_sgpr_queue_ptr 0
		.amdhsa_user_sgpr_kernarg_segment_ptr 1
		.amdhsa_user_sgpr_dispatch_id 0
		.amdhsa_user_sgpr_flat_scratch_init 1
		.amdhsa_user_sgpr_kernarg_preload_length 0
		.amdhsa_user_sgpr_kernarg_preload_offset 0
		.amdhsa_user_sgpr_private_segment_size 0
		.amdhsa_uses_dynamic_stack 0
		.amdhsa_system_sgpr_private_segment_wavefront_offset 1
		.amdhsa_system_sgpr_workgroup_id_x 1
		.amdhsa_system_sgpr_workgroup_id_y 0
		.amdhsa_system_sgpr_workgroup_id_z 0
		.amdhsa_system_sgpr_workgroup_info 0
		.amdhsa_system_vgpr_workitem_id 0
		.amdhsa_next_free_vgpr 256
		.amdhsa_next_free_sgpr 16
		.amdhsa_accum_offset 256
		.amdhsa_reserve_vcc 1
		.amdhsa_reserve_flat_scratch 0
		.amdhsa_float_round_mode_32 0
		.amdhsa_float_round_mode_16_64 0
		.amdhsa_float_denorm_mode_32 3
		.amdhsa_float_denorm_mode_16_64 3
		.amdhsa_dx10_clamp 1
		.amdhsa_ieee_mode 1
		.amdhsa_fp16_overflow 0
		.amdhsa_tg_split 0
		.amdhsa_exception_fp_ieee_invalid_op 0
		.amdhsa_exception_fp_denorm_src 0
		.amdhsa_exception_fp_ieee_div_zero 0
		.amdhsa_exception_fp_ieee_overflow 0
		.amdhsa_exception_fp_ieee_underflow 0
		.amdhsa_exception_fp_ieee_inexact 0
		.amdhsa_exception_int_div_zero 0
	.end_amdhsa_kernel
	.section	.text._ZN9rocsolver6v33100L18trti2_kernel_smallILi64EdPKPdEEv13rocblas_fill_17rocblas_diagonal_T1_iil,"axG",@progbits,_ZN9rocsolver6v33100L18trti2_kernel_smallILi64EdPKPdEEv13rocblas_fill_17rocblas_diagonal_T1_iil,comdat
.Lfunc_end127:
	.size	_ZN9rocsolver6v33100L18trti2_kernel_smallILi64EdPKPdEEv13rocblas_fill_17rocblas_diagonal_T1_iil, .Lfunc_end127-_ZN9rocsolver6v33100L18trti2_kernel_smallILi64EdPKPdEEv13rocblas_fill_17rocblas_diagonal_T1_iil
                                        ; -- End function
	.section	.AMDGPU.csdata,"",@progbits
; Kernel info:
; codeLenInByte = 37236
; NumSgprs: 20
; NumVgprs: 256
; NumAgprs: 0
; TotalNumVgprs: 256
; ScratchSize: 528
; MemoryBound: 0
; FloatMode: 240
; IeeeMode: 1
; LDSByteSize: 1024 bytes/workgroup (compile time only)
; SGPRBlocks: 2
; VGPRBlocks: 31
; NumSGPRsForWavesPerEU: 20
; NumVGPRsForWavesPerEU: 256
; AccumOffset: 256
; Occupancy: 2
; WaveLimiterHint : 1
; COMPUTE_PGM_RSRC2:SCRATCH_EN: 1
; COMPUTE_PGM_RSRC2:USER_SGPR: 8
; COMPUTE_PGM_RSRC2:TRAP_HANDLER: 0
; COMPUTE_PGM_RSRC2:TGID_X_EN: 1
; COMPUTE_PGM_RSRC2:TGID_Y_EN: 0
; COMPUTE_PGM_RSRC2:TGID_Z_EN: 0
; COMPUTE_PGM_RSRC2:TIDIG_COMP_CNT: 0
; COMPUTE_PGM_RSRC3_GFX90A:ACCUM_OFFSET: 63
; COMPUTE_PGM_RSRC3_GFX90A:TG_SPLIT: 0
	.text
	.p2alignl 6, 3212836864
	.fill 256, 4, 3212836864
	.type	__hip_cuid_9413dbbb8c5f1225,@object ; @__hip_cuid_9413dbbb8c5f1225
	.section	.bss,"aw",@nobits
	.globl	__hip_cuid_9413dbbb8c5f1225
__hip_cuid_9413dbbb8c5f1225:
	.byte	0                               ; 0x0
	.size	__hip_cuid_9413dbbb8c5f1225, 1

	.ident	"AMD clang version 19.0.0git (https://github.com/RadeonOpenCompute/llvm-project roc-6.4.0 25133 c7fe45cf4b819c5991fe208aaa96edf142730f1d)"
	.section	".note.GNU-stack","",@progbits
	.addrsig
	.addrsig_sym __hip_cuid_9413dbbb8c5f1225
	.amdgpu_metadata
---
amdhsa.kernels:
  - .agpr_count:     0
    .args:
      - .offset:         0
        .size:           4
        .value_kind:     by_value
      - .offset:         4
        .size:           4
        .value_kind:     by_value
      - .address_space:  global
        .offset:         8
        .size:           8
        .value_kind:     global_buffer
      - .offset:         16
        .size:           4
        .value_kind:     by_value
      - .offset:         20
        .size:           4
        .value_kind:     by_value
      - .offset:         24
        .size:           8
        .value_kind:     by_value
    .group_segment_fixed_size: 0
    .kernarg_segment_align: 8
    .kernarg_segment_size: 32
    .language:       OpenCL C
    .language_version:
      - 2
      - 0
    .max_flat_workgroup_size: 64
    .name:           _ZN9rocsolver6v33100L18trti2_kernel_smallILi1EdPdEEv13rocblas_fill_17rocblas_diagonal_T1_iil
    .private_segment_fixed_size: 0
    .sgpr_count:     15
    .sgpr_spill_count: 0
    .symbol:         _ZN9rocsolver6v33100L18trti2_kernel_smallILi1EdPdEEv13rocblas_fill_17rocblas_diagonal_T1_iil.kd
    .uniform_work_group_size: 1
    .uses_dynamic_stack: false
    .vgpr_count:     9
    .vgpr_spill_count: 0
    .wavefront_size: 64
  - .agpr_count:     0
    .args:
      - .offset:         0
        .size:           4
        .value_kind:     by_value
      - .offset:         4
        .size:           4
        .value_kind:     by_value
      - .address_space:  global
        .offset:         8
        .size:           8
        .value_kind:     global_buffer
      - .offset:         16
        .size:           4
        .value_kind:     by_value
      - .offset:         20
        .size:           4
        .value_kind:     by_value
      - .offset:         24
        .size:           8
        .value_kind:     by_value
    .group_segment_fixed_size: 32
    .kernarg_segment_align: 8
    .kernarg_segment_size: 32
    .language:       OpenCL C
    .language_version:
      - 2
      - 0
    .max_flat_workgroup_size: 64
    .name:           _ZN9rocsolver6v33100L18trti2_kernel_smallILi2EdPdEEv13rocblas_fill_17rocblas_diagonal_T1_iil
    .private_segment_fixed_size: 0
    .sgpr_count:     20
    .sgpr_spill_count: 0
    .symbol:         _ZN9rocsolver6v33100L18trti2_kernel_smallILi2EdPdEEv13rocblas_fill_17rocblas_diagonal_T1_iil.kd
    .uniform_work_group_size: 1
    .uses_dynamic_stack: false
    .vgpr_count:     20
    .vgpr_spill_count: 0
    .wavefront_size: 64
  - .agpr_count:     0
    .args:
      - .offset:         0
        .size:           4
        .value_kind:     by_value
      - .offset:         4
        .size:           4
        .value_kind:     by_value
      - .address_space:  global
        .offset:         8
        .size:           8
        .value_kind:     global_buffer
      - .offset:         16
        .size:           4
        .value_kind:     by_value
      - .offset:         20
        .size:           4
        .value_kind:     by_value
      - .offset:         24
        .size:           8
        .value_kind:     by_value
    .group_segment_fixed_size: 56
    .kernarg_segment_align: 8
    .kernarg_segment_size: 32
    .language:       OpenCL C
    .language_version:
      - 2
      - 0
    .max_flat_workgroup_size: 64
    .name:           _ZN9rocsolver6v33100L18trti2_kernel_smallILi3EdPdEEv13rocblas_fill_17rocblas_diagonal_T1_iil
    .private_segment_fixed_size: 0
    .sgpr_count:     20
    .sgpr_spill_count: 0
    .symbol:         _ZN9rocsolver6v33100L18trti2_kernel_smallILi3EdPdEEv13rocblas_fill_17rocblas_diagonal_T1_iil.kd
    .uniform_work_group_size: 1
    .uses_dynamic_stack: false
    .vgpr_count:     24
    .vgpr_spill_count: 0
    .wavefront_size: 64
  - .agpr_count:     0
    .args:
      - .offset:         0
        .size:           4
        .value_kind:     by_value
      - .offset:         4
        .size:           4
        .value_kind:     by_value
      - .address_space:  global
        .offset:         8
        .size:           8
        .value_kind:     global_buffer
      - .offset:         16
        .size:           4
        .value_kind:     by_value
      - .offset:         20
        .size:           4
        .value_kind:     by_value
      - .offset:         24
        .size:           8
        .value_kind:     by_value
    .group_segment_fixed_size: 64
    .kernarg_segment_align: 8
    .kernarg_segment_size: 32
    .language:       OpenCL C
    .language_version:
      - 2
      - 0
    .max_flat_workgroup_size: 64
    .name:           _ZN9rocsolver6v33100L18trti2_kernel_smallILi4EdPdEEv13rocblas_fill_17rocblas_diagonal_T1_iil
    .private_segment_fixed_size: 0
    .sgpr_count:     20
    .sgpr_spill_count: 0
    .symbol:         _ZN9rocsolver6v33100L18trti2_kernel_smallILi4EdPdEEv13rocblas_fill_17rocblas_diagonal_T1_iil.kd
    .uniform_work_group_size: 1
    .uses_dynamic_stack: false
    .vgpr_count:     49
    .vgpr_spill_count: 0
    .wavefront_size: 64
  - .agpr_count:     0
    .args:
      - .offset:         0
        .size:           4
        .value_kind:     by_value
      - .offset:         4
        .size:           4
        .value_kind:     by_value
      - .address_space:  global
        .offset:         8
        .size:           8
        .value_kind:     global_buffer
      - .offset:         16
        .size:           4
        .value_kind:     by_value
      - .offset:         20
        .size:           4
        .value_kind:     by_value
      - .offset:         24
        .size:           8
        .value_kind:     by_value
    .group_segment_fixed_size: 88
    .kernarg_segment_align: 8
    .kernarg_segment_size: 32
    .language:       OpenCL C
    .language_version:
      - 2
      - 0
    .max_flat_workgroup_size: 64
    .name:           _ZN9rocsolver6v33100L18trti2_kernel_smallILi5EdPdEEv13rocblas_fill_17rocblas_diagonal_T1_iil
    .private_segment_fixed_size: 0
    .sgpr_count:     24
    .sgpr_spill_count: 0
    .symbol:         _ZN9rocsolver6v33100L18trti2_kernel_smallILi5EdPdEEv13rocblas_fill_17rocblas_diagonal_T1_iil.kd
    .uniform_work_group_size: 1
    .uses_dynamic_stack: false
    .vgpr_count:     62
    .vgpr_spill_count: 0
    .wavefront_size: 64
  - .agpr_count:     0
    .args:
      - .offset:         0
        .size:           4
        .value_kind:     by_value
      - .offset:         4
        .size:           4
        .value_kind:     by_value
      - .address_space:  global
        .offset:         8
        .size:           8
        .value_kind:     global_buffer
      - .offset:         16
        .size:           4
        .value_kind:     by_value
      - .offset:         20
        .size:           4
        .value_kind:     by_value
      - .offset:         24
        .size:           8
        .value_kind:     by_value
    .group_segment_fixed_size: 96
    .kernarg_segment_align: 8
    .kernarg_segment_size: 32
    .language:       OpenCL C
    .language_version:
      - 2
      - 0
    .max_flat_workgroup_size: 64
    .name:           _ZN9rocsolver6v33100L18trti2_kernel_smallILi6EdPdEEv13rocblas_fill_17rocblas_diagonal_T1_iil
    .private_segment_fixed_size: 0
    .sgpr_count:     32
    .sgpr_spill_count: 0
    .symbol:         _ZN9rocsolver6v33100L18trti2_kernel_smallILi6EdPdEEv13rocblas_fill_17rocblas_diagonal_T1_iil.kd
    .uniform_work_group_size: 1
    .uses_dynamic_stack: false
    .vgpr_count:     66
    .vgpr_spill_count: 0
    .wavefront_size: 64
  - .agpr_count:     0
    .args:
      - .offset:         0
        .size:           4
        .value_kind:     by_value
      - .offset:         4
        .size:           4
        .value_kind:     by_value
      - .address_space:  global
        .offset:         8
        .size:           8
        .value_kind:     global_buffer
      - .offset:         16
        .size:           4
        .value_kind:     by_value
      - .offset:         20
        .size:           4
        .value_kind:     by_value
      - .offset:         24
        .size:           8
        .value_kind:     by_value
    .group_segment_fixed_size: 120
    .kernarg_segment_align: 8
    .kernarg_segment_size: 32
    .language:       OpenCL C
    .language_version:
      - 2
      - 0
    .max_flat_workgroup_size: 64
    .name:           _ZN9rocsolver6v33100L18trti2_kernel_smallILi7EdPdEEv13rocblas_fill_17rocblas_diagonal_T1_iil
    .private_segment_fixed_size: 0
    .sgpr_count:     34
    .sgpr_spill_count: 0
    .symbol:         _ZN9rocsolver6v33100L18trti2_kernel_smallILi7EdPdEEv13rocblas_fill_17rocblas_diagonal_T1_iil.kd
    .uniform_work_group_size: 1
    .uses_dynamic_stack: false
    .vgpr_count:     70
    .vgpr_spill_count: 0
    .wavefront_size: 64
  - .agpr_count:     0
    .args:
      - .offset:         0
        .size:           4
        .value_kind:     by_value
      - .offset:         4
        .size:           4
        .value_kind:     by_value
      - .address_space:  global
        .offset:         8
        .size:           8
        .value_kind:     global_buffer
      - .offset:         16
        .size:           4
        .value_kind:     by_value
      - .offset:         20
        .size:           4
        .value_kind:     by_value
      - .offset:         24
        .size:           8
        .value_kind:     by_value
    .group_segment_fixed_size: 128
    .kernarg_segment_align: 8
    .kernarg_segment_size: 32
    .language:       OpenCL C
    .language_version:
      - 2
      - 0
    .max_flat_workgroup_size: 64
    .name:           _ZN9rocsolver6v33100L18trti2_kernel_smallILi8EdPdEEv13rocblas_fill_17rocblas_diagonal_T1_iil
    .private_segment_fixed_size: 0
    .sgpr_count:     34
    .sgpr_spill_count: 0
    .symbol:         _ZN9rocsolver6v33100L18trti2_kernel_smallILi8EdPdEEv13rocblas_fill_17rocblas_diagonal_T1_iil.kd
    .uniform_work_group_size: 1
    .uses_dynamic_stack: false
    .vgpr_count:     78
    .vgpr_spill_count: 0
    .wavefront_size: 64
  - .agpr_count:     0
    .args:
      - .offset:         0
        .size:           4
        .value_kind:     by_value
      - .offset:         4
        .size:           4
        .value_kind:     by_value
      - .address_space:  global
        .offset:         8
        .size:           8
        .value_kind:     global_buffer
      - .offset:         16
        .size:           4
        .value_kind:     by_value
      - .offset:         20
        .size:           4
        .value_kind:     by_value
      - .offset:         24
        .size:           8
        .value_kind:     by_value
    .group_segment_fixed_size: 152
    .kernarg_segment_align: 8
    .kernarg_segment_size: 32
    .language:       OpenCL C
    .language_version:
      - 2
      - 0
    .max_flat_workgroup_size: 64
    .name:           _ZN9rocsolver6v33100L18trti2_kernel_smallILi9EdPdEEv13rocblas_fill_17rocblas_diagonal_T1_iil
    .private_segment_fixed_size: 0
    .sgpr_count:     34
    .sgpr_spill_count: 0
    .symbol:         _ZN9rocsolver6v33100L18trti2_kernel_smallILi9EdPdEEv13rocblas_fill_17rocblas_diagonal_T1_iil.kd
    .uniform_work_group_size: 1
    .uses_dynamic_stack: false
    .vgpr_count:     112
    .vgpr_spill_count: 0
    .wavefront_size: 64
  - .agpr_count:     0
    .args:
      - .offset:         0
        .size:           4
        .value_kind:     by_value
      - .offset:         4
        .size:           4
        .value_kind:     by_value
      - .address_space:  global
        .offset:         8
        .size:           8
        .value_kind:     global_buffer
      - .offset:         16
        .size:           4
        .value_kind:     by_value
      - .offset:         20
        .size:           4
        .value_kind:     by_value
      - .offset:         24
        .size:           8
        .value_kind:     by_value
    .group_segment_fixed_size: 160
    .kernarg_segment_align: 8
    .kernarg_segment_size: 32
    .language:       OpenCL C
    .language_version:
      - 2
      - 0
    .max_flat_workgroup_size: 64
    .name:           _ZN9rocsolver6v33100L18trti2_kernel_smallILi10EdPdEEv13rocblas_fill_17rocblas_diagonal_T1_iil
    .private_segment_fixed_size: 0
    .sgpr_count:     40
    .sgpr_spill_count: 0
    .symbol:         _ZN9rocsolver6v33100L18trti2_kernel_smallILi10EdPdEEv13rocblas_fill_17rocblas_diagonal_T1_iil.kd
    .uniform_work_group_size: 1
    .uses_dynamic_stack: false
    .vgpr_count:     102
    .vgpr_spill_count: 0
    .wavefront_size: 64
  - .agpr_count:     0
    .args:
      - .offset:         0
        .size:           4
        .value_kind:     by_value
      - .offset:         4
        .size:           4
        .value_kind:     by_value
      - .address_space:  global
        .offset:         8
        .size:           8
        .value_kind:     global_buffer
      - .offset:         16
        .size:           4
        .value_kind:     by_value
      - .offset:         20
        .size:           4
        .value_kind:     by_value
      - .offset:         24
        .size:           8
        .value_kind:     by_value
    .group_segment_fixed_size: 184
    .kernarg_segment_align: 8
    .kernarg_segment_size: 32
    .language:       OpenCL C
    .language_version:
      - 2
      - 0
    .max_flat_workgroup_size: 64
    .name:           _ZN9rocsolver6v33100L18trti2_kernel_smallILi11EdPdEEv13rocblas_fill_17rocblas_diagonal_T1_iil
    .private_segment_fixed_size: 0
    .sgpr_count:     46
    .sgpr_spill_count: 0
    .symbol:         _ZN9rocsolver6v33100L18trti2_kernel_smallILi11EdPdEEv13rocblas_fill_17rocblas_diagonal_T1_iil.kd
    .uniform_work_group_size: 1
    .uses_dynamic_stack: false
    .vgpr_count:     106
    .vgpr_spill_count: 0
    .wavefront_size: 64
  - .agpr_count:     0
    .args:
      - .offset:         0
        .size:           4
        .value_kind:     by_value
      - .offset:         4
        .size:           4
        .value_kind:     by_value
      - .address_space:  global
        .offset:         8
        .size:           8
        .value_kind:     global_buffer
      - .offset:         16
        .size:           4
        .value_kind:     by_value
      - .offset:         20
        .size:           4
        .value_kind:     by_value
      - .offset:         24
        .size:           8
        .value_kind:     by_value
    .group_segment_fixed_size: 192
    .kernarg_segment_align: 8
    .kernarg_segment_size: 32
    .language:       OpenCL C
    .language_version:
      - 2
      - 0
    .max_flat_workgroup_size: 64
    .name:           _ZN9rocsolver6v33100L18trti2_kernel_smallILi12EdPdEEv13rocblas_fill_17rocblas_diagonal_T1_iil
    .private_segment_fixed_size: 0
    .sgpr_count:     46
    .sgpr_spill_count: 0
    .symbol:         _ZN9rocsolver6v33100L18trti2_kernel_smallILi12EdPdEEv13rocblas_fill_17rocblas_diagonal_T1_iil.kd
    .uniform_work_group_size: 1
    .uses_dynamic_stack: false
    .vgpr_count:     110
    .vgpr_spill_count: 0
    .wavefront_size: 64
  - .agpr_count:     0
    .args:
      - .offset:         0
        .size:           4
        .value_kind:     by_value
      - .offset:         4
        .size:           4
        .value_kind:     by_value
      - .address_space:  global
        .offset:         8
        .size:           8
        .value_kind:     global_buffer
      - .offset:         16
        .size:           4
        .value_kind:     by_value
      - .offset:         20
        .size:           4
        .value_kind:     by_value
      - .offset:         24
        .size:           8
        .value_kind:     by_value
    .group_segment_fixed_size: 216
    .kernarg_segment_align: 8
    .kernarg_segment_size: 32
    .language:       OpenCL C
    .language_version:
      - 2
      - 0
    .max_flat_workgroup_size: 64
    .name:           _ZN9rocsolver6v33100L18trti2_kernel_smallILi13EdPdEEv13rocblas_fill_17rocblas_diagonal_T1_iil
    .private_segment_fixed_size: 0
    .sgpr_count:     48
    .sgpr_spill_count: 0
    .symbol:         _ZN9rocsolver6v33100L18trti2_kernel_smallILi13EdPdEEv13rocblas_fill_17rocblas_diagonal_T1_iil.kd
    .uniform_work_group_size: 1
    .uses_dynamic_stack: false
    .vgpr_count:     114
    .vgpr_spill_count: 0
    .wavefront_size: 64
  - .agpr_count:     0
    .args:
      - .offset:         0
        .size:           4
        .value_kind:     by_value
      - .offset:         4
        .size:           4
        .value_kind:     by_value
      - .address_space:  global
        .offset:         8
        .size:           8
        .value_kind:     global_buffer
      - .offset:         16
        .size:           4
        .value_kind:     by_value
      - .offset:         20
        .size:           4
        .value_kind:     by_value
      - .offset:         24
        .size:           8
        .value_kind:     by_value
    .group_segment_fixed_size: 224
    .kernarg_segment_align: 8
    .kernarg_segment_size: 32
    .language:       OpenCL C
    .language_version:
      - 2
      - 0
    .max_flat_workgroup_size: 64
    .name:           _ZN9rocsolver6v33100L18trti2_kernel_smallILi14EdPdEEv13rocblas_fill_17rocblas_diagonal_T1_iil
    .private_segment_fixed_size: 0
    .sgpr_count:     50
    .sgpr_spill_count: 0
    .symbol:         _ZN9rocsolver6v33100L18trti2_kernel_smallILi14EdPdEEv13rocblas_fill_17rocblas_diagonal_T1_iil.kd
    .uniform_work_group_size: 1
    .uses_dynamic_stack: false
    .vgpr_count:     118
    .vgpr_spill_count: 0
    .wavefront_size: 64
  - .agpr_count:     0
    .args:
      - .offset:         0
        .size:           4
        .value_kind:     by_value
      - .offset:         4
        .size:           4
        .value_kind:     by_value
      - .address_space:  global
        .offset:         8
        .size:           8
        .value_kind:     global_buffer
      - .offset:         16
        .size:           4
        .value_kind:     by_value
      - .offset:         20
        .size:           4
        .value_kind:     by_value
      - .offset:         24
        .size:           8
        .value_kind:     by_value
    .group_segment_fixed_size: 248
    .kernarg_segment_align: 8
    .kernarg_segment_size: 32
    .language:       OpenCL C
    .language_version:
      - 2
      - 0
    .max_flat_workgroup_size: 64
    .name:           _ZN9rocsolver6v33100L18trti2_kernel_smallILi15EdPdEEv13rocblas_fill_17rocblas_diagonal_T1_iil
    .private_segment_fixed_size: 0
    .sgpr_count:     52
    .sgpr_spill_count: 0
    .symbol:         _ZN9rocsolver6v33100L18trti2_kernel_smallILi15EdPdEEv13rocblas_fill_17rocblas_diagonal_T1_iil.kd
    .uniform_work_group_size: 1
    .uses_dynamic_stack: false
    .vgpr_count:     122
    .vgpr_spill_count: 0
    .wavefront_size: 64
  - .agpr_count:     0
    .args:
      - .offset:         0
        .size:           4
        .value_kind:     by_value
      - .offset:         4
        .size:           4
        .value_kind:     by_value
      - .address_space:  global
        .offset:         8
        .size:           8
        .value_kind:     global_buffer
      - .offset:         16
        .size:           4
        .value_kind:     by_value
      - .offset:         20
        .size:           4
        .value_kind:     by_value
      - .offset:         24
        .size:           8
        .value_kind:     by_value
    .group_segment_fixed_size: 256
    .kernarg_segment_align: 8
    .kernarg_segment_size: 32
    .language:       OpenCL C
    .language_version:
      - 2
      - 0
    .max_flat_workgroup_size: 64
    .name:           _ZN9rocsolver6v33100L18trti2_kernel_smallILi16EdPdEEv13rocblas_fill_17rocblas_diagonal_T1_iil
    .private_segment_fixed_size: 0
    .sgpr_count:     54
    .sgpr_spill_count: 0
    .symbol:         _ZN9rocsolver6v33100L18trti2_kernel_smallILi16EdPdEEv13rocblas_fill_17rocblas_diagonal_T1_iil.kd
    .uniform_work_group_size: 1
    .uses_dynamic_stack: false
    .vgpr_count:     126
    .vgpr_spill_count: 0
    .wavefront_size: 64
  - .agpr_count:     0
    .args:
      - .offset:         0
        .size:           4
        .value_kind:     by_value
      - .offset:         4
        .size:           4
        .value_kind:     by_value
      - .address_space:  global
        .offset:         8
        .size:           8
        .value_kind:     global_buffer
      - .offset:         16
        .size:           4
        .value_kind:     by_value
      - .offset:         20
        .size:           4
        .value_kind:     by_value
      - .offset:         24
        .size:           8
        .value_kind:     by_value
    .group_segment_fixed_size: 280
    .kernarg_segment_align: 8
    .kernarg_segment_size: 32
    .language:       OpenCL C
    .language_version:
      - 2
      - 0
    .max_flat_workgroup_size: 64
    .name:           _ZN9rocsolver6v33100L18trti2_kernel_smallILi17EdPdEEv13rocblas_fill_17rocblas_diagonal_T1_iil
    .private_segment_fixed_size: 144
    .sgpr_count:     24
    .sgpr_spill_count: 0
    .symbol:         _ZN9rocsolver6v33100L18trti2_kernel_smallILi17EdPdEEv13rocblas_fill_17rocblas_diagonal_T1_iil.kd
    .uniform_work_group_size: 1
    .uses_dynamic_stack: false
    .vgpr_count:     62
    .vgpr_spill_count: 0
    .wavefront_size: 64
  - .agpr_count:     0
    .args:
      - .offset:         0
        .size:           4
        .value_kind:     by_value
      - .offset:         4
        .size:           4
        .value_kind:     by_value
      - .address_space:  global
        .offset:         8
        .size:           8
        .value_kind:     global_buffer
      - .offset:         16
        .size:           4
        .value_kind:     by_value
      - .offset:         20
        .size:           4
        .value_kind:     by_value
      - .offset:         24
        .size:           8
        .value_kind:     by_value
    .group_segment_fixed_size: 288
    .kernarg_segment_align: 8
    .kernarg_segment_size: 32
    .language:       OpenCL C
    .language_version:
      - 2
      - 0
    .max_flat_workgroup_size: 64
    .name:           _ZN9rocsolver6v33100L18trti2_kernel_smallILi18EdPdEEv13rocblas_fill_17rocblas_diagonal_T1_iil
    .private_segment_fixed_size: 160
    .sgpr_count:     24
    .sgpr_spill_count: 0
    .symbol:         _ZN9rocsolver6v33100L18trti2_kernel_smallILi18EdPdEEv13rocblas_fill_17rocblas_diagonal_T1_iil.kd
    .uniform_work_group_size: 1
    .uses_dynamic_stack: false
    .vgpr_count:     72
    .vgpr_spill_count: 0
    .wavefront_size: 64
  - .agpr_count:     0
    .args:
      - .offset:         0
        .size:           4
        .value_kind:     by_value
      - .offset:         4
        .size:           4
        .value_kind:     by_value
      - .address_space:  global
        .offset:         8
        .size:           8
        .value_kind:     global_buffer
      - .offset:         16
        .size:           4
        .value_kind:     by_value
      - .offset:         20
        .size:           4
        .value_kind:     by_value
      - .offset:         24
        .size:           8
        .value_kind:     by_value
    .group_segment_fixed_size: 312
    .kernarg_segment_align: 8
    .kernarg_segment_size: 32
    .language:       OpenCL C
    .language_version:
      - 2
      - 0
    .max_flat_workgroup_size: 64
    .name:           _ZN9rocsolver6v33100L18trti2_kernel_smallILi19EdPdEEv13rocblas_fill_17rocblas_diagonal_T1_iil
    .private_segment_fixed_size: 160
    .sgpr_count:     24
    .sgpr_spill_count: 0
    .symbol:         _ZN9rocsolver6v33100L18trti2_kernel_smallILi19EdPdEEv13rocblas_fill_17rocblas_diagonal_T1_iil.kd
    .uniform_work_group_size: 1
    .uses_dynamic_stack: false
    .vgpr_count:     70
    .vgpr_spill_count: 0
    .wavefront_size: 64
  - .agpr_count:     0
    .args:
      - .offset:         0
        .size:           4
        .value_kind:     by_value
      - .offset:         4
        .size:           4
        .value_kind:     by_value
      - .address_space:  global
        .offset:         8
        .size:           8
        .value_kind:     global_buffer
      - .offset:         16
        .size:           4
        .value_kind:     by_value
      - .offset:         20
        .size:           4
        .value_kind:     by_value
      - .offset:         24
        .size:           8
        .value_kind:     by_value
    .group_segment_fixed_size: 320
    .kernarg_segment_align: 8
    .kernarg_segment_size: 32
    .language:       OpenCL C
    .language_version:
      - 2
      - 0
    .max_flat_workgroup_size: 64
    .name:           _ZN9rocsolver6v33100L18trti2_kernel_smallILi20EdPdEEv13rocblas_fill_17rocblas_diagonal_T1_iil
    .private_segment_fixed_size: 176
    .sgpr_count:     24
    .sgpr_spill_count: 0
    .symbol:         _ZN9rocsolver6v33100L18trti2_kernel_smallILi20EdPdEEv13rocblas_fill_17rocblas_diagonal_T1_iil.kd
    .uniform_work_group_size: 1
    .uses_dynamic_stack: false
    .vgpr_count:     70
    .vgpr_spill_count: 0
    .wavefront_size: 64
  - .agpr_count:     0
    .args:
      - .offset:         0
        .size:           4
        .value_kind:     by_value
      - .offset:         4
        .size:           4
        .value_kind:     by_value
      - .address_space:  global
        .offset:         8
        .size:           8
        .value_kind:     global_buffer
      - .offset:         16
        .size:           4
        .value_kind:     by_value
      - .offset:         20
        .size:           4
        .value_kind:     by_value
      - .offset:         24
        .size:           8
        .value_kind:     by_value
    .group_segment_fixed_size: 344
    .kernarg_segment_align: 8
    .kernarg_segment_size: 32
    .language:       OpenCL C
    .language_version:
      - 2
      - 0
    .max_flat_workgroup_size: 64
    .name:           _ZN9rocsolver6v33100L18trti2_kernel_smallILi21EdPdEEv13rocblas_fill_17rocblas_diagonal_T1_iil
    .private_segment_fixed_size: 176
    .sgpr_count:     24
    .sgpr_spill_count: 0
    .symbol:         _ZN9rocsolver6v33100L18trti2_kernel_smallILi21EdPdEEv13rocblas_fill_17rocblas_diagonal_T1_iil.kd
    .uniform_work_group_size: 1
    .uses_dynamic_stack: false
    .vgpr_count:     78
    .vgpr_spill_count: 0
    .wavefront_size: 64
  - .agpr_count:     0
    .args:
      - .offset:         0
        .size:           4
        .value_kind:     by_value
      - .offset:         4
        .size:           4
        .value_kind:     by_value
      - .address_space:  global
        .offset:         8
        .size:           8
        .value_kind:     global_buffer
      - .offset:         16
        .size:           4
        .value_kind:     by_value
      - .offset:         20
        .size:           4
        .value_kind:     by_value
      - .offset:         24
        .size:           8
        .value_kind:     by_value
    .group_segment_fixed_size: 352
    .kernarg_segment_align: 8
    .kernarg_segment_size: 32
    .language:       OpenCL C
    .language_version:
      - 2
      - 0
    .max_flat_workgroup_size: 64
    .name:           _ZN9rocsolver6v33100L18trti2_kernel_smallILi22EdPdEEv13rocblas_fill_17rocblas_diagonal_T1_iil
    .private_segment_fixed_size: 192
    .sgpr_count:     24
    .sgpr_spill_count: 0
    .symbol:         _ZN9rocsolver6v33100L18trti2_kernel_smallILi22EdPdEEv13rocblas_fill_17rocblas_diagonal_T1_iil.kd
    .uniform_work_group_size: 1
    .uses_dynamic_stack: false
    .vgpr_count:     78
    .vgpr_spill_count: 0
    .wavefront_size: 64
  - .agpr_count:     0
    .args:
      - .offset:         0
        .size:           4
        .value_kind:     by_value
      - .offset:         4
        .size:           4
        .value_kind:     by_value
      - .address_space:  global
        .offset:         8
        .size:           8
        .value_kind:     global_buffer
      - .offset:         16
        .size:           4
        .value_kind:     by_value
      - .offset:         20
        .size:           4
        .value_kind:     by_value
      - .offset:         24
        .size:           8
        .value_kind:     by_value
    .group_segment_fixed_size: 376
    .kernarg_segment_align: 8
    .kernarg_segment_size: 32
    .language:       OpenCL C
    .language_version:
      - 2
      - 0
    .max_flat_workgroup_size: 64
    .name:           _ZN9rocsolver6v33100L18trti2_kernel_smallILi23EdPdEEv13rocblas_fill_17rocblas_diagonal_T1_iil
    .private_segment_fixed_size: 192
    .sgpr_count:     24
    .sgpr_spill_count: 0
    .symbol:         _ZN9rocsolver6v33100L18trti2_kernel_smallILi23EdPdEEv13rocblas_fill_17rocblas_diagonal_T1_iil.kd
    .uniform_work_group_size: 1
    .uses_dynamic_stack: false
    .vgpr_count:     78
    .vgpr_spill_count: 0
    .wavefront_size: 64
  - .agpr_count:     0
    .args:
      - .offset:         0
        .size:           4
        .value_kind:     by_value
      - .offset:         4
        .size:           4
        .value_kind:     by_value
      - .address_space:  global
        .offset:         8
        .size:           8
        .value_kind:     global_buffer
      - .offset:         16
        .size:           4
        .value_kind:     by_value
      - .offset:         20
        .size:           4
        .value_kind:     by_value
      - .offset:         24
        .size:           8
        .value_kind:     by_value
    .group_segment_fixed_size: 384
    .kernarg_segment_align: 8
    .kernarg_segment_size: 32
    .language:       OpenCL C
    .language_version:
      - 2
      - 0
    .max_flat_workgroup_size: 64
    .name:           _ZN9rocsolver6v33100L18trti2_kernel_smallILi24EdPdEEv13rocblas_fill_17rocblas_diagonal_T1_iil
    .private_segment_fixed_size: 208
    .sgpr_count:     24
    .sgpr_spill_count: 0
    .symbol:         _ZN9rocsolver6v33100L18trti2_kernel_smallILi24EdPdEEv13rocblas_fill_17rocblas_diagonal_T1_iil.kd
    .uniform_work_group_size: 1
    .uses_dynamic_stack: false
    .vgpr_count:     96
    .vgpr_spill_count: 0
    .wavefront_size: 64
  - .agpr_count:     0
    .args:
      - .offset:         0
        .size:           4
        .value_kind:     by_value
      - .offset:         4
        .size:           4
        .value_kind:     by_value
      - .address_space:  global
        .offset:         8
        .size:           8
        .value_kind:     global_buffer
      - .offset:         16
        .size:           4
        .value_kind:     by_value
      - .offset:         20
        .size:           4
        .value_kind:     by_value
      - .offset:         24
        .size:           8
        .value_kind:     by_value
    .group_segment_fixed_size: 408
    .kernarg_segment_align: 8
    .kernarg_segment_size: 32
    .language:       OpenCL C
    .language_version:
      - 2
      - 0
    .max_flat_workgroup_size: 64
    .name:           _ZN9rocsolver6v33100L18trti2_kernel_smallILi25EdPdEEv13rocblas_fill_17rocblas_diagonal_T1_iil
    .private_segment_fixed_size: 208
    .sgpr_count:     24
    .sgpr_spill_count: 0
    .symbol:         _ZN9rocsolver6v33100L18trti2_kernel_smallILi25EdPdEEv13rocblas_fill_17rocblas_diagonal_T1_iil.kd
    .uniform_work_group_size: 1
    .uses_dynamic_stack: false
    .vgpr_count:     92
    .vgpr_spill_count: 0
    .wavefront_size: 64
  - .agpr_count:     0
    .args:
      - .offset:         0
        .size:           4
        .value_kind:     by_value
      - .offset:         4
        .size:           4
        .value_kind:     by_value
      - .address_space:  global
        .offset:         8
        .size:           8
        .value_kind:     global_buffer
      - .offset:         16
        .size:           4
        .value_kind:     by_value
      - .offset:         20
        .size:           4
        .value_kind:     by_value
      - .offset:         24
        .size:           8
        .value_kind:     by_value
    .group_segment_fixed_size: 416
    .kernarg_segment_align: 8
    .kernarg_segment_size: 32
    .language:       OpenCL C
    .language_version:
      - 2
      - 0
    .max_flat_workgroup_size: 64
    .name:           _ZN9rocsolver6v33100L18trti2_kernel_smallILi26EdPdEEv13rocblas_fill_17rocblas_diagonal_T1_iil
    .private_segment_fixed_size: 224
    .sgpr_count:     24
    .sgpr_spill_count: 0
    .symbol:         _ZN9rocsolver6v33100L18trti2_kernel_smallILi26EdPdEEv13rocblas_fill_17rocblas_diagonal_T1_iil.kd
    .uniform_work_group_size: 1
    .uses_dynamic_stack: false
    .vgpr_count:     92
    .vgpr_spill_count: 0
    .wavefront_size: 64
  - .agpr_count:     0
    .args:
      - .offset:         0
        .size:           4
        .value_kind:     by_value
      - .offset:         4
        .size:           4
        .value_kind:     by_value
      - .address_space:  global
        .offset:         8
        .size:           8
        .value_kind:     global_buffer
      - .offset:         16
        .size:           4
        .value_kind:     by_value
      - .offset:         20
        .size:           4
        .value_kind:     by_value
      - .offset:         24
        .size:           8
        .value_kind:     by_value
    .group_segment_fixed_size: 440
    .kernarg_segment_align: 8
    .kernarg_segment_size: 32
    .language:       OpenCL C
    .language_version:
      - 2
      - 0
    .max_flat_workgroup_size: 64
    .name:           _ZN9rocsolver6v33100L18trti2_kernel_smallILi27EdPdEEv13rocblas_fill_17rocblas_diagonal_T1_iil
    .private_segment_fixed_size: 224
    .sgpr_count:     24
    .sgpr_spill_count: 0
    .symbol:         _ZN9rocsolver6v33100L18trti2_kernel_smallILi27EdPdEEv13rocblas_fill_17rocblas_diagonal_T1_iil.kd
    .uniform_work_group_size: 1
    .uses_dynamic_stack: false
    .vgpr_count:     94
    .vgpr_spill_count: 0
    .wavefront_size: 64
  - .agpr_count:     0
    .args:
      - .offset:         0
        .size:           4
        .value_kind:     by_value
      - .offset:         4
        .size:           4
        .value_kind:     by_value
      - .address_space:  global
        .offset:         8
        .size:           8
        .value_kind:     global_buffer
      - .offset:         16
        .size:           4
        .value_kind:     by_value
      - .offset:         20
        .size:           4
        .value_kind:     by_value
      - .offset:         24
        .size:           8
        .value_kind:     by_value
    .group_segment_fixed_size: 448
    .kernarg_segment_align: 8
    .kernarg_segment_size: 32
    .language:       OpenCL C
    .language_version:
      - 2
      - 0
    .max_flat_workgroup_size: 64
    .name:           _ZN9rocsolver6v33100L18trti2_kernel_smallILi28EdPdEEv13rocblas_fill_17rocblas_diagonal_T1_iil
    .private_segment_fixed_size: 240
    .sgpr_count:     24
    .sgpr_spill_count: 0
    .symbol:         _ZN9rocsolver6v33100L18trti2_kernel_smallILi28EdPdEEv13rocblas_fill_17rocblas_diagonal_T1_iil.kd
    .uniform_work_group_size: 1
    .uses_dynamic_stack: false
    .vgpr_count:     96
    .vgpr_spill_count: 0
    .wavefront_size: 64
  - .agpr_count:     0
    .args:
      - .offset:         0
        .size:           4
        .value_kind:     by_value
      - .offset:         4
        .size:           4
        .value_kind:     by_value
      - .address_space:  global
        .offset:         8
        .size:           8
        .value_kind:     global_buffer
      - .offset:         16
        .size:           4
        .value_kind:     by_value
      - .offset:         20
        .size:           4
        .value_kind:     by_value
      - .offset:         24
        .size:           8
        .value_kind:     by_value
    .group_segment_fixed_size: 472
    .kernarg_segment_align: 8
    .kernarg_segment_size: 32
    .language:       OpenCL C
    .language_version:
      - 2
      - 0
    .max_flat_workgroup_size: 64
    .name:           _ZN9rocsolver6v33100L18trti2_kernel_smallILi29EdPdEEv13rocblas_fill_17rocblas_diagonal_T1_iil
    .private_segment_fixed_size: 240
    .sgpr_count:     24
    .sgpr_spill_count: 0
    .symbol:         _ZN9rocsolver6v33100L18trti2_kernel_smallILi29EdPdEEv13rocblas_fill_17rocblas_diagonal_T1_iil.kd
    .uniform_work_group_size: 1
    .uses_dynamic_stack: false
    .vgpr_count:     120
    .vgpr_spill_count: 0
    .wavefront_size: 64
  - .agpr_count:     0
    .args:
      - .offset:         0
        .size:           4
        .value_kind:     by_value
      - .offset:         4
        .size:           4
        .value_kind:     by_value
      - .address_space:  global
        .offset:         8
        .size:           8
        .value_kind:     global_buffer
      - .offset:         16
        .size:           4
        .value_kind:     by_value
      - .offset:         20
        .size:           4
        .value_kind:     by_value
      - .offset:         24
        .size:           8
        .value_kind:     by_value
    .group_segment_fixed_size: 480
    .kernarg_segment_align: 8
    .kernarg_segment_size: 32
    .language:       OpenCL C
    .language_version:
      - 2
      - 0
    .max_flat_workgroup_size: 64
    .name:           _ZN9rocsolver6v33100L18trti2_kernel_smallILi30EdPdEEv13rocblas_fill_17rocblas_diagonal_T1_iil
    .private_segment_fixed_size: 256
    .sgpr_count:     24
    .sgpr_spill_count: 0
    .symbol:         _ZN9rocsolver6v33100L18trti2_kernel_smallILi30EdPdEEv13rocblas_fill_17rocblas_diagonal_T1_iil.kd
    .uniform_work_group_size: 1
    .uses_dynamic_stack: false
    .vgpr_count:     122
    .vgpr_spill_count: 0
    .wavefront_size: 64
  - .agpr_count:     0
    .args:
      - .offset:         0
        .size:           4
        .value_kind:     by_value
      - .offset:         4
        .size:           4
        .value_kind:     by_value
      - .address_space:  global
        .offset:         8
        .size:           8
        .value_kind:     global_buffer
      - .offset:         16
        .size:           4
        .value_kind:     by_value
      - .offset:         20
        .size:           4
        .value_kind:     by_value
      - .offset:         24
        .size:           8
        .value_kind:     by_value
    .group_segment_fixed_size: 504
    .kernarg_segment_align: 8
    .kernarg_segment_size: 32
    .language:       OpenCL C
    .language_version:
      - 2
      - 0
    .max_flat_workgroup_size: 64
    .name:           _ZN9rocsolver6v33100L18trti2_kernel_smallILi31EdPdEEv13rocblas_fill_17rocblas_diagonal_T1_iil
    .private_segment_fixed_size: 256
    .sgpr_count:     24
    .sgpr_spill_count: 0
    .symbol:         _ZN9rocsolver6v33100L18trti2_kernel_smallILi31EdPdEEv13rocblas_fill_17rocblas_diagonal_T1_iil.kd
    .uniform_work_group_size: 1
    .uses_dynamic_stack: false
    .vgpr_count:     126
    .vgpr_spill_count: 0
    .wavefront_size: 64
  - .agpr_count:     0
    .args:
      - .offset:         0
        .size:           4
        .value_kind:     by_value
      - .offset:         4
        .size:           4
        .value_kind:     by_value
      - .address_space:  global
        .offset:         8
        .size:           8
        .value_kind:     global_buffer
      - .offset:         16
        .size:           4
        .value_kind:     by_value
      - .offset:         20
        .size:           4
        .value_kind:     by_value
      - .offset:         24
        .size:           8
        .value_kind:     by_value
    .group_segment_fixed_size: 512
    .kernarg_segment_align: 8
    .kernarg_segment_size: 32
    .language:       OpenCL C
    .language_version:
      - 2
      - 0
    .max_flat_workgroup_size: 64
    .name:           _ZN9rocsolver6v33100L18trti2_kernel_smallILi32EdPdEEv13rocblas_fill_17rocblas_diagonal_T1_iil
    .private_segment_fixed_size: 272
    .sgpr_count:     24
    .sgpr_spill_count: 0
    .symbol:         _ZN9rocsolver6v33100L18trti2_kernel_smallILi32EdPdEEv13rocblas_fill_17rocblas_diagonal_T1_iil.kd
    .uniform_work_group_size: 1
    .uses_dynamic_stack: false
    .vgpr_count:     128
    .vgpr_spill_count: 0
    .wavefront_size: 64
  - .agpr_count:     0
    .args:
      - .offset:         0
        .size:           4
        .value_kind:     by_value
      - .offset:         4
        .size:           4
        .value_kind:     by_value
      - .address_space:  global
        .offset:         8
        .size:           8
        .value_kind:     global_buffer
      - .offset:         16
        .size:           4
        .value_kind:     by_value
      - .offset:         20
        .size:           4
        .value_kind:     by_value
      - .offset:         24
        .size:           8
        .value_kind:     by_value
    .group_segment_fixed_size: 536
    .kernarg_segment_align: 8
    .kernarg_segment_size: 32
    .language:       OpenCL C
    .language_version:
      - 2
      - 0
    .max_flat_workgroup_size: 64
    .name:           _ZN9rocsolver6v33100L18trti2_kernel_smallILi33EdPdEEv13rocblas_fill_17rocblas_diagonal_T1_iil
    .private_segment_fixed_size: 272
    .sgpr_count:     24
    .sgpr_spill_count: 0
    .symbol:         _ZN9rocsolver6v33100L18trti2_kernel_smallILi33EdPdEEv13rocblas_fill_17rocblas_diagonal_T1_iil.kd
    .uniform_work_group_size: 1
    .uses_dynamic_stack: false
    .vgpr_count:     126
    .vgpr_spill_count: 0
    .wavefront_size: 64
  - .agpr_count:     0
    .args:
      - .offset:         0
        .size:           4
        .value_kind:     by_value
      - .offset:         4
        .size:           4
        .value_kind:     by_value
      - .address_space:  global
        .offset:         8
        .size:           8
        .value_kind:     global_buffer
      - .offset:         16
        .size:           4
        .value_kind:     by_value
      - .offset:         20
        .size:           4
        .value_kind:     by_value
      - .offset:         24
        .size:           8
        .value_kind:     by_value
    .group_segment_fixed_size: 544
    .kernarg_segment_align: 8
    .kernarg_segment_size: 32
    .language:       OpenCL C
    .language_version:
      - 2
      - 0
    .max_flat_workgroup_size: 64
    .name:           _ZN9rocsolver6v33100L18trti2_kernel_smallILi34EdPdEEv13rocblas_fill_17rocblas_diagonal_T1_iil
    .private_segment_fixed_size: 288
    .sgpr_count:     24
    .sgpr_spill_count: 0
    .symbol:         _ZN9rocsolver6v33100L18trti2_kernel_smallILi34EdPdEEv13rocblas_fill_17rocblas_diagonal_T1_iil.kd
    .uniform_work_group_size: 1
    .uses_dynamic_stack: false
    .vgpr_count:     124
    .vgpr_spill_count: 0
    .wavefront_size: 64
  - .agpr_count:     0
    .args:
      - .offset:         0
        .size:           4
        .value_kind:     by_value
      - .offset:         4
        .size:           4
        .value_kind:     by_value
      - .address_space:  global
        .offset:         8
        .size:           8
        .value_kind:     global_buffer
      - .offset:         16
        .size:           4
        .value_kind:     by_value
      - .offset:         20
        .size:           4
        .value_kind:     by_value
      - .offset:         24
        .size:           8
        .value_kind:     by_value
    .group_segment_fixed_size: 568
    .kernarg_segment_align: 8
    .kernarg_segment_size: 32
    .language:       OpenCL C
    .language_version:
      - 2
      - 0
    .max_flat_workgroup_size: 64
    .name:           _ZN9rocsolver6v33100L18trti2_kernel_smallILi35EdPdEEv13rocblas_fill_17rocblas_diagonal_T1_iil
    .private_segment_fixed_size: 288
    .sgpr_count:     24
    .sgpr_spill_count: 0
    .symbol:         _ZN9rocsolver6v33100L18trti2_kernel_smallILi35EdPdEEv13rocblas_fill_17rocblas_diagonal_T1_iil.kd
    .uniform_work_group_size: 1
    .uses_dynamic_stack: false
    .vgpr_count:     128
    .vgpr_spill_count: 0
    .wavefront_size: 64
  - .agpr_count:     0
    .args:
      - .offset:         0
        .size:           4
        .value_kind:     by_value
      - .offset:         4
        .size:           4
        .value_kind:     by_value
      - .address_space:  global
        .offset:         8
        .size:           8
        .value_kind:     global_buffer
      - .offset:         16
        .size:           4
        .value_kind:     by_value
      - .offset:         20
        .size:           4
        .value_kind:     by_value
      - .offset:         24
        .size:           8
        .value_kind:     by_value
    .group_segment_fixed_size: 576
    .kernarg_segment_align: 8
    .kernarg_segment_size: 32
    .language:       OpenCL C
    .language_version:
      - 2
      - 0
    .max_flat_workgroup_size: 64
    .name:           _ZN9rocsolver6v33100L18trti2_kernel_smallILi36EdPdEEv13rocblas_fill_17rocblas_diagonal_T1_iil
    .private_segment_fixed_size: 304
    .sgpr_count:     24
    .sgpr_spill_count: 0
    .symbol:         _ZN9rocsolver6v33100L18trti2_kernel_smallILi36EdPdEEv13rocblas_fill_17rocblas_diagonal_T1_iil.kd
    .uniform_work_group_size: 1
    .uses_dynamic_stack: false
    .vgpr_count:     128
    .vgpr_spill_count: 0
    .wavefront_size: 64
  - .agpr_count:     0
    .args:
      - .offset:         0
        .size:           4
        .value_kind:     by_value
      - .offset:         4
        .size:           4
        .value_kind:     by_value
      - .address_space:  global
        .offset:         8
        .size:           8
        .value_kind:     global_buffer
      - .offset:         16
        .size:           4
        .value_kind:     by_value
      - .offset:         20
        .size:           4
        .value_kind:     by_value
      - .offset:         24
        .size:           8
        .value_kind:     by_value
    .group_segment_fixed_size: 600
    .kernarg_segment_align: 8
    .kernarg_segment_size: 32
    .language:       OpenCL C
    .language_version:
      - 2
      - 0
    .max_flat_workgroup_size: 64
    .name:           _ZN9rocsolver6v33100L18trti2_kernel_smallILi37EdPdEEv13rocblas_fill_17rocblas_diagonal_T1_iil
    .private_segment_fixed_size: 304
    .sgpr_count:     24
    .sgpr_spill_count: 0
    .symbol:         _ZN9rocsolver6v33100L18trti2_kernel_smallILi37EdPdEEv13rocblas_fill_17rocblas_diagonal_T1_iil.kd
    .uniform_work_group_size: 1
    .uses_dynamic_stack: false
    .vgpr_count:     126
    .vgpr_spill_count: 0
    .wavefront_size: 64
  - .agpr_count:     0
    .args:
      - .offset:         0
        .size:           4
        .value_kind:     by_value
      - .offset:         4
        .size:           4
        .value_kind:     by_value
      - .address_space:  global
        .offset:         8
        .size:           8
        .value_kind:     global_buffer
      - .offset:         16
        .size:           4
        .value_kind:     by_value
      - .offset:         20
        .size:           4
        .value_kind:     by_value
      - .offset:         24
        .size:           8
        .value_kind:     by_value
    .group_segment_fixed_size: 608
    .kernarg_segment_align: 8
    .kernarg_segment_size: 32
    .language:       OpenCL C
    .language_version:
      - 2
      - 0
    .max_flat_workgroup_size: 64
    .name:           _ZN9rocsolver6v33100L18trti2_kernel_smallILi38EdPdEEv13rocblas_fill_17rocblas_diagonal_T1_iil
    .private_segment_fixed_size: 320
    .sgpr_count:     24
    .sgpr_spill_count: 0
    .symbol:         _ZN9rocsolver6v33100L18trti2_kernel_smallILi38EdPdEEv13rocblas_fill_17rocblas_diagonal_T1_iil.kd
    .uniform_work_group_size: 1
    .uses_dynamic_stack: false
    .vgpr_count:     124
    .vgpr_spill_count: 0
    .wavefront_size: 64
  - .agpr_count:     0
    .args:
      - .offset:         0
        .size:           4
        .value_kind:     by_value
      - .offset:         4
        .size:           4
        .value_kind:     by_value
      - .address_space:  global
        .offset:         8
        .size:           8
        .value_kind:     global_buffer
      - .offset:         16
        .size:           4
        .value_kind:     by_value
      - .offset:         20
        .size:           4
        .value_kind:     by_value
      - .offset:         24
        .size:           8
        .value_kind:     by_value
    .group_segment_fixed_size: 632
    .kernarg_segment_align: 8
    .kernarg_segment_size: 32
    .language:       OpenCL C
    .language_version:
      - 2
      - 0
    .max_flat_workgroup_size: 64
    .name:           _ZN9rocsolver6v33100L18trti2_kernel_smallILi39EdPdEEv13rocblas_fill_17rocblas_diagonal_T1_iil
    .private_segment_fixed_size: 320
    .sgpr_count:     24
    .sgpr_spill_count: 0
    .symbol:         _ZN9rocsolver6v33100L18trti2_kernel_smallILi39EdPdEEv13rocblas_fill_17rocblas_diagonal_T1_iil.kd
    .uniform_work_group_size: 1
    .uses_dynamic_stack: false
    .vgpr_count:     126
    .vgpr_spill_count: 0
    .wavefront_size: 64
  - .agpr_count:     0
    .args:
      - .offset:         0
        .size:           4
        .value_kind:     by_value
      - .offset:         4
        .size:           4
        .value_kind:     by_value
      - .address_space:  global
        .offset:         8
        .size:           8
        .value_kind:     global_buffer
      - .offset:         16
        .size:           4
        .value_kind:     by_value
      - .offset:         20
        .size:           4
        .value_kind:     by_value
      - .offset:         24
        .size:           8
        .value_kind:     by_value
    .group_segment_fixed_size: 640
    .kernarg_segment_align: 8
    .kernarg_segment_size: 32
    .language:       OpenCL C
    .language_version:
      - 2
      - 0
    .max_flat_workgroup_size: 64
    .name:           _ZN9rocsolver6v33100L18trti2_kernel_smallILi40EdPdEEv13rocblas_fill_17rocblas_diagonal_T1_iil
    .private_segment_fixed_size: 336
    .sgpr_count:     24
    .sgpr_spill_count: 0
    .symbol:         _ZN9rocsolver6v33100L18trti2_kernel_smallILi40EdPdEEv13rocblas_fill_17rocblas_diagonal_T1_iil.kd
    .uniform_work_group_size: 1
    .uses_dynamic_stack: false
    .vgpr_count:     162
    .vgpr_spill_count: 0
    .wavefront_size: 64
  - .agpr_count:     0
    .args:
      - .offset:         0
        .size:           4
        .value_kind:     by_value
      - .offset:         4
        .size:           4
        .value_kind:     by_value
      - .address_space:  global
        .offset:         8
        .size:           8
        .value_kind:     global_buffer
      - .offset:         16
        .size:           4
        .value_kind:     by_value
      - .offset:         20
        .size:           4
        .value_kind:     by_value
      - .offset:         24
        .size:           8
        .value_kind:     by_value
    .group_segment_fixed_size: 664
    .kernarg_segment_align: 8
    .kernarg_segment_size: 32
    .language:       OpenCL C
    .language_version:
      - 2
      - 0
    .max_flat_workgroup_size: 64
    .name:           _ZN9rocsolver6v33100L18trti2_kernel_smallILi41EdPdEEv13rocblas_fill_17rocblas_diagonal_T1_iil
    .private_segment_fixed_size: 336
    .sgpr_count:     24
    .sgpr_spill_count: 0
    .symbol:         _ZN9rocsolver6v33100L18trti2_kernel_smallILi41EdPdEEv13rocblas_fill_17rocblas_diagonal_T1_iil.kd
    .uniform_work_group_size: 1
    .uses_dynamic_stack: false
    .vgpr_count:     164
    .vgpr_spill_count: 0
    .wavefront_size: 64
  - .agpr_count:     0
    .args:
      - .offset:         0
        .size:           4
        .value_kind:     by_value
      - .offset:         4
        .size:           4
        .value_kind:     by_value
      - .address_space:  global
        .offset:         8
        .size:           8
        .value_kind:     global_buffer
      - .offset:         16
        .size:           4
        .value_kind:     by_value
      - .offset:         20
        .size:           4
        .value_kind:     by_value
      - .offset:         24
        .size:           8
        .value_kind:     by_value
    .group_segment_fixed_size: 672
    .kernarg_segment_align: 8
    .kernarg_segment_size: 32
    .language:       OpenCL C
    .language_version:
      - 2
      - 0
    .max_flat_workgroup_size: 64
    .name:           _ZN9rocsolver6v33100L18trti2_kernel_smallILi42EdPdEEv13rocblas_fill_17rocblas_diagonal_T1_iil
    .private_segment_fixed_size: 352
    .sgpr_count:     24
    .sgpr_spill_count: 0
    .symbol:         _ZN9rocsolver6v33100L18trti2_kernel_smallILi42EdPdEEv13rocblas_fill_17rocblas_diagonal_T1_iil.kd
    .uniform_work_group_size: 1
    .uses_dynamic_stack: false
    .vgpr_count:     168
    .vgpr_spill_count: 0
    .wavefront_size: 64
  - .agpr_count:     0
    .args:
      - .offset:         0
        .size:           4
        .value_kind:     by_value
      - .offset:         4
        .size:           4
        .value_kind:     by_value
      - .address_space:  global
        .offset:         8
        .size:           8
        .value_kind:     global_buffer
      - .offset:         16
        .size:           4
        .value_kind:     by_value
      - .offset:         20
        .size:           4
        .value_kind:     by_value
      - .offset:         24
        .size:           8
        .value_kind:     by_value
    .group_segment_fixed_size: 696
    .kernarg_segment_align: 8
    .kernarg_segment_size: 32
    .language:       OpenCL C
    .language_version:
      - 2
      - 0
    .max_flat_workgroup_size: 64
    .name:           _ZN9rocsolver6v33100L18trti2_kernel_smallILi43EdPdEEv13rocblas_fill_17rocblas_diagonal_T1_iil
    .private_segment_fixed_size: 352
    .sgpr_count:     24
    .sgpr_spill_count: 0
    .symbol:         _ZN9rocsolver6v33100L18trti2_kernel_smallILi43EdPdEEv13rocblas_fill_17rocblas_diagonal_T1_iil.kd
    .uniform_work_group_size: 1
    .uses_dynamic_stack: false
    .vgpr_count:     168
    .vgpr_spill_count: 0
    .wavefront_size: 64
  - .agpr_count:     0
    .args:
      - .offset:         0
        .size:           4
        .value_kind:     by_value
      - .offset:         4
        .size:           4
        .value_kind:     by_value
      - .address_space:  global
        .offset:         8
        .size:           8
        .value_kind:     global_buffer
      - .offset:         16
        .size:           4
        .value_kind:     by_value
      - .offset:         20
        .size:           4
        .value_kind:     by_value
      - .offset:         24
        .size:           8
        .value_kind:     by_value
    .group_segment_fixed_size: 704
    .kernarg_segment_align: 8
    .kernarg_segment_size: 32
    .language:       OpenCL C
    .language_version:
      - 2
      - 0
    .max_flat_workgroup_size: 64
    .name:           _ZN9rocsolver6v33100L18trti2_kernel_smallILi44EdPdEEv13rocblas_fill_17rocblas_diagonal_T1_iil
    .private_segment_fixed_size: 368
    .sgpr_count:     24
    .sgpr_spill_count: 0
    .symbol:         _ZN9rocsolver6v33100L18trti2_kernel_smallILi44EdPdEEv13rocblas_fill_17rocblas_diagonal_T1_iil.kd
    .uniform_work_group_size: 1
    .uses_dynamic_stack: false
    .vgpr_count:     168
    .vgpr_spill_count: 0
    .wavefront_size: 64
  - .agpr_count:     0
    .args:
      - .offset:         0
        .size:           4
        .value_kind:     by_value
      - .offset:         4
        .size:           4
        .value_kind:     by_value
      - .address_space:  global
        .offset:         8
        .size:           8
        .value_kind:     global_buffer
      - .offset:         16
        .size:           4
        .value_kind:     by_value
      - .offset:         20
        .size:           4
        .value_kind:     by_value
      - .offset:         24
        .size:           8
        .value_kind:     by_value
    .group_segment_fixed_size: 728
    .kernarg_segment_align: 8
    .kernarg_segment_size: 32
    .language:       OpenCL C
    .language_version:
      - 2
      - 0
    .max_flat_workgroup_size: 64
    .name:           _ZN9rocsolver6v33100L18trti2_kernel_smallILi45EdPdEEv13rocblas_fill_17rocblas_diagonal_T1_iil
    .private_segment_fixed_size: 368
    .sgpr_count:     24
    .sgpr_spill_count: 0
    .symbol:         _ZN9rocsolver6v33100L18trti2_kernel_smallILi45EdPdEEv13rocblas_fill_17rocblas_diagonal_T1_iil.kd
    .uniform_work_group_size: 1
    .uses_dynamic_stack: false
    .vgpr_count:     166
    .vgpr_spill_count: 0
    .wavefront_size: 64
  - .agpr_count:     0
    .args:
      - .offset:         0
        .size:           4
        .value_kind:     by_value
      - .offset:         4
        .size:           4
        .value_kind:     by_value
      - .address_space:  global
        .offset:         8
        .size:           8
        .value_kind:     global_buffer
      - .offset:         16
        .size:           4
        .value_kind:     by_value
      - .offset:         20
        .size:           4
        .value_kind:     by_value
      - .offset:         24
        .size:           8
        .value_kind:     by_value
    .group_segment_fixed_size: 736
    .kernarg_segment_align: 8
    .kernarg_segment_size: 32
    .language:       OpenCL C
    .language_version:
      - 2
      - 0
    .max_flat_workgroup_size: 64
    .name:           _ZN9rocsolver6v33100L18trti2_kernel_smallILi46EdPdEEv13rocblas_fill_17rocblas_diagonal_T1_iil
    .private_segment_fixed_size: 384
    .sgpr_count:     24
    .sgpr_spill_count: 0
    .symbol:         _ZN9rocsolver6v33100L18trti2_kernel_smallILi46EdPdEEv13rocblas_fill_17rocblas_diagonal_T1_iil.kd
    .uniform_work_group_size: 1
    .uses_dynamic_stack: false
    .vgpr_count:     164
    .vgpr_spill_count: 0
    .wavefront_size: 64
  - .agpr_count:     0
    .args:
      - .offset:         0
        .size:           4
        .value_kind:     by_value
      - .offset:         4
        .size:           4
        .value_kind:     by_value
      - .address_space:  global
        .offset:         8
        .size:           8
        .value_kind:     global_buffer
      - .offset:         16
        .size:           4
        .value_kind:     by_value
      - .offset:         20
        .size:           4
        .value_kind:     by_value
      - .offset:         24
        .size:           8
        .value_kind:     by_value
    .group_segment_fixed_size: 760
    .kernarg_segment_align: 8
    .kernarg_segment_size: 32
    .language:       OpenCL C
    .language_version:
      - 2
      - 0
    .max_flat_workgroup_size: 64
    .name:           _ZN9rocsolver6v33100L18trti2_kernel_smallILi47EdPdEEv13rocblas_fill_17rocblas_diagonal_T1_iil
    .private_segment_fixed_size: 384
    .sgpr_count:     24
    .sgpr_spill_count: 0
    .symbol:         _ZN9rocsolver6v33100L18trti2_kernel_smallILi47EdPdEEv13rocblas_fill_17rocblas_diagonal_T1_iil.kd
    .uniform_work_group_size: 1
    .uses_dynamic_stack: false
    .vgpr_count:     164
    .vgpr_spill_count: 0
    .wavefront_size: 64
  - .agpr_count:     0
    .args:
      - .offset:         0
        .size:           4
        .value_kind:     by_value
      - .offset:         4
        .size:           4
        .value_kind:     by_value
      - .address_space:  global
        .offset:         8
        .size:           8
        .value_kind:     global_buffer
      - .offset:         16
        .size:           4
        .value_kind:     by_value
      - .offset:         20
        .size:           4
        .value_kind:     by_value
      - .offset:         24
        .size:           8
        .value_kind:     by_value
    .group_segment_fixed_size: 768
    .kernarg_segment_align: 8
    .kernarg_segment_size: 32
    .language:       OpenCL C
    .language_version:
      - 2
      - 0
    .max_flat_workgroup_size: 64
    .name:           _ZN9rocsolver6v33100L18trti2_kernel_smallILi48EdPdEEv13rocblas_fill_17rocblas_diagonal_T1_iil
    .private_segment_fixed_size: 400
    .sgpr_count:     24
    .sgpr_spill_count: 0
    .symbol:         _ZN9rocsolver6v33100L18trti2_kernel_smallILi48EdPdEEv13rocblas_fill_17rocblas_diagonal_T1_iil.kd
    .uniform_work_group_size: 1
    .uses_dynamic_stack: false
    .vgpr_count:     164
    .vgpr_spill_count: 0
    .wavefront_size: 64
  - .agpr_count:     0
    .args:
      - .offset:         0
        .size:           4
        .value_kind:     by_value
      - .offset:         4
        .size:           4
        .value_kind:     by_value
      - .address_space:  global
        .offset:         8
        .size:           8
        .value_kind:     global_buffer
      - .offset:         16
        .size:           4
        .value_kind:     by_value
      - .offset:         20
        .size:           4
        .value_kind:     by_value
      - .offset:         24
        .size:           8
        .value_kind:     by_value
    .group_segment_fixed_size: 792
    .kernarg_segment_align: 8
    .kernarg_segment_size: 32
    .language:       OpenCL C
    .language_version:
      - 2
      - 0
    .max_flat_workgroup_size: 64
    .name:           _ZN9rocsolver6v33100L18trti2_kernel_smallILi49EdPdEEv13rocblas_fill_17rocblas_diagonal_T1_iil
    .private_segment_fixed_size: 400
    .sgpr_count:     24
    .sgpr_spill_count: 0
    .symbol:         _ZN9rocsolver6v33100L18trti2_kernel_smallILi49EdPdEEv13rocblas_fill_17rocblas_diagonal_T1_iil.kd
    .uniform_work_group_size: 1
    .uses_dynamic_stack: false
    .vgpr_count:     164
    .vgpr_spill_count: 0
    .wavefront_size: 64
  - .agpr_count:     0
    .args:
      - .offset:         0
        .size:           4
        .value_kind:     by_value
      - .offset:         4
        .size:           4
        .value_kind:     by_value
      - .address_space:  global
        .offset:         8
        .size:           8
        .value_kind:     global_buffer
      - .offset:         16
        .size:           4
        .value_kind:     by_value
      - .offset:         20
        .size:           4
        .value_kind:     by_value
      - .offset:         24
        .size:           8
        .value_kind:     by_value
    .group_segment_fixed_size: 800
    .kernarg_segment_align: 8
    .kernarg_segment_size: 32
    .language:       OpenCL C
    .language_version:
      - 2
      - 0
    .max_flat_workgroup_size: 64
    .name:           _ZN9rocsolver6v33100L18trti2_kernel_smallILi50EdPdEEv13rocblas_fill_17rocblas_diagonal_T1_iil
    .private_segment_fixed_size: 416
    .sgpr_count:     24
    .sgpr_spill_count: 0
    .symbol:         _ZN9rocsolver6v33100L18trti2_kernel_smallILi50EdPdEEv13rocblas_fill_17rocblas_diagonal_T1_iil.kd
    .uniform_work_group_size: 1
    .uses_dynamic_stack: false
    .vgpr_count:     164
    .vgpr_spill_count: 0
    .wavefront_size: 64
  - .agpr_count:     0
    .args:
      - .offset:         0
        .size:           4
        .value_kind:     by_value
      - .offset:         4
        .size:           4
        .value_kind:     by_value
      - .address_space:  global
        .offset:         8
        .size:           8
        .value_kind:     global_buffer
      - .offset:         16
        .size:           4
        .value_kind:     by_value
      - .offset:         20
        .size:           4
        .value_kind:     by_value
      - .offset:         24
        .size:           8
        .value_kind:     by_value
    .group_segment_fixed_size: 824
    .kernarg_segment_align: 8
    .kernarg_segment_size: 32
    .language:       OpenCL C
    .language_version:
      - 2
      - 0
    .max_flat_workgroup_size: 64
    .name:           _ZN9rocsolver6v33100L18trti2_kernel_smallILi51EdPdEEv13rocblas_fill_17rocblas_diagonal_T1_iil
    .private_segment_fixed_size: 416
    .sgpr_count:     24
    .sgpr_spill_count: 0
    .symbol:         _ZN9rocsolver6v33100L18trti2_kernel_smallILi51EdPdEEv13rocblas_fill_17rocblas_diagonal_T1_iil.kd
    .uniform_work_group_size: 1
    .uses_dynamic_stack: false
    .vgpr_count:     164
    .vgpr_spill_count: 0
    .wavefront_size: 64
  - .agpr_count:     0
    .args:
      - .offset:         0
        .size:           4
        .value_kind:     by_value
      - .offset:         4
        .size:           4
        .value_kind:     by_value
      - .address_space:  global
        .offset:         8
        .size:           8
        .value_kind:     global_buffer
      - .offset:         16
        .size:           4
        .value_kind:     by_value
      - .offset:         20
        .size:           4
        .value_kind:     by_value
      - .offset:         24
        .size:           8
        .value_kind:     by_value
    .group_segment_fixed_size: 832
    .kernarg_segment_align: 8
    .kernarg_segment_size: 32
    .language:       OpenCL C
    .language_version:
      - 2
      - 0
    .max_flat_workgroup_size: 64
    .name:           _ZN9rocsolver6v33100L18trti2_kernel_smallILi52EdPdEEv13rocblas_fill_17rocblas_diagonal_T1_iil
    .private_segment_fixed_size: 432
    .sgpr_count:     24
    .sgpr_spill_count: 0
    .symbol:         _ZN9rocsolver6v33100L18trti2_kernel_smallILi52EdPdEEv13rocblas_fill_17rocblas_diagonal_T1_iil.kd
    .uniform_work_group_size: 1
    .uses_dynamic_stack: false
    .vgpr_count:     166
    .vgpr_spill_count: 0
    .wavefront_size: 64
  - .agpr_count:     0
    .args:
      - .offset:         0
        .size:           4
        .value_kind:     by_value
      - .offset:         4
        .size:           4
        .value_kind:     by_value
      - .address_space:  global
        .offset:         8
        .size:           8
        .value_kind:     global_buffer
      - .offset:         16
        .size:           4
        .value_kind:     by_value
      - .offset:         20
        .size:           4
        .value_kind:     by_value
      - .offset:         24
        .size:           8
        .value_kind:     by_value
    .group_segment_fixed_size: 856
    .kernarg_segment_align: 8
    .kernarg_segment_size: 32
    .language:       OpenCL C
    .language_version:
      - 2
      - 0
    .max_flat_workgroup_size: 64
    .name:           _ZN9rocsolver6v33100L18trti2_kernel_smallILi53EdPdEEv13rocblas_fill_17rocblas_diagonal_T1_iil
    .private_segment_fixed_size: 432
    .sgpr_count:     24
    .sgpr_spill_count: 0
    .symbol:         _ZN9rocsolver6v33100L18trti2_kernel_smallILi53EdPdEEv13rocblas_fill_17rocblas_diagonal_T1_iil.kd
    .uniform_work_group_size: 1
    .uses_dynamic_stack: false
    .vgpr_count:     212
    .vgpr_spill_count: 0
    .wavefront_size: 64
  - .agpr_count:     0
    .args:
      - .offset:         0
        .size:           4
        .value_kind:     by_value
      - .offset:         4
        .size:           4
        .value_kind:     by_value
      - .address_space:  global
        .offset:         8
        .size:           8
        .value_kind:     global_buffer
      - .offset:         16
        .size:           4
        .value_kind:     by_value
      - .offset:         20
        .size:           4
        .value_kind:     by_value
      - .offset:         24
        .size:           8
        .value_kind:     by_value
    .group_segment_fixed_size: 864
    .kernarg_segment_align: 8
    .kernarg_segment_size: 32
    .language:       OpenCL C
    .language_version:
      - 2
      - 0
    .max_flat_workgroup_size: 64
    .name:           _ZN9rocsolver6v33100L18trti2_kernel_smallILi54EdPdEEv13rocblas_fill_17rocblas_diagonal_T1_iil
    .private_segment_fixed_size: 448
    .sgpr_count:     24
    .sgpr_spill_count: 0
    .symbol:         _ZN9rocsolver6v33100L18trti2_kernel_smallILi54EdPdEEv13rocblas_fill_17rocblas_diagonal_T1_iil.kd
    .uniform_work_group_size: 1
    .uses_dynamic_stack: false
    .vgpr_count:     216
    .vgpr_spill_count: 0
    .wavefront_size: 64
  - .agpr_count:     0
    .args:
      - .offset:         0
        .size:           4
        .value_kind:     by_value
      - .offset:         4
        .size:           4
        .value_kind:     by_value
      - .address_space:  global
        .offset:         8
        .size:           8
        .value_kind:     global_buffer
      - .offset:         16
        .size:           4
        .value_kind:     by_value
      - .offset:         20
        .size:           4
        .value_kind:     by_value
      - .offset:         24
        .size:           8
        .value_kind:     by_value
    .group_segment_fixed_size: 888
    .kernarg_segment_align: 8
    .kernarg_segment_size: 32
    .language:       OpenCL C
    .language_version:
      - 2
      - 0
    .max_flat_workgroup_size: 64
    .name:           _ZN9rocsolver6v33100L18trti2_kernel_smallILi55EdPdEEv13rocblas_fill_17rocblas_diagonal_T1_iil
    .private_segment_fixed_size: 448
    .sgpr_count:     24
    .sgpr_spill_count: 0
    .symbol:         _ZN9rocsolver6v33100L18trti2_kernel_smallILi55EdPdEEv13rocblas_fill_17rocblas_diagonal_T1_iil.kd
    .uniform_work_group_size: 1
    .uses_dynamic_stack: false
    .vgpr_count:     220
    .vgpr_spill_count: 0
    .wavefront_size: 64
  - .agpr_count:     0
    .args:
      - .offset:         0
        .size:           4
        .value_kind:     by_value
      - .offset:         4
        .size:           4
        .value_kind:     by_value
      - .address_space:  global
        .offset:         8
        .size:           8
        .value_kind:     global_buffer
      - .offset:         16
        .size:           4
        .value_kind:     by_value
      - .offset:         20
        .size:           4
        .value_kind:     by_value
      - .offset:         24
        .size:           8
        .value_kind:     by_value
    .group_segment_fixed_size: 896
    .kernarg_segment_align: 8
    .kernarg_segment_size: 32
    .language:       OpenCL C
    .language_version:
      - 2
      - 0
    .max_flat_workgroup_size: 64
    .name:           _ZN9rocsolver6v33100L18trti2_kernel_smallILi56EdPdEEv13rocblas_fill_17rocblas_diagonal_T1_iil
    .private_segment_fixed_size: 464
    .sgpr_count:     24
    .sgpr_spill_count: 0
    .symbol:         _ZN9rocsolver6v33100L18trti2_kernel_smallILi56EdPdEEv13rocblas_fill_17rocblas_diagonal_T1_iil.kd
    .uniform_work_group_size: 1
    .uses_dynamic_stack: false
    .vgpr_count:     224
    .vgpr_spill_count: 0
    .wavefront_size: 64
  - .agpr_count:     0
    .args:
      - .offset:         0
        .size:           4
        .value_kind:     by_value
      - .offset:         4
        .size:           4
        .value_kind:     by_value
      - .address_space:  global
        .offset:         8
        .size:           8
        .value_kind:     global_buffer
      - .offset:         16
        .size:           4
        .value_kind:     by_value
      - .offset:         20
        .size:           4
        .value_kind:     by_value
      - .offset:         24
        .size:           8
        .value_kind:     by_value
    .group_segment_fixed_size: 920
    .kernarg_segment_align: 8
    .kernarg_segment_size: 32
    .language:       OpenCL C
    .language_version:
      - 2
      - 0
    .max_flat_workgroup_size: 64
    .name:           _ZN9rocsolver6v33100L18trti2_kernel_smallILi57EdPdEEv13rocblas_fill_17rocblas_diagonal_T1_iil
    .private_segment_fixed_size: 464
    .sgpr_count:     24
    .sgpr_spill_count: 0
    .symbol:         _ZN9rocsolver6v33100L18trti2_kernel_smallILi57EdPdEEv13rocblas_fill_17rocblas_diagonal_T1_iil.kd
    .uniform_work_group_size: 1
    .uses_dynamic_stack: false
    .vgpr_count:     228
    .vgpr_spill_count: 0
    .wavefront_size: 64
  - .agpr_count:     0
    .args:
      - .offset:         0
        .size:           4
        .value_kind:     by_value
      - .offset:         4
        .size:           4
        .value_kind:     by_value
      - .address_space:  global
        .offset:         8
        .size:           8
        .value_kind:     global_buffer
      - .offset:         16
        .size:           4
        .value_kind:     by_value
      - .offset:         20
        .size:           4
        .value_kind:     by_value
      - .offset:         24
        .size:           8
        .value_kind:     by_value
    .group_segment_fixed_size: 928
    .kernarg_segment_align: 8
    .kernarg_segment_size: 32
    .language:       OpenCL C
    .language_version:
      - 2
      - 0
    .max_flat_workgroup_size: 64
    .name:           _ZN9rocsolver6v33100L18trti2_kernel_smallILi58EdPdEEv13rocblas_fill_17rocblas_diagonal_T1_iil
    .private_segment_fixed_size: 480
    .sgpr_count:     24
    .sgpr_spill_count: 0
    .symbol:         _ZN9rocsolver6v33100L18trti2_kernel_smallILi58EdPdEEv13rocblas_fill_17rocblas_diagonal_T1_iil.kd
    .uniform_work_group_size: 1
    .uses_dynamic_stack: false
    .vgpr_count:     232
    .vgpr_spill_count: 0
    .wavefront_size: 64
  - .agpr_count:     0
    .args:
      - .offset:         0
        .size:           4
        .value_kind:     by_value
      - .offset:         4
        .size:           4
        .value_kind:     by_value
      - .address_space:  global
        .offset:         8
        .size:           8
        .value_kind:     global_buffer
      - .offset:         16
        .size:           4
        .value_kind:     by_value
      - .offset:         20
        .size:           4
        .value_kind:     by_value
      - .offset:         24
        .size:           8
        .value_kind:     by_value
    .group_segment_fixed_size: 952
    .kernarg_segment_align: 8
    .kernarg_segment_size: 32
    .language:       OpenCL C
    .language_version:
      - 2
      - 0
    .max_flat_workgroup_size: 64
    .name:           _ZN9rocsolver6v33100L18trti2_kernel_smallILi59EdPdEEv13rocblas_fill_17rocblas_diagonal_T1_iil
    .private_segment_fixed_size: 480
    .sgpr_count:     24
    .sgpr_spill_count: 0
    .symbol:         _ZN9rocsolver6v33100L18trti2_kernel_smallILi59EdPdEEv13rocblas_fill_17rocblas_diagonal_T1_iil.kd
    .uniform_work_group_size: 1
    .uses_dynamic_stack: false
    .vgpr_count:     236
    .vgpr_spill_count: 0
    .wavefront_size: 64
  - .agpr_count:     0
    .args:
      - .offset:         0
        .size:           4
        .value_kind:     by_value
      - .offset:         4
        .size:           4
        .value_kind:     by_value
      - .address_space:  global
        .offset:         8
        .size:           8
        .value_kind:     global_buffer
      - .offset:         16
        .size:           4
        .value_kind:     by_value
      - .offset:         20
        .size:           4
        .value_kind:     by_value
      - .offset:         24
        .size:           8
        .value_kind:     by_value
    .group_segment_fixed_size: 960
    .kernarg_segment_align: 8
    .kernarg_segment_size: 32
    .language:       OpenCL C
    .language_version:
      - 2
      - 0
    .max_flat_workgroup_size: 64
    .name:           _ZN9rocsolver6v33100L18trti2_kernel_smallILi60EdPdEEv13rocblas_fill_17rocblas_diagonal_T1_iil
    .private_segment_fixed_size: 496
    .sgpr_count:     24
    .sgpr_spill_count: 0
    .symbol:         _ZN9rocsolver6v33100L18trti2_kernel_smallILi60EdPdEEv13rocblas_fill_17rocblas_diagonal_T1_iil.kd
    .uniform_work_group_size: 1
    .uses_dynamic_stack: false
    .vgpr_count:     240
    .vgpr_spill_count: 0
    .wavefront_size: 64
  - .agpr_count:     0
    .args:
      - .offset:         0
        .size:           4
        .value_kind:     by_value
      - .offset:         4
        .size:           4
        .value_kind:     by_value
      - .address_space:  global
        .offset:         8
        .size:           8
        .value_kind:     global_buffer
      - .offset:         16
        .size:           4
        .value_kind:     by_value
      - .offset:         20
        .size:           4
        .value_kind:     by_value
      - .offset:         24
        .size:           8
        .value_kind:     by_value
    .group_segment_fixed_size: 984
    .kernarg_segment_align: 8
    .kernarg_segment_size: 32
    .language:       OpenCL C
    .language_version:
      - 2
      - 0
    .max_flat_workgroup_size: 64
    .name:           _ZN9rocsolver6v33100L18trti2_kernel_smallILi61EdPdEEv13rocblas_fill_17rocblas_diagonal_T1_iil
    .private_segment_fixed_size: 496
    .sgpr_count:     24
    .sgpr_spill_count: 0
    .symbol:         _ZN9rocsolver6v33100L18trti2_kernel_smallILi61EdPdEEv13rocblas_fill_17rocblas_diagonal_T1_iil.kd
    .uniform_work_group_size: 1
    .uses_dynamic_stack: false
    .vgpr_count:     244
    .vgpr_spill_count: 0
    .wavefront_size: 64
  - .agpr_count:     0
    .args:
      - .offset:         0
        .size:           4
        .value_kind:     by_value
      - .offset:         4
        .size:           4
        .value_kind:     by_value
      - .address_space:  global
        .offset:         8
        .size:           8
        .value_kind:     global_buffer
      - .offset:         16
        .size:           4
        .value_kind:     by_value
      - .offset:         20
        .size:           4
        .value_kind:     by_value
      - .offset:         24
        .size:           8
        .value_kind:     by_value
    .group_segment_fixed_size: 992
    .kernarg_segment_align: 8
    .kernarg_segment_size: 32
    .language:       OpenCL C
    .language_version:
      - 2
      - 0
    .max_flat_workgroup_size: 64
    .name:           _ZN9rocsolver6v33100L18trti2_kernel_smallILi62EdPdEEv13rocblas_fill_17rocblas_diagonal_T1_iil
    .private_segment_fixed_size: 512
    .sgpr_count:     24
    .sgpr_spill_count: 0
    .symbol:         _ZN9rocsolver6v33100L18trti2_kernel_smallILi62EdPdEEv13rocblas_fill_17rocblas_diagonal_T1_iil.kd
    .uniform_work_group_size: 1
    .uses_dynamic_stack: false
    .vgpr_count:     248
    .vgpr_spill_count: 0
    .wavefront_size: 64
  - .agpr_count:     0
    .args:
      - .offset:         0
        .size:           4
        .value_kind:     by_value
      - .offset:         4
        .size:           4
        .value_kind:     by_value
      - .address_space:  global
        .offset:         8
        .size:           8
        .value_kind:     global_buffer
      - .offset:         16
        .size:           4
        .value_kind:     by_value
      - .offset:         20
        .size:           4
        .value_kind:     by_value
      - .offset:         24
        .size:           8
        .value_kind:     by_value
    .group_segment_fixed_size: 1016
    .kernarg_segment_align: 8
    .kernarg_segment_size: 32
    .language:       OpenCL C
    .language_version:
      - 2
      - 0
    .max_flat_workgroup_size: 64
    .name:           _ZN9rocsolver6v33100L18trti2_kernel_smallILi63EdPdEEv13rocblas_fill_17rocblas_diagonal_T1_iil
    .private_segment_fixed_size: 512
    .sgpr_count:     24
    .sgpr_spill_count: 0
    .symbol:         _ZN9rocsolver6v33100L18trti2_kernel_smallILi63EdPdEEv13rocblas_fill_17rocblas_diagonal_T1_iil.kd
    .uniform_work_group_size: 1
    .uses_dynamic_stack: false
    .vgpr_count:     252
    .vgpr_spill_count: 0
    .wavefront_size: 64
  - .agpr_count:     0
    .args:
      - .offset:         0
        .size:           4
        .value_kind:     by_value
      - .offset:         4
        .size:           4
        .value_kind:     by_value
      - .address_space:  global
        .offset:         8
        .size:           8
        .value_kind:     global_buffer
      - .offset:         16
        .size:           4
        .value_kind:     by_value
      - .offset:         20
        .size:           4
        .value_kind:     by_value
      - .offset:         24
        .size:           8
        .value_kind:     by_value
    .group_segment_fixed_size: 1024
    .kernarg_segment_align: 8
    .kernarg_segment_size: 32
    .language:       OpenCL C
    .language_version:
      - 2
      - 0
    .max_flat_workgroup_size: 64
    .name:           _ZN9rocsolver6v33100L18trti2_kernel_smallILi64EdPdEEv13rocblas_fill_17rocblas_diagonal_T1_iil
    .private_segment_fixed_size: 528
    .sgpr_count:     24
    .sgpr_spill_count: 0
    .symbol:         _ZN9rocsolver6v33100L18trti2_kernel_smallILi64EdPdEEv13rocblas_fill_17rocblas_diagonal_T1_iil.kd
    .uniform_work_group_size: 1
    .uses_dynamic_stack: false
    .vgpr_count:     256
    .vgpr_spill_count: 0
    .wavefront_size: 64
  - .agpr_count:     0
    .args:
      - .offset:         0
        .size:           4
        .value_kind:     by_value
      - .offset:         4
        .size:           4
        .value_kind:     by_value
      - .address_space:  global
        .offset:         8
        .size:           8
        .value_kind:     global_buffer
      - .offset:         16
        .size:           4
        .value_kind:     by_value
      - .offset:         20
        .size:           4
        .value_kind:     by_value
      - .offset:         24
        .size:           8
        .value_kind:     by_value
    .group_segment_fixed_size: 0
    .kernarg_segment_align: 8
    .kernarg_segment_size: 32
    .language:       OpenCL C
    .language_version:
      - 2
      - 0
    .max_flat_workgroup_size: 64
    .name:           _ZN9rocsolver6v33100L18trti2_kernel_smallILi1EdPKPdEEv13rocblas_fill_17rocblas_diagonal_T1_iil
    .private_segment_fixed_size: 0
    .sgpr_count:     13
    .sgpr_spill_count: 0
    .symbol:         _ZN9rocsolver6v33100L18trti2_kernel_smallILi1EdPKPdEEv13rocblas_fill_17rocblas_diagonal_T1_iil.kd
    .uniform_work_group_size: 1
    .uses_dynamic_stack: false
    .vgpr_count:     11
    .vgpr_spill_count: 0
    .wavefront_size: 64
  - .agpr_count:     0
    .args:
      - .offset:         0
        .size:           4
        .value_kind:     by_value
      - .offset:         4
        .size:           4
        .value_kind:     by_value
      - .address_space:  global
        .offset:         8
        .size:           8
        .value_kind:     global_buffer
      - .offset:         16
        .size:           4
        .value_kind:     by_value
      - .offset:         20
        .size:           4
        .value_kind:     by_value
      - .offset:         24
        .size:           8
        .value_kind:     by_value
    .group_segment_fixed_size: 32
    .kernarg_segment_align: 8
    .kernarg_segment_size: 32
    .language:       OpenCL C
    .language_version:
      - 2
      - 0
    .max_flat_workgroup_size: 64
    .name:           _ZN9rocsolver6v33100L18trti2_kernel_smallILi2EdPKPdEEv13rocblas_fill_17rocblas_diagonal_T1_iil
    .private_segment_fixed_size: 0
    .sgpr_count:     16
    .sgpr_spill_count: 0
    .symbol:         _ZN9rocsolver6v33100L18trti2_kernel_smallILi2EdPKPdEEv13rocblas_fill_17rocblas_diagonal_T1_iil.kd
    .uniform_work_group_size: 1
    .uses_dynamic_stack: false
    .vgpr_count:     20
    .vgpr_spill_count: 0
    .wavefront_size: 64
  - .agpr_count:     0
    .args:
      - .offset:         0
        .size:           4
        .value_kind:     by_value
      - .offset:         4
        .size:           4
        .value_kind:     by_value
      - .address_space:  global
        .offset:         8
        .size:           8
        .value_kind:     global_buffer
      - .offset:         16
        .size:           4
        .value_kind:     by_value
      - .offset:         20
        .size:           4
        .value_kind:     by_value
      - .offset:         24
        .size:           8
        .value_kind:     by_value
    .group_segment_fixed_size: 56
    .kernarg_segment_align: 8
    .kernarg_segment_size: 32
    .language:       OpenCL C
    .language_version:
      - 2
      - 0
    .max_flat_workgroup_size: 64
    .name:           _ZN9rocsolver6v33100L18trti2_kernel_smallILi3EdPKPdEEv13rocblas_fill_17rocblas_diagonal_T1_iil
    .private_segment_fixed_size: 0
    .sgpr_count:     16
    .sgpr_spill_count: 0
    .symbol:         _ZN9rocsolver6v33100L18trti2_kernel_smallILi3EdPKPdEEv13rocblas_fill_17rocblas_diagonal_T1_iil.kd
    .uniform_work_group_size: 1
    .uses_dynamic_stack: false
    .vgpr_count:     24
    .vgpr_spill_count: 0
    .wavefront_size: 64
  - .agpr_count:     0
    .args:
      - .offset:         0
        .size:           4
        .value_kind:     by_value
      - .offset:         4
        .size:           4
        .value_kind:     by_value
      - .address_space:  global
        .offset:         8
        .size:           8
        .value_kind:     global_buffer
      - .offset:         16
        .size:           4
        .value_kind:     by_value
      - .offset:         20
        .size:           4
        .value_kind:     by_value
      - .offset:         24
        .size:           8
        .value_kind:     by_value
    .group_segment_fixed_size: 64
    .kernarg_segment_align: 8
    .kernarg_segment_size: 32
    .language:       OpenCL C
    .language_version:
      - 2
      - 0
    .max_flat_workgroup_size: 64
    .name:           _ZN9rocsolver6v33100L18trti2_kernel_smallILi4EdPKPdEEv13rocblas_fill_17rocblas_diagonal_T1_iil
    .private_segment_fixed_size: 0
    .sgpr_count:     20
    .sgpr_spill_count: 0
    .symbol:         _ZN9rocsolver6v33100L18trti2_kernel_smallILi4EdPKPdEEv13rocblas_fill_17rocblas_diagonal_T1_iil.kd
    .uniform_work_group_size: 1
    .uses_dynamic_stack: false
    .vgpr_count:     49
    .vgpr_spill_count: 0
    .wavefront_size: 64
  - .agpr_count:     0
    .args:
      - .offset:         0
        .size:           4
        .value_kind:     by_value
      - .offset:         4
        .size:           4
        .value_kind:     by_value
      - .address_space:  global
        .offset:         8
        .size:           8
        .value_kind:     global_buffer
      - .offset:         16
        .size:           4
        .value_kind:     by_value
      - .offset:         20
        .size:           4
        .value_kind:     by_value
      - .offset:         24
        .size:           8
        .value_kind:     by_value
    .group_segment_fixed_size: 88
    .kernarg_segment_align: 8
    .kernarg_segment_size: 32
    .language:       OpenCL C
    .language_version:
      - 2
      - 0
    .max_flat_workgroup_size: 64
    .name:           _ZN9rocsolver6v33100L18trti2_kernel_smallILi5EdPKPdEEv13rocblas_fill_17rocblas_diagonal_T1_iil
    .private_segment_fixed_size: 0
    .sgpr_count:     22
    .sgpr_spill_count: 0
    .symbol:         _ZN9rocsolver6v33100L18trti2_kernel_smallILi5EdPKPdEEv13rocblas_fill_17rocblas_diagonal_T1_iil.kd
    .uniform_work_group_size: 1
    .uses_dynamic_stack: false
    .vgpr_count:     62
    .vgpr_spill_count: 0
    .wavefront_size: 64
  - .agpr_count:     0
    .args:
      - .offset:         0
        .size:           4
        .value_kind:     by_value
      - .offset:         4
        .size:           4
        .value_kind:     by_value
      - .address_space:  global
        .offset:         8
        .size:           8
        .value_kind:     global_buffer
      - .offset:         16
        .size:           4
        .value_kind:     by_value
      - .offset:         20
        .size:           4
        .value_kind:     by_value
      - .offset:         24
        .size:           8
        .value_kind:     by_value
    .group_segment_fixed_size: 96
    .kernarg_segment_align: 8
    .kernarg_segment_size: 32
    .language:       OpenCL C
    .language_version:
      - 2
      - 0
    .max_flat_workgroup_size: 64
    .name:           _ZN9rocsolver6v33100L18trti2_kernel_smallILi6EdPKPdEEv13rocblas_fill_17rocblas_diagonal_T1_iil
    .private_segment_fixed_size: 0
    .sgpr_count:     34
    .sgpr_spill_count: 0
    .symbol:         _ZN9rocsolver6v33100L18trti2_kernel_smallILi6EdPKPdEEv13rocblas_fill_17rocblas_diagonal_T1_iil.kd
    .uniform_work_group_size: 1
    .uses_dynamic_stack: false
    .vgpr_count:     70
    .vgpr_spill_count: 0
    .wavefront_size: 64
  - .agpr_count:     0
    .args:
      - .offset:         0
        .size:           4
        .value_kind:     by_value
      - .offset:         4
        .size:           4
        .value_kind:     by_value
      - .address_space:  global
        .offset:         8
        .size:           8
        .value_kind:     global_buffer
      - .offset:         16
        .size:           4
        .value_kind:     by_value
      - .offset:         20
        .size:           4
        .value_kind:     by_value
      - .offset:         24
        .size:           8
        .value_kind:     by_value
    .group_segment_fixed_size: 120
    .kernarg_segment_align: 8
    .kernarg_segment_size: 32
    .language:       OpenCL C
    .language_version:
      - 2
      - 0
    .max_flat_workgroup_size: 64
    .name:           _ZN9rocsolver6v33100L18trti2_kernel_smallILi7EdPKPdEEv13rocblas_fill_17rocblas_diagonal_T1_iil
    .private_segment_fixed_size: 0
    .sgpr_count:     34
    .sgpr_spill_count: 0
    .symbol:         _ZN9rocsolver6v33100L18trti2_kernel_smallILi7EdPKPdEEv13rocblas_fill_17rocblas_diagonal_T1_iil.kd
    .uniform_work_group_size: 1
    .uses_dynamic_stack: false
    .vgpr_count:     74
    .vgpr_spill_count: 0
    .wavefront_size: 64
  - .agpr_count:     0
    .args:
      - .offset:         0
        .size:           4
        .value_kind:     by_value
      - .offset:         4
        .size:           4
        .value_kind:     by_value
      - .address_space:  global
        .offset:         8
        .size:           8
        .value_kind:     global_buffer
      - .offset:         16
        .size:           4
        .value_kind:     by_value
      - .offset:         20
        .size:           4
        .value_kind:     by_value
      - .offset:         24
        .size:           8
        .value_kind:     by_value
    .group_segment_fixed_size: 128
    .kernarg_segment_align: 8
    .kernarg_segment_size: 32
    .language:       OpenCL C
    .language_version:
      - 2
      - 0
    .max_flat_workgroup_size: 64
    .name:           _ZN9rocsolver6v33100L18trti2_kernel_smallILi8EdPKPdEEv13rocblas_fill_17rocblas_diagonal_T1_iil
    .private_segment_fixed_size: 0
    .sgpr_count:     34
    .sgpr_spill_count: 0
    .symbol:         _ZN9rocsolver6v33100L18trti2_kernel_smallILi8EdPKPdEEv13rocblas_fill_17rocblas_diagonal_T1_iil.kd
    .uniform_work_group_size: 1
    .uses_dynamic_stack: false
    .vgpr_count:     78
    .vgpr_spill_count: 0
    .wavefront_size: 64
  - .agpr_count:     0
    .args:
      - .offset:         0
        .size:           4
        .value_kind:     by_value
      - .offset:         4
        .size:           4
        .value_kind:     by_value
      - .address_space:  global
        .offset:         8
        .size:           8
        .value_kind:     global_buffer
      - .offset:         16
        .size:           4
        .value_kind:     by_value
      - .offset:         20
        .size:           4
        .value_kind:     by_value
      - .offset:         24
        .size:           8
        .value_kind:     by_value
    .group_segment_fixed_size: 152
    .kernarg_segment_align: 8
    .kernarg_segment_size: 32
    .language:       OpenCL C
    .language_version:
      - 2
      - 0
    .max_flat_workgroup_size: 64
    .name:           _ZN9rocsolver6v33100L18trti2_kernel_smallILi9EdPKPdEEv13rocblas_fill_17rocblas_diagonal_T1_iil
    .private_segment_fixed_size: 0
    .sgpr_count:     34
    .sgpr_spill_count: 0
    .symbol:         _ZN9rocsolver6v33100L18trti2_kernel_smallILi9EdPKPdEEv13rocblas_fill_17rocblas_diagonal_T1_iil.kd
    .uniform_work_group_size: 1
    .uses_dynamic_stack: false
    .vgpr_count:     112
    .vgpr_spill_count: 0
    .wavefront_size: 64
  - .agpr_count:     0
    .args:
      - .offset:         0
        .size:           4
        .value_kind:     by_value
      - .offset:         4
        .size:           4
        .value_kind:     by_value
      - .address_space:  global
        .offset:         8
        .size:           8
        .value_kind:     global_buffer
      - .offset:         16
        .size:           4
        .value_kind:     by_value
      - .offset:         20
        .size:           4
        .value_kind:     by_value
      - .offset:         24
        .size:           8
        .value_kind:     by_value
    .group_segment_fixed_size: 160
    .kernarg_segment_align: 8
    .kernarg_segment_size: 32
    .language:       OpenCL C
    .language_version:
      - 2
      - 0
    .max_flat_workgroup_size: 64
    .name:           _ZN9rocsolver6v33100L18trti2_kernel_smallILi10EdPKPdEEv13rocblas_fill_17rocblas_diagonal_T1_iil
    .private_segment_fixed_size: 0
    .sgpr_count:     40
    .sgpr_spill_count: 0
    .symbol:         _ZN9rocsolver6v33100L18trti2_kernel_smallILi10EdPKPdEEv13rocblas_fill_17rocblas_diagonal_T1_iil.kd
    .uniform_work_group_size: 1
    .uses_dynamic_stack: false
    .vgpr_count:     102
    .vgpr_spill_count: 0
    .wavefront_size: 64
  - .agpr_count:     0
    .args:
      - .offset:         0
        .size:           4
        .value_kind:     by_value
      - .offset:         4
        .size:           4
        .value_kind:     by_value
      - .address_space:  global
        .offset:         8
        .size:           8
        .value_kind:     global_buffer
      - .offset:         16
        .size:           4
        .value_kind:     by_value
      - .offset:         20
        .size:           4
        .value_kind:     by_value
      - .offset:         24
        .size:           8
        .value_kind:     by_value
    .group_segment_fixed_size: 184
    .kernarg_segment_align: 8
    .kernarg_segment_size: 32
    .language:       OpenCL C
    .language_version:
      - 2
      - 0
    .max_flat_workgroup_size: 64
    .name:           _ZN9rocsolver6v33100L18trti2_kernel_smallILi11EdPKPdEEv13rocblas_fill_17rocblas_diagonal_T1_iil
    .private_segment_fixed_size: 0
    .sgpr_count:     46
    .sgpr_spill_count: 0
    .symbol:         _ZN9rocsolver6v33100L18trti2_kernel_smallILi11EdPKPdEEv13rocblas_fill_17rocblas_diagonal_T1_iil.kd
    .uniform_work_group_size: 1
    .uses_dynamic_stack: false
    .vgpr_count:     106
    .vgpr_spill_count: 0
    .wavefront_size: 64
  - .agpr_count:     0
    .args:
      - .offset:         0
        .size:           4
        .value_kind:     by_value
      - .offset:         4
        .size:           4
        .value_kind:     by_value
      - .address_space:  global
        .offset:         8
        .size:           8
        .value_kind:     global_buffer
      - .offset:         16
        .size:           4
        .value_kind:     by_value
      - .offset:         20
        .size:           4
        .value_kind:     by_value
      - .offset:         24
        .size:           8
        .value_kind:     by_value
    .group_segment_fixed_size: 192
    .kernarg_segment_align: 8
    .kernarg_segment_size: 32
    .language:       OpenCL C
    .language_version:
      - 2
      - 0
    .max_flat_workgroup_size: 64
    .name:           _ZN9rocsolver6v33100L18trti2_kernel_smallILi12EdPKPdEEv13rocblas_fill_17rocblas_diagonal_T1_iil
    .private_segment_fixed_size: 0
    .sgpr_count:     46
    .sgpr_spill_count: 0
    .symbol:         _ZN9rocsolver6v33100L18trti2_kernel_smallILi12EdPKPdEEv13rocblas_fill_17rocblas_diagonal_T1_iil.kd
    .uniform_work_group_size: 1
    .uses_dynamic_stack: false
    .vgpr_count:     110
    .vgpr_spill_count: 0
    .wavefront_size: 64
  - .agpr_count:     0
    .args:
      - .offset:         0
        .size:           4
        .value_kind:     by_value
      - .offset:         4
        .size:           4
        .value_kind:     by_value
      - .address_space:  global
        .offset:         8
        .size:           8
        .value_kind:     global_buffer
      - .offset:         16
        .size:           4
        .value_kind:     by_value
      - .offset:         20
        .size:           4
        .value_kind:     by_value
      - .offset:         24
        .size:           8
        .value_kind:     by_value
    .group_segment_fixed_size: 216
    .kernarg_segment_align: 8
    .kernarg_segment_size: 32
    .language:       OpenCL C
    .language_version:
      - 2
      - 0
    .max_flat_workgroup_size: 64
    .name:           _ZN9rocsolver6v33100L18trti2_kernel_smallILi13EdPKPdEEv13rocblas_fill_17rocblas_diagonal_T1_iil
    .private_segment_fixed_size: 0
    .sgpr_count:     48
    .sgpr_spill_count: 0
    .symbol:         _ZN9rocsolver6v33100L18trti2_kernel_smallILi13EdPKPdEEv13rocblas_fill_17rocblas_diagonal_T1_iil.kd
    .uniform_work_group_size: 1
    .uses_dynamic_stack: false
    .vgpr_count:     114
    .vgpr_spill_count: 0
    .wavefront_size: 64
  - .agpr_count:     0
    .args:
      - .offset:         0
        .size:           4
        .value_kind:     by_value
      - .offset:         4
        .size:           4
        .value_kind:     by_value
      - .address_space:  global
        .offset:         8
        .size:           8
        .value_kind:     global_buffer
      - .offset:         16
        .size:           4
        .value_kind:     by_value
      - .offset:         20
        .size:           4
        .value_kind:     by_value
      - .offset:         24
        .size:           8
        .value_kind:     by_value
    .group_segment_fixed_size: 224
    .kernarg_segment_align: 8
    .kernarg_segment_size: 32
    .language:       OpenCL C
    .language_version:
      - 2
      - 0
    .max_flat_workgroup_size: 64
    .name:           _ZN9rocsolver6v33100L18trti2_kernel_smallILi14EdPKPdEEv13rocblas_fill_17rocblas_diagonal_T1_iil
    .private_segment_fixed_size: 0
    .sgpr_count:     50
    .sgpr_spill_count: 0
    .symbol:         _ZN9rocsolver6v33100L18trti2_kernel_smallILi14EdPKPdEEv13rocblas_fill_17rocblas_diagonal_T1_iil.kd
    .uniform_work_group_size: 1
    .uses_dynamic_stack: false
    .vgpr_count:     118
    .vgpr_spill_count: 0
    .wavefront_size: 64
  - .agpr_count:     0
    .args:
      - .offset:         0
        .size:           4
        .value_kind:     by_value
      - .offset:         4
        .size:           4
        .value_kind:     by_value
      - .address_space:  global
        .offset:         8
        .size:           8
        .value_kind:     global_buffer
      - .offset:         16
        .size:           4
        .value_kind:     by_value
      - .offset:         20
        .size:           4
        .value_kind:     by_value
      - .offset:         24
        .size:           8
        .value_kind:     by_value
    .group_segment_fixed_size: 248
    .kernarg_segment_align: 8
    .kernarg_segment_size: 32
    .language:       OpenCL C
    .language_version:
      - 2
      - 0
    .max_flat_workgroup_size: 64
    .name:           _ZN9rocsolver6v33100L18trti2_kernel_smallILi15EdPKPdEEv13rocblas_fill_17rocblas_diagonal_T1_iil
    .private_segment_fixed_size: 0
    .sgpr_count:     52
    .sgpr_spill_count: 0
    .symbol:         _ZN9rocsolver6v33100L18trti2_kernel_smallILi15EdPKPdEEv13rocblas_fill_17rocblas_diagonal_T1_iil.kd
    .uniform_work_group_size: 1
    .uses_dynamic_stack: false
    .vgpr_count:     122
    .vgpr_spill_count: 0
    .wavefront_size: 64
  - .agpr_count:     0
    .args:
      - .offset:         0
        .size:           4
        .value_kind:     by_value
      - .offset:         4
        .size:           4
        .value_kind:     by_value
      - .address_space:  global
        .offset:         8
        .size:           8
        .value_kind:     global_buffer
      - .offset:         16
        .size:           4
        .value_kind:     by_value
      - .offset:         20
        .size:           4
        .value_kind:     by_value
      - .offset:         24
        .size:           8
        .value_kind:     by_value
    .group_segment_fixed_size: 256
    .kernarg_segment_align: 8
    .kernarg_segment_size: 32
    .language:       OpenCL C
    .language_version:
      - 2
      - 0
    .max_flat_workgroup_size: 64
    .name:           _ZN9rocsolver6v33100L18trti2_kernel_smallILi16EdPKPdEEv13rocblas_fill_17rocblas_diagonal_T1_iil
    .private_segment_fixed_size: 0
    .sgpr_count:     54
    .sgpr_spill_count: 0
    .symbol:         _ZN9rocsolver6v33100L18trti2_kernel_smallILi16EdPKPdEEv13rocblas_fill_17rocblas_diagonal_T1_iil.kd
    .uniform_work_group_size: 1
    .uses_dynamic_stack: false
    .vgpr_count:     126
    .vgpr_spill_count: 0
    .wavefront_size: 64
  - .agpr_count:     0
    .args:
      - .offset:         0
        .size:           4
        .value_kind:     by_value
      - .offset:         4
        .size:           4
        .value_kind:     by_value
      - .address_space:  global
        .offset:         8
        .size:           8
        .value_kind:     global_buffer
      - .offset:         16
        .size:           4
        .value_kind:     by_value
      - .offset:         20
        .size:           4
        .value_kind:     by_value
      - .offset:         24
        .size:           8
        .value_kind:     by_value
    .group_segment_fixed_size: 280
    .kernarg_segment_align: 8
    .kernarg_segment_size: 32
    .language:       OpenCL C
    .language_version:
      - 2
      - 0
    .max_flat_workgroup_size: 64
    .name:           _ZN9rocsolver6v33100L18trti2_kernel_smallILi17EdPKPdEEv13rocblas_fill_17rocblas_diagonal_T1_iil
    .private_segment_fixed_size: 144
    .sgpr_count:     20
    .sgpr_spill_count: 0
    .symbol:         _ZN9rocsolver6v33100L18trti2_kernel_smallILi17EdPKPdEEv13rocblas_fill_17rocblas_diagonal_T1_iil.kd
    .uniform_work_group_size: 1
    .uses_dynamic_stack: false
    .vgpr_count:     70
    .vgpr_spill_count: 0
    .wavefront_size: 64
  - .agpr_count:     0
    .args:
      - .offset:         0
        .size:           4
        .value_kind:     by_value
      - .offset:         4
        .size:           4
        .value_kind:     by_value
      - .address_space:  global
        .offset:         8
        .size:           8
        .value_kind:     global_buffer
      - .offset:         16
        .size:           4
        .value_kind:     by_value
      - .offset:         20
        .size:           4
        .value_kind:     by_value
      - .offset:         24
        .size:           8
        .value_kind:     by_value
    .group_segment_fixed_size: 288
    .kernarg_segment_align: 8
    .kernarg_segment_size: 32
    .language:       OpenCL C
    .language_version:
      - 2
      - 0
    .max_flat_workgroup_size: 64
    .name:           _ZN9rocsolver6v33100L18trti2_kernel_smallILi18EdPKPdEEv13rocblas_fill_17rocblas_diagonal_T1_iil
    .private_segment_fixed_size: 160
    .sgpr_count:     20
    .sgpr_spill_count: 0
    .symbol:         _ZN9rocsolver6v33100L18trti2_kernel_smallILi18EdPKPdEEv13rocblas_fill_17rocblas_diagonal_T1_iil.kd
    .uniform_work_group_size: 1
    .uses_dynamic_stack: false
    .vgpr_count:     72
    .vgpr_spill_count: 0
    .wavefront_size: 64
  - .agpr_count:     0
    .args:
      - .offset:         0
        .size:           4
        .value_kind:     by_value
      - .offset:         4
        .size:           4
        .value_kind:     by_value
      - .address_space:  global
        .offset:         8
        .size:           8
        .value_kind:     global_buffer
      - .offset:         16
        .size:           4
        .value_kind:     by_value
      - .offset:         20
        .size:           4
        .value_kind:     by_value
      - .offset:         24
        .size:           8
        .value_kind:     by_value
    .group_segment_fixed_size: 312
    .kernarg_segment_align: 8
    .kernarg_segment_size: 32
    .language:       OpenCL C
    .language_version:
      - 2
      - 0
    .max_flat_workgroup_size: 64
    .name:           _ZN9rocsolver6v33100L18trti2_kernel_smallILi19EdPKPdEEv13rocblas_fill_17rocblas_diagonal_T1_iil
    .private_segment_fixed_size: 160
    .sgpr_count:     20
    .sgpr_spill_count: 0
    .symbol:         _ZN9rocsolver6v33100L18trti2_kernel_smallILi19EdPKPdEEv13rocblas_fill_17rocblas_diagonal_T1_iil.kd
    .uniform_work_group_size: 1
    .uses_dynamic_stack: false
    .vgpr_count:     76
    .vgpr_spill_count: 0
    .wavefront_size: 64
  - .agpr_count:     0
    .args:
      - .offset:         0
        .size:           4
        .value_kind:     by_value
      - .offset:         4
        .size:           4
        .value_kind:     by_value
      - .address_space:  global
        .offset:         8
        .size:           8
        .value_kind:     global_buffer
      - .offset:         16
        .size:           4
        .value_kind:     by_value
      - .offset:         20
        .size:           4
        .value_kind:     by_value
      - .offset:         24
        .size:           8
        .value_kind:     by_value
    .group_segment_fixed_size: 320
    .kernarg_segment_align: 8
    .kernarg_segment_size: 32
    .language:       OpenCL C
    .language_version:
      - 2
      - 0
    .max_flat_workgroup_size: 64
    .name:           _ZN9rocsolver6v33100L18trti2_kernel_smallILi20EdPKPdEEv13rocblas_fill_17rocblas_diagonal_T1_iil
    .private_segment_fixed_size: 176
    .sgpr_count:     20
    .sgpr_spill_count: 0
    .symbol:         _ZN9rocsolver6v33100L18trti2_kernel_smallILi20EdPKPdEEv13rocblas_fill_17rocblas_diagonal_T1_iil.kd
    .uniform_work_group_size: 1
    .uses_dynamic_stack: false
    .vgpr_count:     80
    .vgpr_spill_count: 0
    .wavefront_size: 64
  - .agpr_count:     0
    .args:
      - .offset:         0
        .size:           4
        .value_kind:     by_value
      - .offset:         4
        .size:           4
        .value_kind:     by_value
      - .address_space:  global
        .offset:         8
        .size:           8
        .value_kind:     global_buffer
      - .offset:         16
        .size:           4
        .value_kind:     by_value
      - .offset:         20
        .size:           4
        .value_kind:     by_value
      - .offset:         24
        .size:           8
        .value_kind:     by_value
    .group_segment_fixed_size: 344
    .kernarg_segment_align: 8
    .kernarg_segment_size: 32
    .language:       OpenCL C
    .language_version:
      - 2
      - 0
    .max_flat_workgroup_size: 64
    .name:           _ZN9rocsolver6v33100L18trti2_kernel_smallILi21EdPKPdEEv13rocblas_fill_17rocblas_diagonal_T1_iil
    .private_segment_fixed_size: 176
    .sgpr_count:     20
    .sgpr_spill_count: 0
    .symbol:         _ZN9rocsolver6v33100L18trti2_kernel_smallILi21EdPKPdEEv13rocblas_fill_17rocblas_diagonal_T1_iil.kd
    .uniform_work_group_size: 1
    .uses_dynamic_stack: false
    .vgpr_count:     86
    .vgpr_spill_count: 0
    .wavefront_size: 64
  - .agpr_count:     0
    .args:
      - .offset:         0
        .size:           4
        .value_kind:     by_value
      - .offset:         4
        .size:           4
        .value_kind:     by_value
      - .address_space:  global
        .offset:         8
        .size:           8
        .value_kind:     global_buffer
      - .offset:         16
        .size:           4
        .value_kind:     by_value
      - .offset:         20
        .size:           4
        .value_kind:     by_value
      - .offset:         24
        .size:           8
        .value_kind:     by_value
    .group_segment_fixed_size: 352
    .kernarg_segment_align: 8
    .kernarg_segment_size: 32
    .language:       OpenCL C
    .language_version:
      - 2
      - 0
    .max_flat_workgroup_size: 64
    .name:           _ZN9rocsolver6v33100L18trti2_kernel_smallILi22EdPKPdEEv13rocblas_fill_17rocblas_diagonal_T1_iil
    .private_segment_fixed_size: 192
    .sgpr_count:     20
    .sgpr_spill_count: 0
    .symbol:         _ZN9rocsolver6v33100L18trti2_kernel_smallILi22EdPKPdEEv13rocblas_fill_17rocblas_diagonal_T1_iil.kd
    .uniform_work_group_size: 1
    .uses_dynamic_stack: false
    .vgpr_count:     90
    .vgpr_spill_count: 0
    .wavefront_size: 64
  - .agpr_count:     0
    .args:
      - .offset:         0
        .size:           4
        .value_kind:     by_value
      - .offset:         4
        .size:           4
        .value_kind:     by_value
      - .address_space:  global
        .offset:         8
        .size:           8
        .value_kind:     global_buffer
      - .offset:         16
        .size:           4
        .value_kind:     by_value
      - .offset:         20
        .size:           4
        .value_kind:     by_value
      - .offset:         24
        .size:           8
        .value_kind:     by_value
    .group_segment_fixed_size: 376
    .kernarg_segment_align: 8
    .kernarg_segment_size: 32
    .language:       OpenCL C
    .language_version:
      - 2
      - 0
    .max_flat_workgroup_size: 64
    .name:           _ZN9rocsolver6v33100L18trti2_kernel_smallILi23EdPKPdEEv13rocblas_fill_17rocblas_diagonal_T1_iil
    .private_segment_fixed_size: 192
    .sgpr_count:     20
    .sgpr_spill_count: 0
    .symbol:         _ZN9rocsolver6v33100L18trti2_kernel_smallILi23EdPKPdEEv13rocblas_fill_17rocblas_diagonal_T1_iil.kd
    .uniform_work_group_size: 1
    .uses_dynamic_stack: false
    .vgpr_count:     92
    .vgpr_spill_count: 0
    .wavefront_size: 64
  - .agpr_count:     0
    .args:
      - .offset:         0
        .size:           4
        .value_kind:     by_value
      - .offset:         4
        .size:           4
        .value_kind:     by_value
      - .address_space:  global
        .offset:         8
        .size:           8
        .value_kind:     global_buffer
      - .offset:         16
        .size:           4
        .value_kind:     by_value
      - .offset:         20
        .size:           4
        .value_kind:     by_value
      - .offset:         24
        .size:           8
        .value_kind:     by_value
    .group_segment_fixed_size: 384
    .kernarg_segment_align: 8
    .kernarg_segment_size: 32
    .language:       OpenCL C
    .language_version:
      - 2
      - 0
    .max_flat_workgroup_size: 64
    .name:           _ZN9rocsolver6v33100L18trti2_kernel_smallILi24EdPKPdEEv13rocblas_fill_17rocblas_diagonal_T1_iil
    .private_segment_fixed_size: 208
    .sgpr_count:     20
    .sgpr_spill_count: 0
    .symbol:         _ZN9rocsolver6v33100L18trti2_kernel_smallILi24EdPKPdEEv13rocblas_fill_17rocblas_diagonal_T1_iil.kd
    .uniform_work_group_size: 1
    .uses_dynamic_stack: false
    .vgpr_count:     96
    .vgpr_spill_count: 0
    .wavefront_size: 64
  - .agpr_count:     0
    .args:
      - .offset:         0
        .size:           4
        .value_kind:     by_value
      - .offset:         4
        .size:           4
        .value_kind:     by_value
      - .address_space:  global
        .offset:         8
        .size:           8
        .value_kind:     global_buffer
      - .offset:         16
        .size:           4
        .value_kind:     by_value
      - .offset:         20
        .size:           4
        .value_kind:     by_value
      - .offset:         24
        .size:           8
        .value_kind:     by_value
    .group_segment_fixed_size: 408
    .kernarg_segment_align: 8
    .kernarg_segment_size: 32
    .language:       OpenCL C
    .language_version:
      - 2
      - 0
    .max_flat_workgroup_size: 64
    .name:           _ZN9rocsolver6v33100L18trti2_kernel_smallILi25EdPKPdEEv13rocblas_fill_17rocblas_diagonal_T1_iil
    .private_segment_fixed_size: 208
    .sgpr_count:     20
    .sgpr_spill_count: 0
    .symbol:         _ZN9rocsolver6v33100L18trti2_kernel_smallILi25EdPKPdEEv13rocblas_fill_17rocblas_diagonal_T1_iil.kd
    .uniform_work_group_size: 1
    .uses_dynamic_stack: false
    .vgpr_count:     102
    .vgpr_spill_count: 0
    .wavefront_size: 64
  - .agpr_count:     0
    .args:
      - .offset:         0
        .size:           4
        .value_kind:     by_value
      - .offset:         4
        .size:           4
        .value_kind:     by_value
      - .address_space:  global
        .offset:         8
        .size:           8
        .value_kind:     global_buffer
      - .offset:         16
        .size:           4
        .value_kind:     by_value
      - .offset:         20
        .size:           4
        .value_kind:     by_value
      - .offset:         24
        .size:           8
        .value_kind:     by_value
    .group_segment_fixed_size: 416
    .kernarg_segment_align: 8
    .kernarg_segment_size: 32
    .language:       OpenCL C
    .language_version:
      - 2
      - 0
    .max_flat_workgroup_size: 64
    .name:           _ZN9rocsolver6v33100L18trti2_kernel_smallILi26EdPKPdEEv13rocblas_fill_17rocblas_diagonal_T1_iil
    .private_segment_fixed_size: 224
    .sgpr_count:     20
    .sgpr_spill_count: 0
    .symbol:         _ZN9rocsolver6v33100L18trti2_kernel_smallILi26EdPKPdEEv13rocblas_fill_17rocblas_diagonal_T1_iil.kd
    .uniform_work_group_size: 1
    .uses_dynamic_stack: false
    .vgpr_count:     106
    .vgpr_spill_count: 0
    .wavefront_size: 64
  - .agpr_count:     0
    .args:
      - .offset:         0
        .size:           4
        .value_kind:     by_value
      - .offset:         4
        .size:           4
        .value_kind:     by_value
      - .address_space:  global
        .offset:         8
        .size:           8
        .value_kind:     global_buffer
      - .offset:         16
        .size:           4
        .value_kind:     by_value
      - .offset:         20
        .size:           4
        .value_kind:     by_value
      - .offset:         24
        .size:           8
        .value_kind:     by_value
    .group_segment_fixed_size: 440
    .kernarg_segment_align: 8
    .kernarg_segment_size: 32
    .language:       OpenCL C
    .language_version:
      - 2
      - 0
    .max_flat_workgroup_size: 64
    .name:           _ZN9rocsolver6v33100L18trti2_kernel_smallILi27EdPKPdEEv13rocblas_fill_17rocblas_diagonal_T1_iil
    .private_segment_fixed_size: 224
    .sgpr_count:     20
    .sgpr_spill_count: 0
    .symbol:         _ZN9rocsolver6v33100L18trti2_kernel_smallILi27EdPKPdEEv13rocblas_fill_17rocblas_diagonal_T1_iil.kd
    .uniform_work_group_size: 1
    .uses_dynamic_stack: false
    .vgpr_count:     110
    .vgpr_spill_count: 0
    .wavefront_size: 64
  - .agpr_count:     0
    .args:
      - .offset:         0
        .size:           4
        .value_kind:     by_value
      - .offset:         4
        .size:           4
        .value_kind:     by_value
      - .address_space:  global
        .offset:         8
        .size:           8
        .value_kind:     global_buffer
      - .offset:         16
        .size:           4
        .value_kind:     by_value
      - .offset:         20
        .size:           4
        .value_kind:     by_value
      - .offset:         24
        .size:           8
        .value_kind:     by_value
    .group_segment_fixed_size: 448
    .kernarg_segment_align: 8
    .kernarg_segment_size: 32
    .language:       OpenCL C
    .language_version:
      - 2
      - 0
    .max_flat_workgroup_size: 64
    .name:           _ZN9rocsolver6v33100L18trti2_kernel_smallILi28EdPKPdEEv13rocblas_fill_17rocblas_diagonal_T1_iil
    .private_segment_fixed_size: 240
    .sgpr_count:     20
    .sgpr_spill_count: 0
    .symbol:         _ZN9rocsolver6v33100L18trti2_kernel_smallILi28EdPKPdEEv13rocblas_fill_17rocblas_diagonal_T1_iil.kd
    .uniform_work_group_size: 1
    .uses_dynamic_stack: false
    .vgpr_count:     114
    .vgpr_spill_count: 0
    .wavefront_size: 64
  - .agpr_count:     0
    .args:
      - .offset:         0
        .size:           4
        .value_kind:     by_value
      - .offset:         4
        .size:           4
        .value_kind:     by_value
      - .address_space:  global
        .offset:         8
        .size:           8
        .value_kind:     global_buffer
      - .offset:         16
        .size:           4
        .value_kind:     by_value
      - .offset:         20
        .size:           4
        .value_kind:     by_value
      - .offset:         24
        .size:           8
        .value_kind:     by_value
    .group_segment_fixed_size: 472
    .kernarg_segment_align: 8
    .kernarg_segment_size: 32
    .language:       OpenCL C
    .language_version:
      - 2
      - 0
    .max_flat_workgroup_size: 64
    .name:           _ZN9rocsolver6v33100L18trti2_kernel_smallILi29EdPKPdEEv13rocblas_fill_17rocblas_diagonal_T1_iil
    .private_segment_fixed_size: 240
    .sgpr_count:     20
    .sgpr_spill_count: 0
    .symbol:         _ZN9rocsolver6v33100L18trti2_kernel_smallILi29EdPKPdEEv13rocblas_fill_17rocblas_diagonal_T1_iil.kd
    .uniform_work_group_size: 1
    .uses_dynamic_stack: false
    .vgpr_count:     118
    .vgpr_spill_count: 0
    .wavefront_size: 64
  - .agpr_count:     0
    .args:
      - .offset:         0
        .size:           4
        .value_kind:     by_value
      - .offset:         4
        .size:           4
        .value_kind:     by_value
      - .address_space:  global
        .offset:         8
        .size:           8
        .value_kind:     global_buffer
      - .offset:         16
        .size:           4
        .value_kind:     by_value
      - .offset:         20
        .size:           4
        .value_kind:     by_value
      - .offset:         24
        .size:           8
        .value_kind:     by_value
    .group_segment_fixed_size: 480
    .kernarg_segment_align: 8
    .kernarg_segment_size: 32
    .language:       OpenCL C
    .language_version:
      - 2
      - 0
    .max_flat_workgroup_size: 64
    .name:           _ZN9rocsolver6v33100L18trti2_kernel_smallILi30EdPKPdEEv13rocblas_fill_17rocblas_diagonal_T1_iil
    .private_segment_fixed_size: 256
    .sgpr_count:     20
    .sgpr_spill_count: 0
    .symbol:         _ZN9rocsolver6v33100L18trti2_kernel_smallILi30EdPKPdEEv13rocblas_fill_17rocblas_diagonal_T1_iil.kd
    .uniform_work_group_size: 1
    .uses_dynamic_stack: false
    .vgpr_count:     122
    .vgpr_spill_count: 0
    .wavefront_size: 64
  - .agpr_count:     0
    .args:
      - .offset:         0
        .size:           4
        .value_kind:     by_value
      - .offset:         4
        .size:           4
        .value_kind:     by_value
      - .address_space:  global
        .offset:         8
        .size:           8
        .value_kind:     global_buffer
      - .offset:         16
        .size:           4
        .value_kind:     by_value
      - .offset:         20
        .size:           4
        .value_kind:     by_value
      - .offset:         24
        .size:           8
        .value_kind:     by_value
    .group_segment_fixed_size: 504
    .kernarg_segment_align: 8
    .kernarg_segment_size: 32
    .language:       OpenCL C
    .language_version:
      - 2
      - 0
    .max_flat_workgroup_size: 64
    .name:           _ZN9rocsolver6v33100L18trti2_kernel_smallILi31EdPKPdEEv13rocblas_fill_17rocblas_diagonal_T1_iil
    .private_segment_fixed_size: 256
    .sgpr_count:     20
    .sgpr_spill_count: 0
    .symbol:         _ZN9rocsolver6v33100L18trti2_kernel_smallILi31EdPKPdEEv13rocblas_fill_17rocblas_diagonal_T1_iil.kd
    .uniform_work_group_size: 1
    .uses_dynamic_stack: false
    .vgpr_count:     124
    .vgpr_spill_count: 0
    .wavefront_size: 64
  - .agpr_count:     0
    .args:
      - .offset:         0
        .size:           4
        .value_kind:     by_value
      - .offset:         4
        .size:           4
        .value_kind:     by_value
      - .address_space:  global
        .offset:         8
        .size:           8
        .value_kind:     global_buffer
      - .offset:         16
        .size:           4
        .value_kind:     by_value
      - .offset:         20
        .size:           4
        .value_kind:     by_value
      - .offset:         24
        .size:           8
        .value_kind:     by_value
    .group_segment_fixed_size: 512
    .kernarg_segment_align: 8
    .kernarg_segment_size: 32
    .language:       OpenCL C
    .language_version:
      - 2
      - 0
    .max_flat_workgroup_size: 64
    .name:           _ZN9rocsolver6v33100L18trti2_kernel_smallILi32EdPKPdEEv13rocblas_fill_17rocblas_diagonal_T1_iil
    .private_segment_fixed_size: 272
    .sgpr_count:     20
    .sgpr_spill_count: 0
    .symbol:         _ZN9rocsolver6v33100L18trti2_kernel_smallILi32EdPKPdEEv13rocblas_fill_17rocblas_diagonal_T1_iil.kd
    .uniform_work_group_size: 1
    .uses_dynamic_stack: false
    .vgpr_count:     128
    .vgpr_spill_count: 0
    .wavefront_size: 64
  - .agpr_count:     0
    .args:
      - .offset:         0
        .size:           4
        .value_kind:     by_value
      - .offset:         4
        .size:           4
        .value_kind:     by_value
      - .address_space:  global
        .offset:         8
        .size:           8
        .value_kind:     global_buffer
      - .offset:         16
        .size:           4
        .value_kind:     by_value
      - .offset:         20
        .size:           4
        .value_kind:     by_value
      - .offset:         24
        .size:           8
        .value_kind:     by_value
    .group_segment_fixed_size: 536
    .kernarg_segment_align: 8
    .kernarg_segment_size: 32
    .language:       OpenCL C
    .language_version:
      - 2
      - 0
    .max_flat_workgroup_size: 64
    .name:           _ZN9rocsolver6v33100L18trti2_kernel_smallILi33EdPKPdEEv13rocblas_fill_17rocblas_diagonal_T1_iil
    .private_segment_fixed_size: 272
    .sgpr_count:     20
    .sgpr_spill_count: 0
    .symbol:         _ZN9rocsolver6v33100L18trti2_kernel_smallILi33EdPKPdEEv13rocblas_fill_17rocblas_diagonal_T1_iil.kd
    .uniform_work_group_size: 1
    .uses_dynamic_stack: false
    .vgpr_count:     124
    .vgpr_spill_count: 0
    .wavefront_size: 64
  - .agpr_count:     0
    .args:
      - .offset:         0
        .size:           4
        .value_kind:     by_value
      - .offset:         4
        .size:           4
        .value_kind:     by_value
      - .address_space:  global
        .offset:         8
        .size:           8
        .value_kind:     global_buffer
      - .offset:         16
        .size:           4
        .value_kind:     by_value
      - .offset:         20
        .size:           4
        .value_kind:     by_value
      - .offset:         24
        .size:           8
        .value_kind:     by_value
    .group_segment_fixed_size: 544
    .kernarg_segment_align: 8
    .kernarg_segment_size: 32
    .language:       OpenCL C
    .language_version:
      - 2
      - 0
    .max_flat_workgroup_size: 64
    .name:           _ZN9rocsolver6v33100L18trti2_kernel_smallILi34EdPKPdEEv13rocblas_fill_17rocblas_diagonal_T1_iil
    .private_segment_fixed_size: 288
    .sgpr_count:     20
    .sgpr_spill_count: 0
    .symbol:         _ZN9rocsolver6v33100L18trti2_kernel_smallILi34EdPKPdEEv13rocblas_fill_17rocblas_diagonal_T1_iil.kd
    .uniform_work_group_size: 1
    .uses_dynamic_stack: false
    .vgpr_count:     124
    .vgpr_spill_count: 0
    .wavefront_size: 64
  - .agpr_count:     0
    .args:
      - .offset:         0
        .size:           4
        .value_kind:     by_value
      - .offset:         4
        .size:           4
        .value_kind:     by_value
      - .address_space:  global
        .offset:         8
        .size:           8
        .value_kind:     global_buffer
      - .offset:         16
        .size:           4
        .value_kind:     by_value
      - .offset:         20
        .size:           4
        .value_kind:     by_value
      - .offset:         24
        .size:           8
        .value_kind:     by_value
    .group_segment_fixed_size: 568
    .kernarg_segment_align: 8
    .kernarg_segment_size: 32
    .language:       OpenCL C
    .language_version:
      - 2
      - 0
    .max_flat_workgroup_size: 64
    .name:           _ZN9rocsolver6v33100L18trti2_kernel_smallILi35EdPKPdEEv13rocblas_fill_17rocblas_diagonal_T1_iil
    .private_segment_fixed_size: 288
    .sgpr_count:     20
    .sgpr_spill_count: 0
    .symbol:         _ZN9rocsolver6v33100L18trti2_kernel_smallILi35EdPKPdEEv13rocblas_fill_17rocblas_diagonal_T1_iil.kd
    .uniform_work_group_size: 1
    .uses_dynamic_stack: false
    .vgpr_count:     124
    .vgpr_spill_count: 0
    .wavefront_size: 64
  - .agpr_count:     0
    .args:
      - .offset:         0
        .size:           4
        .value_kind:     by_value
      - .offset:         4
        .size:           4
        .value_kind:     by_value
      - .address_space:  global
        .offset:         8
        .size:           8
        .value_kind:     global_buffer
      - .offset:         16
        .size:           4
        .value_kind:     by_value
      - .offset:         20
        .size:           4
        .value_kind:     by_value
      - .offset:         24
        .size:           8
        .value_kind:     by_value
    .group_segment_fixed_size: 576
    .kernarg_segment_align: 8
    .kernarg_segment_size: 32
    .language:       OpenCL C
    .language_version:
      - 2
      - 0
    .max_flat_workgroup_size: 64
    .name:           _ZN9rocsolver6v33100L18trti2_kernel_smallILi36EdPKPdEEv13rocblas_fill_17rocblas_diagonal_T1_iil
    .private_segment_fixed_size: 304
    .sgpr_count:     20
    .sgpr_spill_count: 0
    .symbol:         _ZN9rocsolver6v33100L18trti2_kernel_smallILi36EdPKPdEEv13rocblas_fill_17rocblas_diagonal_T1_iil.kd
    .uniform_work_group_size: 1
    .uses_dynamic_stack: false
    .vgpr_count:     124
    .vgpr_spill_count: 0
    .wavefront_size: 64
  - .agpr_count:     0
    .args:
      - .offset:         0
        .size:           4
        .value_kind:     by_value
      - .offset:         4
        .size:           4
        .value_kind:     by_value
      - .address_space:  global
        .offset:         8
        .size:           8
        .value_kind:     global_buffer
      - .offset:         16
        .size:           4
        .value_kind:     by_value
      - .offset:         20
        .size:           4
        .value_kind:     by_value
      - .offset:         24
        .size:           8
        .value_kind:     by_value
    .group_segment_fixed_size: 600
    .kernarg_segment_align: 8
    .kernarg_segment_size: 32
    .language:       OpenCL C
    .language_version:
      - 2
      - 0
    .max_flat_workgroup_size: 64
    .name:           _ZN9rocsolver6v33100L18trti2_kernel_smallILi37EdPKPdEEv13rocblas_fill_17rocblas_diagonal_T1_iil
    .private_segment_fixed_size: 304
    .sgpr_count:     20
    .sgpr_spill_count: 0
    .symbol:         _ZN9rocsolver6v33100L18trti2_kernel_smallILi37EdPKPdEEv13rocblas_fill_17rocblas_diagonal_T1_iil.kd
    .uniform_work_group_size: 1
    .uses_dynamic_stack: false
    .vgpr_count:     124
    .vgpr_spill_count: 0
    .wavefront_size: 64
  - .agpr_count:     0
    .args:
      - .offset:         0
        .size:           4
        .value_kind:     by_value
      - .offset:         4
        .size:           4
        .value_kind:     by_value
      - .address_space:  global
        .offset:         8
        .size:           8
        .value_kind:     global_buffer
      - .offset:         16
        .size:           4
        .value_kind:     by_value
      - .offset:         20
        .size:           4
        .value_kind:     by_value
      - .offset:         24
        .size:           8
        .value_kind:     by_value
    .group_segment_fixed_size: 608
    .kernarg_segment_align: 8
    .kernarg_segment_size: 32
    .language:       OpenCL C
    .language_version:
      - 2
      - 0
    .max_flat_workgroup_size: 64
    .name:           _ZN9rocsolver6v33100L18trti2_kernel_smallILi38EdPKPdEEv13rocblas_fill_17rocblas_diagonal_T1_iil
    .private_segment_fixed_size: 320
    .sgpr_count:     20
    .sgpr_spill_count: 0
    .symbol:         _ZN9rocsolver6v33100L18trti2_kernel_smallILi38EdPKPdEEv13rocblas_fill_17rocblas_diagonal_T1_iil.kd
    .uniform_work_group_size: 1
    .uses_dynamic_stack: false
    .vgpr_count:     124
    .vgpr_spill_count: 0
    .wavefront_size: 64
  - .agpr_count:     0
    .args:
      - .offset:         0
        .size:           4
        .value_kind:     by_value
      - .offset:         4
        .size:           4
        .value_kind:     by_value
      - .address_space:  global
        .offset:         8
        .size:           8
        .value_kind:     global_buffer
      - .offset:         16
        .size:           4
        .value_kind:     by_value
      - .offset:         20
        .size:           4
        .value_kind:     by_value
      - .offset:         24
        .size:           8
        .value_kind:     by_value
    .group_segment_fixed_size: 632
    .kernarg_segment_align: 8
    .kernarg_segment_size: 32
    .language:       OpenCL C
    .language_version:
      - 2
      - 0
    .max_flat_workgroup_size: 64
    .name:           _ZN9rocsolver6v33100L18trti2_kernel_smallILi39EdPKPdEEv13rocblas_fill_17rocblas_diagonal_T1_iil
    .private_segment_fixed_size: 320
    .sgpr_count:     20
    .sgpr_spill_count: 0
    .symbol:         _ZN9rocsolver6v33100L18trti2_kernel_smallILi39EdPKPdEEv13rocblas_fill_17rocblas_diagonal_T1_iil.kd
    .uniform_work_group_size: 1
    .uses_dynamic_stack: false
    .vgpr_count:     126
    .vgpr_spill_count: 0
    .wavefront_size: 64
  - .agpr_count:     0
    .args:
      - .offset:         0
        .size:           4
        .value_kind:     by_value
      - .offset:         4
        .size:           4
        .value_kind:     by_value
      - .address_space:  global
        .offset:         8
        .size:           8
        .value_kind:     global_buffer
      - .offset:         16
        .size:           4
        .value_kind:     by_value
      - .offset:         20
        .size:           4
        .value_kind:     by_value
      - .offset:         24
        .size:           8
        .value_kind:     by_value
    .group_segment_fixed_size: 640
    .kernarg_segment_align: 8
    .kernarg_segment_size: 32
    .language:       OpenCL C
    .language_version:
      - 2
      - 0
    .max_flat_workgroup_size: 64
    .name:           _ZN9rocsolver6v33100L18trti2_kernel_smallILi40EdPKPdEEv13rocblas_fill_17rocblas_diagonal_T1_iil
    .private_segment_fixed_size: 336
    .sgpr_count:     20
    .sgpr_spill_count: 0
    .symbol:         _ZN9rocsolver6v33100L18trti2_kernel_smallILi40EdPKPdEEv13rocblas_fill_17rocblas_diagonal_T1_iil.kd
    .uniform_work_group_size: 1
    .uses_dynamic_stack: false
    .vgpr_count:     162
    .vgpr_spill_count: 0
    .wavefront_size: 64
  - .agpr_count:     0
    .args:
      - .offset:         0
        .size:           4
        .value_kind:     by_value
      - .offset:         4
        .size:           4
        .value_kind:     by_value
      - .address_space:  global
        .offset:         8
        .size:           8
        .value_kind:     global_buffer
      - .offset:         16
        .size:           4
        .value_kind:     by_value
      - .offset:         20
        .size:           4
        .value_kind:     by_value
      - .offset:         24
        .size:           8
        .value_kind:     by_value
    .group_segment_fixed_size: 664
    .kernarg_segment_align: 8
    .kernarg_segment_size: 32
    .language:       OpenCL C
    .language_version:
      - 2
      - 0
    .max_flat_workgroup_size: 64
    .name:           _ZN9rocsolver6v33100L18trti2_kernel_smallILi41EdPKPdEEv13rocblas_fill_17rocblas_diagonal_T1_iil
    .private_segment_fixed_size: 336
    .sgpr_count:     20
    .sgpr_spill_count: 0
    .symbol:         _ZN9rocsolver6v33100L18trti2_kernel_smallILi41EdPKPdEEv13rocblas_fill_17rocblas_diagonal_T1_iil.kd
    .uniform_work_group_size: 1
    .uses_dynamic_stack: false
    .vgpr_count:     164
    .vgpr_spill_count: 0
    .wavefront_size: 64
  - .agpr_count:     0
    .args:
      - .offset:         0
        .size:           4
        .value_kind:     by_value
      - .offset:         4
        .size:           4
        .value_kind:     by_value
      - .address_space:  global
        .offset:         8
        .size:           8
        .value_kind:     global_buffer
      - .offset:         16
        .size:           4
        .value_kind:     by_value
      - .offset:         20
        .size:           4
        .value_kind:     by_value
      - .offset:         24
        .size:           8
        .value_kind:     by_value
    .group_segment_fixed_size: 672
    .kernarg_segment_align: 8
    .kernarg_segment_size: 32
    .language:       OpenCL C
    .language_version:
      - 2
      - 0
    .max_flat_workgroup_size: 64
    .name:           _ZN9rocsolver6v33100L18trti2_kernel_smallILi42EdPKPdEEv13rocblas_fill_17rocblas_diagonal_T1_iil
    .private_segment_fixed_size: 352
    .sgpr_count:     20
    .sgpr_spill_count: 0
    .symbol:         _ZN9rocsolver6v33100L18trti2_kernel_smallILi42EdPKPdEEv13rocblas_fill_17rocblas_diagonal_T1_iil.kd
    .uniform_work_group_size: 1
    .uses_dynamic_stack: false
    .vgpr_count:     168
    .vgpr_spill_count: 0
    .wavefront_size: 64
  - .agpr_count:     0
    .args:
      - .offset:         0
        .size:           4
        .value_kind:     by_value
      - .offset:         4
        .size:           4
        .value_kind:     by_value
      - .address_space:  global
        .offset:         8
        .size:           8
        .value_kind:     global_buffer
      - .offset:         16
        .size:           4
        .value_kind:     by_value
      - .offset:         20
        .size:           4
        .value_kind:     by_value
      - .offset:         24
        .size:           8
        .value_kind:     by_value
    .group_segment_fixed_size: 696
    .kernarg_segment_align: 8
    .kernarg_segment_size: 32
    .language:       OpenCL C
    .language_version:
      - 2
      - 0
    .max_flat_workgroup_size: 64
    .name:           _ZN9rocsolver6v33100L18trti2_kernel_smallILi43EdPKPdEEv13rocblas_fill_17rocblas_diagonal_T1_iil
    .private_segment_fixed_size: 352
    .sgpr_count:     20
    .sgpr_spill_count: 0
    .symbol:         _ZN9rocsolver6v33100L18trti2_kernel_smallILi43EdPKPdEEv13rocblas_fill_17rocblas_diagonal_T1_iil.kd
    .uniform_work_group_size: 1
    .uses_dynamic_stack: false
    .vgpr_count:     164
    .vgpr_spill_count: 0
    .wavefront_size: 64
  - .agpr_count:     0
    .args:
      - .offset:         0
        .size:           4
        .value_kind:     by_value
      - .offset:         4
        .size:           4
        .value_kind:     by_value
      - .address_space:  global
        .offset:         8
        .size:           8
        .value_kind:     global_buffer
      - .offset:         16
        .size:           4
        .value_kind:     by_value
      - .offset:         20
        .size:           4
        .value_kind:     by_value
      - .offset:         24
        .size:           8
        .value_kind:     by_value
    .group_segment_fixed_size: 704
    .kernarg_segment_align: 8
    .kernarg_segment_size: 32
    .language:       OpenCL C
    .language_version:
      - 2
      - 0
    .max_flat_workgroup_size: 64
    .name:           _ZN9rocsolver6v33100L18trti2_kernel_smallILi44EdPKPdEEv13rocblas_fill_17rocblas_diagonal_T1_iil
    .private_segment_fixed_size: 368
    .sgpr_count:     20
    .sgpr_spill_count: 0
    .symbol:         _ZN9rocsolver6v33100L18trti2_kernel_smallILi44EdPKPdEEv13rocblas_fill_17rocblas_diagonal_T1_iil.kd
    .uniform_work_group_size: 1
    .uses_dynamic_stack: false
    .vgpr_count:     164
    .vgpr_spill_count: 0
    .wavefront_size: 64
  - .agpr_count:     0
    .args:
      - .offset:         0
        .size:           4
        .value_kind:     by_value
      - .offset:         4
        .size:           4
        .value_kind:     by_value
      - .address_space:  global
        .offset:         8
        .size:           8
        .value_kind:     global_buffer
      - .offset:         16
        .size:           4
        .value_kind:     by_value
      - .offset:         20
        .size:           4
        .value_kind:     by_value
      - .offset:         24
        .size:           8
        .value_kind:     by_value
    .group_segment_fixed_size: 728
    .kernarg_segment_align: 8
    .kernarg_segment_size: 32
    .language:       OpenCL C
    .language_version:
      - 2
      - 0
    .max_flat_workgroup_size: 64
    .name:           _ZN9rocsolver6v33100L18trti2_kernel_smallILi45EdPKPdEEv13rocblas_fill_17rocblas_diagonal_T1_iil
    .private_segment_fixed_size: 368
    .sgpr_count:     20
    .sgpr_spill_count: 0
    .symbol:         _ZN9rocsolver6v33100L18trti2_kernel_smallILi45EdPKPdEEv13rocblas_fill_17rocblas_diagonal_T1_iil.kd
    .uniform_work_group_size: 1
    .uses_dynamic_stack: false
    .vgpr_count:     164
    .vgpr_spill_count: 0
    .wavefront_size: 64
  - .agpr_count:     0
    .args:
      - .offset:         0
        .size:           4
        .value_kind:     by_value
      - .offset:         4
        .size:           4
        .value_kind:     by_value
      - .address_space:  global
        .offset:         8
        .size:           8
        .value_kind:     global_buffer
      - .offset:         16
        .size:           4
        .value_kind:     by_value
      - .offset:         20
        .size:           4
        .value_kind:     by_value
      - .offset:         24
        .size:           8
        .value_kind:     by_value
    .group_segment_fixed_size: 736
    .kernarg_segment_align: 8
    .kernarg_segment_size: 32
    .language:       OpenCL C
    .language_version:
      - 2
      - 0
    .max_flat_workgroup_size: 64
    .name:           _ZN9rocsolver6v33100L18trti2_kernel_smallILi46EdPKPdEEv13rocblas_fill_17rocblas_diagonal_T1_iil
    .private_segment_fixed_size: 384
    .sgpr_count:     20
    .sgpr_spill_count: 0
    .symbol:         _ZN9rocsolver6v33100L18trti2_kernel_smallILi46EdPKPdEEv13rocblas_fill_17rocblas_diagonal_T1_iil.kd
    .uniform_work_group_size: 1
    .uses_dynamic_stack: false
    .vgpr_count:     164
    .vgpr_spill_count: 0
    .wavefront_size: 64
  - .agpr_count:     0
    .args:
      - .offset:         0
        .size:           4
        .value_kind:     by_value
      - .offset:         4
        .size:           4
        .value_kind:     by_value
      - .address_space:  global
        .offset:         8
        .size:           8
        .value_kind:     global_buffer
      - .offset:         16
        .size:           4
        .value_kind:     by_value
      - .offset:         20
        .size:           4
        .value_kind:     by_value
      - .offset:         24
        .size:           8
        .value_kind:     by_value
    .group_segment_fixed_size: 760
    .kernarg_segment_align: 8
    .kernarg_segment_size: 32
    .language:       OpenCL C
    .language_version:
      - 2
      - 0
    .max_flat_workgroup_size: 64
    .name:           _ZN9rocsolver6v33100L18trti2_kernel_smallILi47EdPKPdEEv13rocblas_fill_17rocblas_diagonal_T1_iil
    .private_segment_fixed_size: 384
    .sgpr_count:     20
    .sgpr_spill_count: 0
    .symbol:         _ZN9rocsolver6v33100L18trti2_kernel_smallILi47EdPKPdEEv13rocblas_fill_17rocblas_diagonal_T1_iil.kd
    .uniform_work_group_size: 1
    .uses_dynamic_stack: false
    .vgpr_count:     164
    .vgpr_spill_count: 0
    .wavefront_size: 64
  - .agpr_count:     0
    .args:
      - .offset:         0
        .size:           4
        .value_kind:     by_value
      - .offset:         4
        .size:           4
        .value_kind:     by_value
      - .address_space:  global
        .offset:         8
        .size:           8
        .value_kind:     global_buffer
      - .offset:         16
        .size:           4
        .value_kind:     by_value
      - .offset:         20
        .size:           4
        .value_kind:     by_value
      - .offset:         24
        .size:           8
        .value_kind:     by_value
    .group_segment_fixed_size: 768
    .kernarg_segment_align: 8
    .kernarg_segment_size: 32
    .language:       OpenCL C
    .language_version:
      - 2
      - 0
    .max_flat_workgroup_size: 64
    .name:           _ZN9rocsolver6v33100L18trti2_kernel_smallILi48EdPKPdEEv13rocblas_fill_17rocblas_diagonal_T1_iil
    .private_segment_fixed_size: 400
    .sgpr_count:     20
    .sgpr_spill_count: 0
    .symbol:         _ZN9rocsolver6v33100L18trti2_kernel_smallILi48EdPKPdEEv13rocblas_fill_17rocblas_diagonal_T1_iil.kd
    .uniform_work_group_size: 1
    .uses_dynamic_stack: false
    .vgpr_count:     164
    .vgpr_spill_count: 0
    .wavefront_size: 64
  - .agpr_count:     0
    .args:
      - .offset:         0
        .size:           4
        .value_kind:     by_value
      - .offset:         4
        .size:           4
        .value_kind:     by_value
      - .address_space:  global
        .offset:         8
        .size:           8
        .value_kind:     global_buffer
      - .offset:         16
        .size:           4
        .value_kind:     by_value
      - .offset:         20
        .size:           4
        .value_kind:     by_value
      - .offset:         24
        .size:           8
        .value_kind:     by_value
    .group_segment_fixed_size: 792
    .kernarg_segment_align: 8
    .kernarg_segment_size: 32
    .language:       OpenCL C
    .language_version:
      - 2
      - 0
    .max_flat_workgroup_size: 64
    .name:           _ZN9rocsolver6v33100L18trti2_kernel_smallILi49EdPKPdEEv13rocblas_fill_17rocblas_diagonal_T1_iil
    .private_segment_fixed_size: 400
    .sgpr_count:     20
    .sgpr_spill_count: 0
    .symbol:         _ZN9rocsolver6v33100L18trti2_kernel_smallILi49EdPKPdEEv13rocblas_fill_17rocblas_diagonal_T1_iil.kd
    .uniform_work_group_size: 1
    .uses_dynamic_stack: false
    .vgpr_count:     164
    .vgpr_spill_count: 0
    .wavefront_size: 64
  - .agpr_count:     0
    .args:
      - .offset:         0
        .size:           4
        .value_kind:     by_value
      - .offset:         4
        .size:           4
        .value_kind:     by_value
      - .address_space:  global
        .offset:         8
        .size:           8
        .value_kind:     global_buffer
      - .offset:         16
        .size:           4
        .value_kind:     by_value
      - .offset:         20
        .size:           4
        .value_kind:     by_value
      - .offset:         24
        .size:           8
        .value_kind:     by_value
    .group_segment_fixed_size: 800
    .kernarg_segment_align: 8
    .kernarg_segment_size: 32
    .language:       OpenCL C
    .language_version:
      - 2
      - 0
    .max_flat_workgroup_size: 64
    .name:           _ZN9rocsolver6v33100L18trti2_kernel_smallILi50EdPKPdEEv13rocblas_fill_17rocblas_diagonal_T1_iil
    .private_segment_fixed_size: 416
    .sgpr_count:     20
    .sgpr_spill_count: 0
    .symbol:         _ZN9rocsolver6v33100L18trti2_kernel_smallILi50EdPKPdEEv13rocblas_fill_17rocblas_diagonal_T1_iil.kd
    .uniform_work_group_size: 1
    .uses_dynamic_stack: false
    .vgpr_count:     164
    .vgpr_spill_count: 0
    .wavefront_size: 64
  - .agpr_count:     0
    .args:
      - .offset:         0
        .size:           4
        .value_kind:     by_value
      - .offset:         4
        .size:           4
        .value_kind:     by_value
      - .address_space:  global
        .offset:         8
        .size:           8
        .value_kind:     global_buffer
      - .offset:         16
        .size:           4
        .value_kind:     by_value
      - .offset:         20
        .size:           4
        .value_kind:     by_value
      - .offset:         24
        .size:           8
        .value_kind:     by_value
    .group_segment_fixed_size: 824
    .kernarg_segment_align: 8
    .kernarg_segment_size: 32
    .language:       OpenCL C
    .language_version:
      - 2
      - 0
    .max_flat_workgroup_size: 64
    .name:           _ZN9rocsolver6v33100L18trti2_kernel_smallILi51EdPKPdEEv13rocblas_fill_17rocblas_diagonal_T1_iil
    .private_segment_fixed_size: 416
    .sgpr_count:     20
    .sgpr_spill_count: 0
    .symbol:         _ZN9rocsolver6v33100L18trti2_kernel_smallILi51EdPKPdEEv13rocblas_fill_17rocblas_diagonal_T1_iil.kd
    .uniform_work_group_size: 1
    .uses_dynamic_stack: false
    .vgpr_count:     164
    .vgpr_spill_count: 0
    .wavefront_size: 64
  - .agpr_count:     0
    .args:
      - .offset:         0
        .size:           4
        .value_kind:     by_value
      - .offset:         4
        .size:           4
        .value_kind:     by_value
      - .address_space:  global
        .offset:         8
        .size:           8
        .value_kind:     global_buffer
      - .offset:         16
        .size:           4
        .value_kind:     by_value
      - .offset:         20
        .size:           4
        .value_kind:     by_value
      - .offset:         24
        .size:           8
        .value_kind:     by_value
    .group_segment_fixed_size: 832
    .kernarg_segment_align: 8
    .kernarg_segment_size: 32
    .language:       OpenCL C
    .language_version:
      - 2
      - 0
    .max_flat_workgroup_size: 64
    .name:           _ZN9rocsolver6v33100L18trti2_kernel_smallILi52EdPKPdEEv13rocblas_fill_17rocblas_diagonal_T1_iil
    .private_segment_fixed_size: 432
    .sgpr_count:     20
    .sgpr_spill_count: 0
    .symbol:         _ZN9rocsolver6v33100L18trti2_kernel_smallILi52EdPKPdEEv13rocblas_fill_17rocblas_diagonal_T1_iil.kd
    .uniform_work_group_size: 1
    .uses_dynamic_stack: false
    .vgpr_count:     166
    .vgpr_spill_count: 0
    .wavefront_size: 64
  - .agpr_count:     0
    .args:
      - .offset:         0
        .size:           4
        .value_kind:     by_value
      - .offset:         4
        .size:           4
        .value_kind:     by_value
      - .address_space:  global
        .offset:         8
        .size:           8
        .value_kind:     global_buffer
      - .offset:         16
        .size:           4
        .value_kind:     by_value
      - .offset:         20
        .size:           4
        .value_kind:     by_value
      - .offset:         24
        .size:           8
        .value_kind:     by_value
    .group_segment_fixed_size: 856
    .kernarg_segment_align: 8
    .kernarg_segment_size: 32
    .language:       OpenCL C
    .language_version:
      - 2
      - 0
    .max_flat_workgroup_size: 64
    .name:           _ZN9rocsolver6v33100L18trti2_kernel_smallILi53EdPKPdEEv13rocblas_fill_17rocblas_diagonal_T1_iil
    .private_segment_fixed_size: 432
    .sgpr_count:     20
    .sgpr_spill_count: 0
    .symbol:         _ZN9rocsolver6v33100L18trti2_kernel_smallILi53EdPKPdEEv13rocblas_fill_17rocblas_diagonal_T1_iil.kd
    .uniform_work_group_size: 1
    .uses_dynamic_stack: false
    .vgpr_count:     212
    .vgpr_spill_count: 0
    .wavefront_size: 64
  - .agpr_count:     0
    .args:
      - .offset:         0
        .size:           4
        .value_kind:     by_value
      - .offset:         4
        .size:           4
        .value_kind:     by_value
      - .address_space:  global
        .offset:         8
        .size:           8
        .value_kind:     global_buffer
      - .offset:         16
        .size:           4
        .value_kind:     by_value
      - .offset:         20
        .size:           4
        .value_kind:     by_value
      - .offset:         24
        .size:           8
        .value_kind:     by_value
    .group_segment_fixed_size: 864
    .kernarg_segment_align: 8
    .kernarg_segment_size: 32
    .language:       OpenCL C
    .language_version:
      - 2
      - 0
    .max_flat_workgroup_size: 64
    .name:           _ZN9rocsolver6v33100L18trti2_kernel_smallILi54EdPKPdEEv13rocblas_fill_17rocblas_diagonal_T1_iil
    .private_segment_fixed_size: 448
    .sgpr_count:     20
    .sgpr_spill_count: 0
    .symbol:         _ZN9rocsolver6v33100L18trti2_kernel_smallILi54EdPKPdEEv13rocblas_fill_17rocblas_diagonal_T1_iil.kd
    .uniform_work_group_size: 1
    .uses_dynamic_stack: false
    .vgpr_count:     216
    .vgpr_spill_count: 0
    .wavefront_size: 64
  - .agpr_count:     0
    .args:
      - .offset:         0
        .size:           4
        .value_kind:     by_value
      - .offset:         4
        .size:           4
        .value_kind:     by_value
      - .address_space:  global
        .offset:         8
        .size:           8
        .value_kind:     global_buffer
      - .offset:         16
        .size:           4
        .value_kind:     by_value
      - .offset:         20
        .size:           4
        .value_kind:     by_value
      - .offset:         24
        .size:           8
        .value_kind:     by_value
    .group_segment_fixed_size: 888
    .kernarg_segment_align: 8
    .kernarg_segment_size: 32
    .language:       OpenCL C
    .language_version:
      - 2
      - 0
    .max_flat_workgroup_size: 64
    .name:           _ZN9rocsolver6v33100L18trti2_kernel_smallILi55EdPKPdEEv13rocblas_fill_17rocblas_diagonal_T1_iil
    .private_segment_fixed_size: 448
    .sgpr_count:     20
    .sgpr_spill_count: 0
    .symbol:         _ZN9rocsolver6v33100L18trti2_kernel_smallILi55EdPKPdEEv13rocblas_fill_17rocblas_diagonal_T1_iil.kd
    .uniform_work_group_size: 1
    .uses_dynamic_stack: false
    .vgpr_count:     220
    .vgpr_spill_count: 0
    .wavefront_size: 64
  - .agpr_count:     0
    .args:
      - .offset:         0
        .size:           4
        .value_kind:     by_value
      - .offset:         4
        .size:           4
        .value_kind:     by_value
      - .address_space:  global
        .offset:         8
        .size:           8
        .value_kind:     global_buffer
      - .offset:         16
        .size:           4
        .value_kind:     by_value
      - .offset:         20
        .size:           4
        .value_kind:     by_value
      - .offset:         24
        .size:           8
        .value_kind:     by_value
    .group_segment_fixed_size: 896
    .kernarg_segment_align: 8
    .kernarg_segment_size: 32
    .language:       OpenCL C
    .language_version:
      - 2
      - 0
    .max_flat_workgroup_size: 64
    .name:           _ZN9rocsolver6v33100L18trti2_kernel_smallILi56EdPKPdEEv13rocblas_fill_17rocblas_diagonal_T1_iil
    .private_segment_fixed_size: 464
    .sgpr_count:     20
    .sgpr_spill_count: 0
    .symbol:         _ZN9rocsolver6v33100L18trti2_kernel_smallILi56EdPKPdEEv13rocblas_fill_17rocblas_diagonal_T1_iil.kd
    .uniform_work_group_size: 1
    .uses_dynamic_stack: false
    .vgpr_count:     224
    .vgpr_spill_count: 0
    .wavefront_size: 64
  - .agpr_count:     0
    .args:
      - .offset:         0
        .size:           4
        .value_kind:     by_value
      - .offset:         4
        .size:           4
        .value_kind:     by_value
      - .address_space:  global
        .offset:         8
        .size:           8
        .value_kind:     global_buffer
      - .offset:         16
        .size:           4
        .value_kind:     by_value
      - .offset:         20
        .size:           4
        .value_kind:     by_value
      - .offset:         24
        .size:           8
        .value_kind:     by_value
    .group_segment_fixed_size: 920
    .kernarg_segment_align: 8
    .kernarg_segment_size: 32
    .language:       OpenCL C
    .language_version:
      - 2
      - 0
    .max_flat_workgroup_size: 64
    .name:           _ZN9rocsolver6v33100L18trti2_kernel_smallILi57EdPKPdEEv13rocblas_fill_17rocblas_diagonal_T1_iil
    .private_segment_fixed_size: 464
    .sgpr_count:     20
    .sgpr_spill_count: 0
    .symbol:         _ZN9rocsolver6v33100L18trti2_kernel_smallILi57EdPKPdEEv13rocblas_fill_17rocblas_diagonal_T1_iil.kd
    .uniform_work_group_size: 1
    .uses_dynamic_stack: false
    .vgpr_count:     228
    .vgpr_spill_count: 0
    .wavefront_size: 64
  - .agpr_count:     0
    .args:
      - .offset:         0
        .size:           4
        .value_kind:     by_value
      - .offset:         4
        .size:           4
        .value_kind:     by_value
      - .address_space:  global
        .offset:         8
        .size:           8
        .value_kind:     global_buffer
      - .offset:         16
        .size:           4
        .value_kind:     by_value
      - .offset:         20
        .size:           4
        .value_kind:     by_value
      - .offset:         24
        .size:           8
        .value_kind:     by_value
    .group_segment_fixed_size: 928
    .kernarg_segment_align: 8
    .kernarg_segment_size: 32
    .language:       OpenCL C
    .language_version:
      - 2
      - 0
    .max_flat_workgroup_size: 64
    .name:           _ZN9rocsolver6v33100L18trti2_kernel_smallILi58EdPKPdEEv13rocblas_fill_17rocblas_diagonal_T1_iil
    .private_segment_fixed_size: 480
    .sgpr_count:     20
    .sgpr_spill_count: 0
    .symbol:         _ZN9rocsolver6v33100L18trti2_kernel_smallILi58EdPKPdEEv13rocblas_fill_17rocblas_diagonal_T1_iil.kd
    .uniform_work_group_size: 1
    .uses_dynamic_stack: false
    .vgpr_count:     232
    .vgpr_spill_count: 0
    .wavefront_size: 64
  - .agpr_count:     0
    .args:
      - .offset:         0
        .size:           4
        .value_kind:     by_value
      - .offset:         4
        .size:           4
        .value_kind:     by_value
      - .address_space:  global
        .offset:         8
        .size:           8
        .value_kind:     global_buffer
      - .offset:         16
        .size:           4
        .value_kind:     by_value
      - .offset:         20
        .size:           4
        .value_kind:     by_value
      - .offset:         24
        .size:           8
        .value_kind:     by_value
    .group_segment_fixed_size: 952
    .kernarg_segment_align: 8
    .kernarg_segment_size: 32
    .language:       OpenCL C
    .language_version:
      - 2
      - 0
    .max_flat_workgroup_size: 64
    .name:           _ZN9rocsolver6v33100L18trti2_kernel_smallILi59EdPKPdEEv13rocblas_fill_17rocblas_diagonal_T1_iil
    .private_segment_fixed_size: 480
    .sgpr_count:     20
    .sgpr_spill_count: 0
    .symbol:         _ZN9rocsolver6v33100L18trti2_kernel_smallILi59EdPKPdEEv13rocblas_fill_17rocblas_diagonal_T1_iil.kd
    .uniform_work_group_size: 1
    .uses_dynamic_stack: false
    .vgpr_count:     236
    .vgpr_spill_count: 0
    .wavefront_size: 64
  - .agpr_count:     0
    .args:
      - .offset:         0
        .size:           4
        .value_kind:     by_value
      - .offset:         4
        .size:           4
        .value_kind:     by_value
      - .address_space:  global
        .offset:         8
        .size:           8
        .value_kind:     global_buffer
      - .offset:         16
        .size:           4
        .value_kind:     by_value
      - .offset:         20
        .size:           4
        .value_kind:     by_value
      - .offset:         24
        .size:           8
        .value_kind:     by_value
    .group_segment_fixed_size: 960
    .kernarg_segment_align: 8
    .kernarg_segment_size: 32
    .language:       OpenCL C
    .language_version:
      - 2
      - 0
    .max_flat_workgroup_size: 64
    .name:           _ZN9rocsolver6v33100L18trti2_kernel_smallILi60EdPKPdEEv13rocblas_fill_17rocblas_diagonal_T1_iil
    .private_segment_fixed_size: 496
    .sgpr_count:     20
    .sgpr_spill_count: 0
    .symbol:         _ZN9rocsolver6v33100L18trti2_kernel_smallILi60EdPKPdEEv13rocblas_fill_17rocblas_diagonal_T1_iil.kd
    .uniform_work_group_size: 1
    .uses_dynamic_stack: false
    .vgpr_count:     240
    .vgpr_spill_count: 0
    .wavefront_size: 64
  - .agpr_count:     0
    .args:
      - .offset:         0
        .size:           4
        .value_kind:     by_value
      - .offset:         4
        .size:           4
        .value_kind:     by_value
      - .address_space:  global
        .offset:         8
        .size:           8
        .value_kind:     global_buffer
      - .offset:         16
        .size:           4
        .value_kind:     by_value
      - .offset:         20
        .size:           4
        .value_kind:     by_value
      - .offset:         24
        .size:           8
        .value_kind:     by_value
    .group_segment_fixed_size: 984
    .kernarg_segment_align: 8
    .kernarg_segment_size: 32
    .language:       OpenCL C
    .language_version:
      - 2
      - 0
    .max_flat_workgroup_size: 64
    .name:           _ZN9rocsolver6v33100L18trti2_kernel_smallILi61EdPKPdEEv13rocblas_fill_17rocblas_diagonal_T1_iil
    .private_segment_fixed_size: 496
    .sgpr_count:     20
    .sgpr_spill_count: 0
    .symbol:         _ZN9rocsolver6v33100L18trti2_kernel_smallILi61EdPKPdEEv13rocblas_fill_17rocblas_diagonal_T1_iil.kd
    .uniform_work_group_size: 1
    .uses_dynamic_stack: false
    .vgpr_count:     244
    .vgpr_spill_count: 0
    .wavefront_size: 64
  - .agpr_count:     0
    .args:
      - .offset:         0
        .size:           4
        .value_kind:     by_value
      - .offset:         4
        .size:           4
        .value_kind:     by_value
      - .address_space:  global
        .offset:         8
        .size:           8
        .value_kind:     global_buffer
      - .offset:         16
        .size:           4
        .value_kind:     by_value
      - .offset:         20
        .size:           4
        .value_kind:     by_value
      - .offset:         24
        .size:           8
        .value_kind:     by_value
    .group_segment_fixed_size: 992
    .kernarg_segment_align: 8
    .kernarg_segment_size: 32
    .language:       OpenCL C
    .language_version:
      - 2
      - 0
    .max_flat_workgroup_size: 64
    .name:           _ZN9rocsolver6v33100L18trti2_kernel_smallILi62EdPKPdEEv13rocblas_fill_17rocblas_diagonal_T1_iil
    .private_segment_fixed_size: 512
    .sgpr_count:     20
    .sgpr_spill_count: 0
    .symbol:         _ZN9rocsolver6v33100L18trti2_kernel_smallILi62EdPKPdEEv13rocblas_fill_17rocblas_diagonal_T1_iil.kd
    .uniform_work_group_size: 1
    .uses_dynamic_stack: false
    .vgpr_count:     248
    .vgpr_spill_count: 0
    .wavefront_size: 64
  - .agpr_count:     0
    .args:
      - .offset:         0
        .size:           4
        .value_kind:     by_value
      - .offset:         4
        .size:           4
        .value_kind:     by_value
      - .address_space:  global
        .offset:         8
        .size:           8
        .value_kind:     global_buffer
      - .offset:         16
        .size:           4
        .value_kind:     by_value
      - .offset:         20
        .size:           4
        .value_kind:     by_value
      - .offset:         24
        .size:           8
        .value_kind:     by_value
    .group_segment_fixed_size: 1016
    .kernarg_segment_align: 8
    .kernarg_segment_size: 32
    .language:       OpenCL C
    .language_version:
      - 2
      - 0
    .max_flat_workgroup_size: 64
    .name:           _ZN9rocsolver6v33100L18trti2_kernel_smallILi63EdPKPdEEv13rocblas_fill_17rocblas_diagonal_T1_iil
    .private_segment_fixed_size: 512
    .sgpr_count:     20
    .sgpr_spill_count: 0
    .symbol:         _ZN9rocsolver6v33100L18trti2_kernel_smallILi63EdPKPdEEv13rocblas_fill_17rocblas_diagonal_T1_iil.kd
    .uniform_work_group_size: 1
    .uses_dynamic_stack: false
    .vgpr_count:     252
    .vgpr_spill_count: 0
    .wavefront_size: 64
  - .agpr_count:     0
    .args:
      - .offset:         0
        .size:           4
        .value_kind:     by_value
      - .offset:         4
        .size:           4
        .value_kind:     by_value
      - .address_space:  global
        .offset:         8
        .size:           8
        .value_kind:     global_buffer
      - .offset:         16
        .size:           4
        .value_kind:     by_value
      - .offset:         20
        .size:           4
        .value_kind:     by_value
      - .offset:         24
        .size:           8
        .value_kind:     by_value
    .group_segment_fixed_size: 1024
    .kernarg_segment_align: 8
    .kernarg_segment_size: 32
    .language:       OpenCL C
    .language_version:
      - 2
      - 0
    .max_flat_workgroup_size: 64
    .name:           _ZN9rocsolver6v33100L18trti2_kernel_smallILi64EdPKPdEEv13rocblas_fill_17rocblas_diagonal_T1_iil
    .private_segment_fixed_size: 528
    .sgpr_count:     20
    .sgpr_spill_count: 0
    .symbol:         _ZN9rocsolver6v33100L18trti2_kernel_smallILi64EdPKPdEEv13rocblas_fill_17rocblas_diagonal_T1_iil.kd
    .uniform_work_group_size: 1
    .uses_dynamic_stack: false
    .vgpr_count:     256
    .vgpr_spill_count: 0
    .wavefront_size: 64
amdhsa.target:   amdgcn-amd-amdhsa--gfx90a
amdhsa.version:
  - 1
  - 2
...

	.end_amdgpu_metadata
